;; amdgpu-corpus repo=vllm-project/vllm kind=compiled arch=gfx90a opt=O3
	.text
	.amdgcn_target "amdgcn-amd-amdhsa--gfx90a"
	.amdhsa_code_object_version 6
	.section	.text._ZN4vllm38concat_and_cache_mla_rope_fused_kernelIffLb1EffLNS_18Fp8KVCacheDataTypeE0EEEvPKlPT_S5_PKS4_PKT0_illlliPT3_S3_iiiiPKf,"axG",@progbits,_ZN4vllm38concat_and_cache_mla_rope_fused_kernelIffLb1EffLNS_18Fp8KVCacheDataTypeE0EEEvPKlPT_S5_PKS4_PKT0_illlliPT3_S3_iiiiPKf,comdat
	.protected	_ZN4vllm38concat_and_cache_mla_rope_fused_kernelIffLb1EffLNS_18Fp8KVCacheDataTypeE0EEEvPKlPT_S5_PKS4_PKT0_illlliPT3_S3_iiiiPKf ; -- Begin function _ZN4vllm38concat_and_cache_mla_rope_fused_kernelIffLb1EffLNS_18Fp8KVCacheDataTypeE0EEEvPKlPT_S5_PKS4_PKT0_illlliPT3_S3_iiiiPKf
	.globl	_ZN4vllm38concat_and_cache_mla_rope_fused_kernelIffLb1EffLNS_18Fp8KVCacheDataTypeE0EEEvPKlPT_S5_PKS4_PKT0_illlliPT3_S3_iiiiPKf
	.p2align	8
	.type	_ZN4vllm38concat_and_cache_mla_rope_fused_kernelIffLb1EffLNS_18Fp8KVCacheDataTypeE0EEEvPKlPT_S5_PKS4_PKT0_illlliPT3_S3_iiiiPKf,@function
_ZN4vllm38concat_and_cache_mla_rope_fused_kernelIffLb1EffLNS_18Fp8KVCacheDataTypeE0EEEvPKlPT_S5_PKS4_PKT0_illlliPT3_S3_iiiiPKf: ; @_ZN4vllm38concat_and_cache_mla_rope_fused_kernelIffLb1EffLNS_18Fp8KVCacheDataTypeE0EEEvPKlPT_S5_PKS4_PKT0_illlliPT3_S3_iiiiPKf
; %bb.0:
	s_load_dwordx2 s[2:3], s[4:5], 0x60
	s_mov_b32 s7, 0
	s_lshl_b64 s[0:1], s[6:7], 3
	s_waitcnt lgkmcnt(0)
	s_add_u32 s2, s2, s0
	s_addc_u32 s3, s3, s1
	s_load_dwordx2 s[30:31], s[2:3], 0x0
	s_waitcnt lgkmcnt(0)
	v_cmp_lt_i64_e64 s[2:3], s[30:31], 0
	s_and_b64 vcc, exec, s[2:3]
	s_cbranch_vccnz .LBB0_13
; %bb.1:
	s_load_dword s22, s[4:5], 0x28
	s_load_dwordx2 s[2:3], s[4:5], 0x0
	s_load_dwordx4 s[16:19], s[4:5], 0x10
	s_waitcnt lgkmcnt(0)
	s_ashr_i32 s7, s22, 31
	s_add_u32 s0, s2, s0
	s_addc_u32 s1, s3, s1
	s_load_dwordx2 s[20:21], s[0:1], 0x0
	s_load_dwordx2 s[2:3], s[4:5], 0x20
	s_load_dwordx8 s[8:15], s[4:5], 0x30
	s_load_dwordx2 s[24:25], s[4:5], 0x58
	s_load_dword s23, s[4:5], 0x50
	s_waitcnt lgkmcnt(0)
	s_mul_i32 s0, s20, s7
	s_mul_hi_u32 s1, s20, s22
	s_mul_i32 s7, s21, s22
	s_add_i32 s0, s1, s0
	s_add_i32 s1, s0, s7
	s_mul_i32 s0, s20, s22
	s_lshl_b64 s[28:29], s[0:1], 2
	s_add_u32 s7, s2, s28
	s_addc_u32 s33, s3, s29
	s_lshr_b32 s0, s22, 31
	s_add_i32 s22, s22, s0
	s_ashr_i32 s26, s22, 1
	s_mul_i32 s22, s26, s23
	v_cmp_gt_i32_e32 vcc, s22, v0
	s_and_saveexec_b64 s[0:1], vcc
	s_cbranch_execz .LBB0_4
; %bb.2:
	s_load_dwordx2 s[20:21], s[4:5], 0x8
	s_load_dword s35, s[4:5], 0x8c
	s_mul_i32 s9, s6, s9
	s_mul_hi_u32 s23, s6, s8
	s_add_i32 s9, s23, s9
	s_mul_i32 s8, s6, s8
	s_ashr_i32 s27, s26, 31
	s_lshl_b64 s[8:9], s[8:9], 2
	s_waitcnt lgkmcnt(0)
	s_add_u32 s23, s20, s8
	s_addc_u32 s37, s21, s9
	s_abs_i32 s34, s26
	v_cvt_f32_u32_e32 v1, s34
	s_sub_i32 s20, 0, s34
	s_mov_b64 s[8:9], 0
	s_and_b32 s35, s35, 0xffff
	v_rcp_iflag_f32_e32 v2, v1
	v_mov_b32_e32 v1, s33
	s_sub_i32 s36, 0, s26
	v_mov_b32_e32 v5, s37
	v_mul_f32_e32 v2, 0x4f7ffffe, v2
	v_cvt_u32_f32_e32 v2, v2
	v_mul_lo_u32 v3, s20, v2
	v_mul_hi_u32 v3, v2, v3
	s_lshl_b64 s[20:21], s[26:27], 2
	v_add_u32_e32 v3, v2, v3
	v_mov_b32_e32 v4, s21
	v_mov_b32_e32 v2, v0
.LBB0_3:                                ; =>This Inner Loop Header: Depth=1
	v_sub_u32_e32 v7, 0, v2
	v_max_i32_e32 v7, v2, v7
	v_mul_hi_u32 v8, v7, v3
	v_mul_lo_u32 v9, v8, s34
	v_sub_u32_e32 v7, v7, v9
	v_add_u32_e32 v10, 1, v8
	v_cmp_le_u32_e32 vcc, s34, v7
	v_subrev_u32_e32 v9, s34, v7
	v_cndmask_b32_e32 v8, v8, v10, vcc
	v_cndmask_b32_e32 v7, v7, v9, vcc
	v_ashrrev_i32_e32 v6, 31, v2
	v_add_u32_e32 v9, 1, v8
	v_cmp_le_u32_e32 vcc, s34, v7
	v_xor_b32_e32 v6, s27, v6
	v_cndmask_b32_e32 v7, v8, v9, vcc
	v_xor_b32_e32 v7, v7, v6
	v_sub_u32_e32 v8, v7, v6
	v_mad_u64_u32 v[6:7], s[38:39], s36, v8, v[2:3]
	v_ashrrev_i32_e32 v10, 31, v8
	v_ashrrev_i32_e32 v7, 31, v6
	v_mul_lo_u32 v11, v8, s11
	v_mad_u64_u32 v[8:9], s[38:39], v8, s10, 0
	v_mul_lo_u32 v10, v10, s10
	v_lshlrev_b64 v[6:7], 2, v[6:7]
	v_add3_u32 v9, v9, v11, v10
	v_add_co_u32_e32 v10, vcc, s7, v6
	v_addc_co_u32_e32 v11, vcc, v1, v7, vcc
	v_add_co_u32_e32 v12, vcc, s20, v10
	v_lshlrev_b64 v[8:9], 2, v[8:9]
	v_addc_co_u32_e32 v13, vcc, v11, v4, vcc
	v_add_co_u32_e32 v8, vcc, s23, v8
	v_addc_co_u32_e32 v9, vcc, v5, v9, vcc
	v_add_co_u32_e32 v6, vcc, v8, v6
	;; [unrolled: 2-line block ×3, first 2 shown]
	global_load_dword v14, v[10:11], off
	global_load_dword v15, v[12:13], off
	v_addc_co_u32_e32 v9, vcc, v7, v4, vcc
	global_load_dword v10, v[6:7], off
	global_load_dword v11, v[8:9], off
	v_add_u32_e32 v2, s35, v2
	v_cmp_le_i32_e32 vcc, s22, v2
	s_or_b64 s[8:9], vcc, s[8:9]
	s_waitcnt vmcnt(0)
	v_mul_f32_e32 v12, v15, v11
	v_mul_f32_e32 v11, v14, v11
	v_fma_f32 v12, v14, v10, -v12
	v_fmac_f32_e32 v11, v15, v10
	global_store_dword v[6:7], v12, off
	global_store_dword v[8:9], v11, off
	s_andn2_b64 exec, exec, s[8:9]
	s_cbranch_execnz .LBB0_3
.LBB0_4:
	s_or_b64 exec, exec, s[0:1]
	s_load_dwordx4 s[20:23], s[4:5], 0x68
	s_waitcnt lgkmcnt(0)
	s_ashr_i32 s9, s23, 31
	s_mov_b32 s8, s23
	s_or_b64 s[0:1], s[30:31], s[8:9]
	s_mov_b32 s0, 0
	s_cmp_lg_u64 s[0:1], 0
	s_cbranch_scc0 .LBB0_14
; %bb.5:
	s_add_u32 s0, s8, s9
	s_mov_b32 s10, s9
	s_mov_b32 s11, s9
	s_addc_u32 s1, s9, s9
	s_xor_b64 s[36:37], s[0:1], s[10:11]
	v_cvt_f32_u32_e32 v1, s36
	v_cvt_f32_u32_e32 v2, s37
	s_sub_u32 s0, 0, s36
	s_subb_u32 s1, 0, s37
	v_madmk_f32 v1, v2, 0x4f800000, v1
	v_rcp_f32_e32 v1, v1
	v_mul_f32_e32 v1, 0x5f7ffffc, v1
	v_mul_f32_e32 v2, 0x2f800000, v1
	v_trunc_f32_e32 v2, v2
	v_madmk_f32 v1, v2, 0xcf800000, v1
	v_cvt_u32_f32_e32 v2, v2
	v_cvt_u32_f32_e32 v1, v1
	v_readfirstlane_b32 s23, v2
	v_readfirstlane_b32 s27, v1
	s_mul_i32 s38, s0, s23
	s_mul_hi_u32 s40, s0, s27
	s_mul_i32 s39, s1, s27
	s_add_i32 s38, s40, s38
	s_add_i32 s38, s38, s39
	s_mul_i32 s41, s0, s27
	s_mul_hi_u32 s39, s27, s38
	s_mul_i32 s40, s27, s38
	s_mul_hi_u32 s27, s27, s41
	s_add_u32 s27, s27, s40
	s_addc_u32 s39, 0, s39
	s_mul_hi_u32 s42, s23, s41
	s_mul_i32 s41, s23, s41
	s_add_u32 s27, s27, s41
	s_mul_hi_u32 s40, s23, s38
	s_addc_u32 s27, s39, s42
	s_addc_u32 s39, s40, 0
	s_mul_i32 s38, s23, s38
	s_add_u32 s27, s27, s38
	s_addc_u32 s38, 0, s39
	v_add_co_u32_e32 v1, vcc, s27, v1
	s_cmp_lg_u64 vcc, 0
	s_addc_u32 s23, s23, s38
	v_readfirstlane_b32 s38, v1
	s_mul_i32 s27, s0, s23
	s_mul_hi_u32 s39, s0, s38
	s_add_i32 s27, s39, s27
	s_mul_i32 s1, s1, s38
	s_add_i32 s27, s27, s1
	s_mul_i32 s0, s0, s38
	s_mul_hi_u32 s39, s23, s0
	s_mul_i32 s40, s23, s0
	s_mul_i32 s42, s38, s27
	s_mul_hi_u32 s0, s38, s0
	s_mul_hi_u32 s41, s38, s27
	s_add_u32 s0, s0, s42
	s_addc_u32 s38, 0, s41
	s_add_u32 s0, s0, s40
	s_mul_hi_u32 s1, s23, s27
	s_addc_u32 s0, s38, s39
	s_addc_u32 s1, s1, 0
	s_mul_i32 s27, s23, s27
	s_add_u32 s0, s0, s27
	s_addc_u32 s1, 0, s1
	v_add_co_u32_e32 v1, vcc, s0, v1
	s_cmp_lg_u64 vcc, 0
	s_addc_u32 s23, s23, s1
	s_ashr_i32 s38, s31, 31
	s_add_u32 s0, s30, s38
	s_mov_b32 s39, s38
	s_addc_u32 s1, s31, s38
	s_xor_b64 s[40:41], s[0:1], s[38:39]
	v_readfirstlane_b32 s27, v1
	s_mul_i32 s1, s40, s23
	s_mul_hi_u32 s42, s40, s27
	s_mul_hi_u32 s0, s40, s23
	s_add_u32 s1, s42, s1
	s_addc_u32 s0, 0, s0
	s_mul_hi_u32 s43, s41, s27
	s_mul_i32 s27, s41, s27
	s_add_u32 s1, s1, s27
	s_mul_hi_u32 s42, s41, s23
	s_addc_u32 s0, s0, s43
	s_addc_u32 s1, s42, 0
	s_mul_i32 s23, s41, s23
	s_add_u32 s23, s0, s23
	s_addc_u32 s27, 0, s1
	s_mul_i32 s0, s36, s27
	s_mul_hi_u32 s1, s36, s23
	s_add_i32 s0, s1, s0
	s_mul_i32 s1, s37, s23
	s_add_i32 s42, s0, s1
	s_mul_i32 s1, s36, s23
	v_mov_b32_e32 v1, s1
	s_sub_i32 s0, s41, s42
	v_sub_co_u32_e32 v1, vcc, s40, v1
	s_cmp_lg_u64 vcc, 0
	s_subb_u32 s40, s0, s37
	v_subrev_co_u32_e64 v2, s[0:1], s36, v1
	s_cmp_lg_u64 s[0:1], 0
	s_subb_u32 s0, s40, 0
	s_cmp_ge_u32 s0, s37
	v_readfirstlane_b32 s40, v2
	s_cselect_b32 s1, -1, 0
	s_cmp_ge_u32 s40, s36
	s_cselect_b32 s40, -1, 0
	s_cmp_eq_u32 s0, s37
	s_cselect_b32 s0, s40, s1
	s_add_u32 s1, s23, 1
	s_addc_u32 s40, s27, 0
	s_add_u32 s43, s23, 2
	s_addc_u32 s44, s27, 0
	s_cmp_lg_u32 s0, 0
	s_cselect_b32 s0, s43, s1
	s_cselect_b32 s1, s44, s40
	s_cmp_lg_u64 vcc, 0
	s_subb_u32 s40, s41, s42
	s_cmp_ge_u32 s40, s37
	v_readfirstlane_b32 s42, v1
	s_cselect_b32 s41, -1, 0
	s_cmp_ge_u32 s42, s36
	s_cselect_b32 s36, -1, 0
	s_cmp_eq_u32 s40, s37
	s_cselect_b32 s36, s36, s41
	s_cmp_lg_u32 s36, 0
	s_cselect_b32 s1, s1, s27
	s_cselect_b32 s0, s0, s23
	s_xor_b64 s[10:11], s[38:39], s[10:11]
	s_xor_b64 s[0:1], s[0:1], s[10:11]
	s_sub_u32 s10, s0, s10
	s_subb_u32 s11, s1, s11
	s_cbranch_execnz .LBB0_7
.LBB0_6:
	v_cvt_f32_u32_e32 v1, s8
	s_sub_i32 s0, 0, s8
	s_mov_b32 s11, 0
	v_rcp_iflag_f32_e32 v1, v1
	v_mul_f32_e32 v1, 0x4f7ffffe, v1
	v_cvt_u32_f32_e32 v1, v1
	v_readfirstlane_b32 s1, v1
	s_mul_i32 s0, s0, s1
	s_mul_hi_u32 s0, s1, s0
	s_add_i32 s1, s1, s0
	s_mul_hi_u32 s0, s30, s1
	s_mul_i32 s10, s0, s8
	s_sub_i32 s10, s30, s10
	s_add_i32 s1, s0, 1
	s_sub_i32 s23, s10, s8
	s_cmp_ge_u32 s10, s8
	s_cselect_b32 s0, s1, s0
	s_cselect_b32 s10, s23, s10
	s_add_i32 s1, s0, 1
	s_cmp_ge_u32 s10, s8
	s_cselect_b32 s10, s1, s0
.LBB0_7:
	s_mul_i32 s0, s10, s9
	s_mul_hi_u32 s1, s10, s8
	s_add_i32 s0, s1, s0
	s_mul_i32 s1, s11, s8
	s_add_i32 s0, s0, s1
	s_mul_i32 s1, s10, s8
	s_sub_u32 s38, s30, s1
	s_subb_u32 s0, s31, s0
	v_cmp_gt_i32_e32 vcc, s26, v0
	s_mul_hi_u32 s40, s10, s20
	s_mul_i32 s41, s11, s20
	s_mul_i32 s34, s10, s20
	s_mul_hi_u32 s39, s38, s21
	s_mul_i32 s11, s0, s21
	s_mul_i32 s30, s38, s21
	s_and_saveexec_b64 s[36:37], vcc
	s_cbranch_execz .LBB0_10
; %bb.8:
	s_mul_i32 s0, s6, s13
	s_mul_hi_u32 s1, s6, s12
	s_add_i32 s1, s1, s0
	s_mul_i32 s0, s6, s12
	s_ashr_i32 s27, s26, 31
	s_lshl_b64 s[0:1], s[0:1], 2
	s_add_u32 s42, s16, s0
	s_addc_u32 s43, s17, s1
	s_ashr_i32 s8, s20, 31
	s_mul_i32 s8, s10, s8
	s_add_i32 s8, s40, s8
	s_add_i32 s35, s8, s41
	s_ashr_i32 s8, s21, 31
	s_mul_i32 s8, s38, s8
	s_add_i32 s8, s39, s8
	s_add_i32 s31, s8, s11
	s_lshl_b64 s[8:9], s[34:35], 2
	s_lshl_b64 s[12:13], s[30:31], 2
	s_add_u32 s45, s8, s12
	s_addc_u32 s46, s9, s13
	s_load_dword s35, s[4:5], 0x8c
	s_add_u32 s12, s45, s24
	s_addc_u32 s13, s46, s25
	s_ashr_i32 s23, s22, 31
	s_lshl_b64 s[8:9], s[22:23], 2
	s_add_u32 s23, s12, s8
	s_addc_u32 s31, s13, s9
	s_waitcnt lgkmcnt(0)
	s_and_b32 s35, s35, 0xffff
	s_lshl_b32 s44, s35, 2
	s_lshl_b64 s[12:13], s[26:27], 2
	s_add_u32 s27, s28, s12
	s_addc_u32 s28, s29, s13
	s_add_u32 s27, s2, s27
	s_addc_u32 s28, s3, s28
	;; [unrolled: 2-line block ×6, first 2 shown]
	s_add_u32 s29, s24, s0
	v_lshlrev_b32_e32 v2, 2, v0
	s_addc_u32 s45, s25, s1
	s_mov_b64 s[12:13], 0
	v_mov_b32_e32 v1, v0
.LBB0_9:                                ; =>This Inner Loop Header: Depth=1
	v_mov_b32_e32 v5, s28
	v_add_co_u32_e32 v4, vcc, s27, v2
	v_mov_b32_e32 v3, s33
	v_mov_b32_e32 v7, s43
	v_add_co_u32_e64 v6, s[0:1], s42, v2
	v_mov_b32_e32 v9, s17
	v_add_co_u32_e64 v8, s[2:3], s16, v2
	v_add_co_u32_e64 v10, s[8:9], s7, v2
	v_addc_co_u32_e32 v5, vcc, 0, v5, vcc
	v_addc_co_u32_e64 v11, s[8:9], 0, v3, s[8:9]
	v_addc_co_u32_e64 v7, vcc, 0, v7, s[0:1]
	v_addc_co_u32_e64 v9, vcc, 0, v9, s[2:3]
	global_load_dword v3, v[4:5], off
	global_load_dword v12, v[8:9], off
	;; [unrolled: 1-line block ×4, first 2 shown]
	s_add_u32 s7, s7, s44
	s_addc_u32 s33, s33, 0
	s_add_u32 s27, s27, s44
	s_addc_u32 s28, s28, 0
	;; [unrolled: 2-line block ×4, first 2 shown]
	v_add_co_u32_e32 v4, vcc, s29, v2
	s_add_u32 s29, s29, s44
	v_mov_b32_e32 v5, s31
	v_mov_b32_e32 v15, s45
	v_add_co_u32_e64 v10, s[0:1], s23, v2
	s_addc_u32 s45, s45, 0
	v_add_u32_e32 v1, s35, v1
	v_addc_co_u32_e64 v11, s[0:1], 0, v5, s[0:1]
	v_addc_co_u32_e32 v5, vcc, 0, v15, vcc
	s_add_u32 s23, s23, s44
	v_cmp_le_i32_e32 vcc, s26, v1
	s_addc_u32 s31, s31, 0
	s_or_b64 s[12:13], vcc, s[12:13]
	s_waitcnt vmcnt(2)
	v_mul_f32_e32 v15, v3, v12
	s_waitcnt vmcnt(1)
	v_mul_f32_e32 v12, v13, v12
	s_waitcnt vmcnt(0)
	v_fma_f32 v13, v13, v14, -v15
	v_fmac_f32_e32 v12, v3, v14
	global_store_dword v[6:7], v13, off
	global_store_dword v[8:9], v12, off
	;; [unrolled: 1-line block ×4, first 2 shown]
	s_andn2_b64 exec, exec, s[12:13]
	s_cbranch_execnz .LBB0_9
.LBB0_10:
	s_or_b64 exec, exec, s[36:37]
	v_cmp_gt_i32_e32 vcc, s22, v0
	s_and_saveexec_b64 s[0:1], vcc
	s_cbranch_execz .LBB0_13
; %bb.11:
	s_mul_i32 s0, s6, s15
	s_mul_hi_u32 s1, s6, s14
	s_add_i32 s1, s1, s0
	s_mul_i32 s0, s6, s14
	s_lshl_b64 s[0:1], s[0:1], 2
	s_add_u32 s2, s18, s0
	s_addc_u32 s6, s19, s1
	s_ashr_i32 s0, s20, 31
	s_mul_i32 s0, s10, s0
	s_add_i32 s0, s40, s0
	s_add_i32 s35, s0, s41
	s_lshl_b64 s[0:1], s[34:35], 2
	s_add_u32 s3, s24, s0
	s_addc_u32 s7, s25, s1
	s_ashr_i32 s0, s21, 31
	s_mul_i32 s38, s38, s0
	s_add_i32 s0, s39, s38
	s_load_dword s4, s[4:5], 0x8c
	s_add_i32 s31, s0, s11
	s_lshl_b64 s[0:1], s[30:31], 2
	s_add_u32 s3, s3, s0
	s_addc_u32 s5, s7, s1
	s_waitcnt lgkmcnt(0)
	s_and_b32 s4, s4, 0xffff
	s_mov_b64 s[0:1], 0
	v_mov_b32_e32 v2, s6
	v_mov_b32_e32 v3, s5
.LBB0_12:                               ; =>This Inner Loop Header: Depth=1
	v_ashrrev_i32_e32 v1, 31, v0
	v_lshlrev_b64 v[4:5], 2, v[0:1]
	v_add_co_u32_e32 v6, vcc, s2, v4
	v_addc_co_u32_e32 v7, vcc, v2, v5, vcc
	global_load_dword v1, v[6:7], off
	v_add_co_u32_e32 v4, vcc, s3, v4
	v_addc_co_u32_e32 v5, vcc, v3, v5, vcc
	v_add_u32_e32 v0, s4, v0
	v_cmp_le_i32_e32 vcc, s22, v0
	s_or_b64 s[0:1], vcc, s[0:1]
	s_waitcnt vmcnt(0)
	global_store_dword v[4:5], v1, off
	s_andn2_b64 exec, exec, s[0:1]
	s_cbranch_execnz .LBB0_12
.LBB0_13:
	s_endpgm
.LBB0_14:
                                        ; implicit-def: $sgpr10_sgpr11
	s_branch .LBB0_6
	.section	.rodata,"a",@progbits
	.p2align	6, 0x0
	.amdhsa_kernel _ZN4vllm38concat_and_cache_mla_rope_fused_kernelIffLb1EffLNS_18Fp8KVCacheDataTypeE0EEEvPKlPT_S5_PKS4_PKT0_illlliPT3_S3_iiiiPKf
		.amdhsa_group_segment_fixed_size 0
		.amdhsa_private_segment_fixed_size 0
		.amdhsa_kernarg_size 384
		.amdhsa_user_sgpr_count 6
		.amdhsa_user_sgpr_private_segment_buffer 1
		.amdhsa_user_sgpr_dispatch_ptr 0
		.amdhsa_user_sgpr_queue_ptr 0
		.amdhsa_user_sgpr_kernarg_segment_ptr 1
		.amdhsa_user_sgpr_dispatch_id 0
		.amdhsa_user_sgpr_flat_scratch_init 0
		.amdhsa_user_sgpr_kernarg_preload_length 0
		.amdhsa_user_sgpr_kernarg_preload_offset 0
		.amdhsa_user_sgpr_private_segment_size 0
		.amdhsa_uses_dynamic_stack 0
		.amdhsa_system_sgpr_private_segment_wavefront_offset 0
		.amdhsa_system_sgpr_workgroup_id_x 1
		.amdhsa_system_sgpr_workgroup_id_y 0
		.amdhsa_system_sgpr_workgroup_id_z 0
		.amdhsa_system_sgpr_workgroup_info 0
		.amdhsa_system_vgpr_workitem_id 0
		.amdhsa_next_free_vgpr 16
		.amdhsa_next_free_sgpr 47
		.amdhsa_accum_offset 16
		.amdhsa_reserve_vcc 1
		.amdhsa_reserve_flat_scratch 0
		.amdhsa_float_round_mode_32 0
		.amdhsa_float_round_mode_16_64 0
		.amdhsa_float_denorm_mode_32 3
		.amdhsa_float_denorm_mode_16_64 3
		.amdhsa_dx10_clamp 1
		.amdhsa_ieee_mode 1
		.amdhsa_fp16_overflow 0
		.amdhsa_tg_split 0
		.amdhsa_exception_fp_ieee_invalid_op 0
		.amdhsa_exception_fp_denorm_src 0
		.amdhsa_exception_fp_ieee_div_zero 0
		.amdhsa_exception_fp_ieee_overflow 0
		.amdhsa_exception_fp_ieee_underflow 0
		.amdhsa_exception_fp_ieee_inexact 0
		.amdhsa_exception_int_div_zero 0
	.end_amdhsa_kernel
	.section	.text._ZN4vllm38concat_and_cache_mla_rope_fused_kernelIffLb1EffLNS_18Fp8KVCacheDataTypeE0EEEvPKlPT_S5_PKS4_PKT0_illlliPT3_S3_iiiiPKf,"axG",@progbits,_ZN4vllm38concat_and_cache_mla_rope_fused_kernelIffLb1EffLNS_18Fp8KVCacheDataTypeE0EEEvPKlPT_S5_PKS4_PKT0_illlliPT3_S3_iiiiPKf,comdat
.Lfunc_end0:
	.size	_ZN4vllm38concat_and_cache_mla_rope_fused_kernelIffLb1EffLNS_18Fp8KVCacheDataTypeE0EEEvPKlPT_S5_PKS4_PKT0_illlliPT3_S3_iiiiPKf, .Lfunc_end0-_ZN4vllm38concat_and_cache_mla_rope_fused_kernelIffLb1EffLNS_18Fp8KVCacheDataTypeE0EEEvPKlPT_S5_PKS4_PKT0_illlliPT3_S3_iiiiPKf
                                        ; -- End function
	.section	.AMDGPU.csdata,"",@progbits
; Kernel info:
; codeLenInByte = 2036
; NumSgprs: 51
; NumVgprs: 16
; NumAgprs: 0
; TotalNumVgprs: 16
; ScratchSize: 0
; MemoryBound: 0
; FloatMode: 240
; IeeeMode: 1
; LDSByteSize: 0 bytes/workgroup (compile time only)
; SGPRBlocks: 6
; VGPRBlocks: 1
; NumSGPRsForWavesPerEU: 51
; NumVGPRsForWavesPerEU: 16
; AccumOffset: 16
; Occupancy: 8
; WaveLimiterHint : 1
; COMPUTE_PGM_RSRC2:SCRATCH_EN: 0
; COMPUTE_PGM_RSRC2:USER_SGPR: 6
; COMPUTE_PGM_RSRC2:TRAP_HANDLER: 0
; COMPUTE_PGM_RSRC2:TGID_X_EN: 1
; COMPUTE_PGM_RSRC2:TGID_Y_EN: 0
; COMPUTE_PGM_RSRC2:TGID_Z_EN: 0
; COMPUTE_PGM_RSRC2:TIDIG_COMP_CNT: 0
; COMPUTE_PGM_RSRC3_GFX90A:ACCUM_OFFSET: 3
; COMPUTE_PGM_RSRC3_GFX90A:TG_SPLIT: 0
	.section	.text._ZN4vllm38concat_and_cache_mla_rope_fused_kernelIffLb0EffLNS_18Fp8KVCacheDataTypeE0EEEvPKlPT_S5_PKS4_PKT0_illlliPT3_S3_iiiiPKf,"axG",@progbits,_ZN4vllm38concat_and_cache_mla_rope_fused_kernelIffLb0EffLNS_18Fp8KVCacheDataTypeE0EEEvPKlPT_S5_PKS4_PKT0_illlliPT3_S3_iiiiPKf,comdat
	.protected	_ZN4vllm38concat_and_cache_mla_rope_fused_kernelIffLb0EffLNS_18Fp8KVCacheDataTypeE0EEEvPKlPT_S5_PKS4_PKT0_illlliPT3_S3_iiiiPKf ; -- Begin function _ZN4vllm38concat_and_cache_mla_rope_fused_kernelIffLb0EffLNS_18Fp8KVCacheDataTypeE0EEEvPKlPT_S5_PKS4_PKT0_illlliPT3_S3_iiiiPKf
	.globl	_ZN4vllm38concat_and_cache_mla_rope_fused_kernelIffLb0EffLNS_18Fp8KVCacheDataTypeE0EEEvPKlPT_S5_PKS4_PKT0_illlliPT3_S3_iiiiPKf
	.p2align	8
	.type	_ZN4vllm38concat_and_cache_mla_rope_fused_kernelIffLb0EffLNS_18Fp8KVCacheDataTypeE0EEEvPKlPT_S5_PKS4_PKT0_illlliPT3_S3_iiiiPKf,@function
_ZN4vllm38concat_and_cache_mla_rope_fused_kernelIffLb0EffLNS_18Fp8KVCacheDataTypeE0EEEvPKlPT_S5_PKS4_PKT0_illlliPT3_S3_iiiiPKf: ; @_ZN4vllm38concat_and_cache_mla_rope_fused_kernelIffLb0EffLNS_18Fp8KVCacheDataTypeE0EEEvPKlPT_S5_PKS4_PKT0_illlliPT3_S3_iiiiPKf
; %bb.0:
	s_load_dwordx2 s[2:3], s[4:5], 0x60
	s_mov_b32 s7, 0
	s_lshl_b64 s[0:1], s[6:7], 3
	s_waitcnt lgkmcnt(0)
	s_add_u32 s2, s2, s0
	s_addc_u32 s3, s3, s1
	s_load_dwordx2 s[24:25], s[2:3], 0x0
	s_waitcnt lgkmcnt(0)
	v_cmp_lt_i64_e64 s[2:3], s[24:25], 0
	s_and_b64 vcc, exec, s[2:3]
	s_cbranch_vccnz .LBB1_13
; %bb.1:
	s_load_dword s7, s[4:5], 0x28
	s_load_dwordx2 s[2:3], s[4:5], 0x0
	s_load_dwordx4 s[16:19], s[4:5], 0x10
	s_waitcnt lgkmcnt(0)
	s_ashr_i32 s26, s7, 31
	s_add_u32 s0, s2, s0
	s_addc_u32 s1, s3, s1
	s_load_dwordx2 s[20:21], s[0:1], 0x0
	s_load_dwordx2 s[22:23], s[4:5], 0x20
	s_load_dwordx8 s[8:15], s[4:5], 0x30
	s_load_dwordx2 s[2:3], s[4:5], 0x58
	s_load_dword s28, s[4:5], 0x50
	s_waitcnt lgkmcnt(0)
	s_mul_i32 s0, s20, s26
	s_mul_hi_u32 s1, s20, s7
	s_mul_i32 s21, s21, s7
	s_add_i32 s0, s1, s0
	s_add_i32 s27, s0, s21
	s_lshr_b32 s0, s7, 31
	s_mul_i32 s26, s20, s7
	s_add_i32 s7, s7, s0
	s_ashr_i32 s20, s7, 1
	s_mul_i32 s7, s20, s28
	v_cmp_gt_i32_e32 vcc, s7, v0
	s_and_saveexec_b64 s[0:1], vcc
	s_cbranch_execz .LBB1_4
; %bb.2:
	s_lshl_b64 s[28:29], s[26:27], 2
	s_add_u32 s30, s22, s28
	s_addc_u32 s38, s23, s29
	s_load_dwordx2 s[28:29], s[4:5], 0x8
	s_load_dword s34, s[4:5], 0x8c
	s_mul_i32 s9, s6, s9
	s_mul_hi_u32 s31, s6, s8
	s_add_i32 s9, s31, s9
	s_mul_i32 s8, s6, s8
	s_ashr_i32 s21, s20, 31
	s_lshl_b64 s[8:9], s[8:9], 2
	s_waitcnt lgkmcnt(0)
	s_add_u32 s31, s28, s8
	s_addc_u32 s39, s29, s9
	s_abs_i32 s33, s20
	v_cvt_f32_u32_e32 v1, s33
	s_sub_i32 s8, 0, s33
	s_and_b32 s34, s34, 0xffff
	s_lshl_b64 s[28:29], s[20:21], 2
	v_rcp_iflag_f32_e32 v1, v1
	s_sub_i32 s35, 0, s20
	s_lshl_b32 s37, s34, 1
	v_mov_b32_e32 v3, s38
	v_mul_f32_e32 v1, 0x4f7ffffe, v1
	v_cvt_u32_f32_e32 v1, v1
	v_mov_b32_e32 v5, s29
	v_mov_b32_e32 v6, s39
	;; [unrolled: 1-line block ×3, first 2 shown]
	v_mul_lo_u32 v2, s8, v1
	v_mul_hi_u32 v2, v1, v2
	s_lshl_b32 s8, s20, 1
	v_add_u32_e32 v1, v1, v2
	s_sub_i32 s36, 0, s8
	v_lshlrev_b32_e32 v2, 1, v0
	s_mov_b64 s[8:9], 0
.LBB1_3:                                ; =>This Inner Loop Header: Depth=1
	v_sub_u32_e32 v8, 0, v4
	v_max_i32_e32 v8, v4, v8
	v_mul_hi_u32 v9, v8, v1
	v_mul_lo_u32 v10, v9, s33
	v_sub_u32_e32 v8, v8, v10
	v_add_u32_e32 v11, 1, v9
	v_cmp_le_u32_e32 vcc, s33, v8
	v_subrev_u32_e32 v10, s33, v8
	v_cndmask_b32_e32 v9, v9, v11, vcc
	v_cndmask_b32_e32 v8, v8, v10, vcc
	v_ashrrev_i32_e32 v7, 31, v4
	v_add_u32_e32 v10, 1, v9
	v_cmp_le_u32_e32 vcc, s33, v8
	v_xor_b32_e32 v7, s21, v7
	v_cndmask_b32_e32 v8, v9, v10, vcc
	v_xor_b32_e32 v8, v8, v7
	v_sub_u32_e32 v7, v8, v7
	v_mad_u64_u32 v[8:9], s[38:39], s35, v7, v[4:5]
	v_ashrrev_i32_e32 v9, 31, v8
	v_lshlrev_b64 v[8:9], 2, v[8:9]
	v_ashrrev_i32_e32 v14, 31, v7
	v_add_co_u32_e32 v8, vcc, s30, v8
	v_mul_lo_u32 v15, v7, s11
	v_mad_u64_u32 v[10:11], s[38:39], v7, s10, 0
	v_mad_u64_u32 v[12:13], s[38:39], s36, v7, v[2:3]
	v_mul_lo_u32 v7, v14, s10
	v_addc_co_u32_e32 v9, vcc, v3, v9, vcc
	v_add3_u32 v11, v11, v15, v7
	v_add_co_u32_e32 v14, vcc, s28, v8
	v_lshlrev_b64 v[10:11], 2, v[10:11]
	v_addc_co_u32_e32 v15, vcc, v9, v5, vcc
	v_ashrrev_i32_e32 v13, 31, v12
	v_add_co_u32_e32 v7, vcc, s31, v10
	v_lshlrev_b64 v[12:13], 2, v[12:13]
	v_addc_co_u32_e32 v10, vcc, v6, v11, vcc
	global_load_dword v16, v[8:9], off
	global_load_dword v17, v[14:15], off
	v_add_co_u32_e32 v8, vcc, v7, v12
	v_addc_co_u32_e32 v9, vcc, v10, v13, vcc
	global_load_dwordx2 v[10:11], v[8:9], off
	v_add_u32_e32 v4, s34, v4
	v_cmp_le_i32_e32 vcc, s7, v4
	v_add_u32_e32 v2, s37, v2
	s_or_b64 s[8:9], vcc, s[8:9]
	s_waitcnt vmcnt(0)
	v_mul_f32_e32 v7, v17, v11
	v_mul_f32_e32 v13, v16, v11
	v_fma_f32 v12, v16, v10, -v7
	v_fmac_f32_e32 v13, v17, v10
	global_store_dwordx2 v[8:9], v[12:13], off
	s_andn2_b64 exec, exec, s[8:9]
	s_cbranch_execnz .LBB1_3
.LBB1_4:
	s_or_b64 exec, exec, s[0:1]
	s_load_dwordx4 s[8:11], s[4:5], 0x68
	s_waitcnt lgkmcnt(0)
	s_ashr_i32 s29, s11, 31
	s_mov_b32 s28, s11
	s_or_b64 s[0:1], s[24:25], s[28:29]
	s_mov_b32 s0, 0
	s_cmp_lg_u64 s[0:1], 0
	s_cbranch_scc0 .LBB1_14
; %bb.5:
	s_add_u32 s0, s28, s29
	s_mov_b32 s34, s29
	s_mov_b32 s35, s29
	s_addc_u32 s1, s29, s29
	s_xor_b64 s[36:37], s[0:1], s[34:35]
	v_cvt_f32_u32_e32 v1, s36
	v_cvt_f32_u32_e32 v2, s37
	s_sub_u32 s0, 0, s36
	s_subb_u32 s1, 0, s37
	v_madmk_f32 v1, v2, 0x4f800000, v1
	v_rcp_f32_e32 v1, v1
	v_mul_f32_e32 v1, 0x5f7ffffc, v1
	v_mul_f32_e32 v2, 0x2f800000, v1
	v_trunc_f32_e32 v2, v2
	v_madmk_f32 v1, v2, 0xcf800000, v1
	v_cvt_u32_f32_e32 v2, v2
	v_cvt_u32_f32_e32 v1, v1
	v_readfirstlane_b32 s7, v2
	v_readfirstlane_b32 s11, v1
	s_mul_i32 s21, s0, s7
	s_mul_hi_u32 s38, s0, s11
	s_mul_i32 s33, s1, s11
	s_add_i32 s21, s38, s21
	s_add_i32 s21, s21, s33
	s_mul_i32 s39, s0, s11
	s_mul_hi_u32 s33, s11, s21
	s_mul_i32 s38, s11, s21
	s_mul_hi_u32 s11, s11, s39
	s_add_u32 s11, s11, s38
	s_addc_u32 s33, 0, s33
	s_mul_hi_u32 s40, s7, s39
	s_mul_i32 s39, s7, s39
	s_add_u32 s11, s11, s39
	s_mul_hi_u32 s38, s7, s21
	s_addc_u32 s11, s33, s40
	s_addc_u32 s33, s38, 0
	s_mul_i32 s21, s7, s21
	s_add_u32 s11, s11, s21
	s_addc_u32 s21, 0, s33
	v_add_co_u32_e32 v1, vcc, s11, v1
	s_cmp_lg_u64 vcc, 0
	s_addc_u32 s7, s7, s21
	v_readfirstlane_b32 s21, v1
	s_mul_i32 s11, s0, s7
	s_mul_hi_u32 s33, s0, s21
	s_add_i32 s11, s33, s11
	s_mul_i32 s1, s1, s21
	s_add_i32 s11, s11, s1
	s_mul_i32 s0, s0, s21
	s_mul_hi_u32 s33, s7, s0
	s_mul_i32 s38, s7, s0
	s_mul_i32 s40, s21, s11
	s_mul_hi_u32 s0, s21, s0
	s_mul_hi_u32 s39, s21, s11
	s_add_u32 s0, s0, s40
	s_addc_u32 s21, 0, s39
	s_add_u32 s0, s0, s38
	s_mul_hi_u32 s1, s7, s11
	s_addc_u32 s0, s21, s33
	s_addc_u32 s1, s1, 0
	s_mul_i32 s11, s7, s11
	s_add_u32 s0, s0, s11
	s_addc_u32 s1, 0, s1
	v_add_co_u32_e32 v1, vcc, s0, v1
	s_cmp_lg_u64 vcc, 0
	s_addc_u32 s7, s7, s1
	s_ashr_i32 s38, s25, 31
	s_add_u32 s0, s24, s38
	s_mov_b32 s39, s38
	s_addc_u32 s1, s25, s38
	s_xor_b64 s[40:41], s[0:1], s[38:39]
	v_readfirstlane_b32 s11, v1
	s_mul_i32 s1, s40, s7
	s_mul_hi_u32 s21, s40, s11
	s_mul_hi_u32 s0, s40, s7
	s_add_u32 s1, s21, s1
	s_addc_u32 s0, 0, s0
	s_mul_hi_u32 s33, s41, s11
	s_mul_i32 s11, s41, s11
	s_add_u32 s1, s1, s11
	s_mul_hi_u32 s21, s41, s7
	s_addc_u32 s0, s0, s33
	s_addc_u32 s1, s21, 0
	s_mul_i32 s7, s41, s7
	s_add_u32 s7, s0, s7
	s_addc_u32 s11, 0, s1
	s_mul_i32 s0, s36, s11
	s_mul_hi_u32 s1, s36, s7
	s_add_i32 s0, s1, s0
	s_mul_i32 s1, s37, s7
	s_add_i32 s21, s0, s1
	s_mul_i32 s1, s36, s7
	v_mov_b32_e32 v1, s1
	s_sub_i32 s0, s41, s21
	v_sub_co_u32_e32 v1, vcc, s40, v1
	s_cmp_lg_u64 vcc, 0
	s_subb_u32 s33, s0, s37
	v_subrev_co_u32_e64 v2, s[0:1], s36, v1
	s_cmp_lg_u64 s[0:1], 0
	s_subb_u32 s0, s33, 0
	s_cmp_ge_u32 s0, s37
	v_readfirstlane_b32 s33, v2
	s_cselect_b32 s1, -1, 0
	s_cmp_ge_u32 s33, s36
	s_cselect_b32 s33, -1, 0
	s_cmp_eq_u32 s0, s37
	s_cselect_b32 s0, s33, s1
	s_add_u32 s1, s7, 1
	s_addc_u32 s33, s11, 0
	s_add_u32 s40, s7, 2
	s_addc_u32 s42, s11, 0
	s_cmp_lg_u32 s0, 0
	s_cselect_b32 s0, s40, s1
	s_cselect_b32 s1, s42, s33
	s_cmp_lg_u64 vcc, 0
	s_subb_u32 s21, s41, s21
	s_cmp_ge_u32 s21, s37
	v_readfirstlane_b32 s40, v1
	s_cselect_b32 s33, -1, 0
	s_cmp_ge_u32 s40, s36
	s_cselect_b32 s36, -1, 0
	s_cmp_eq_u32 s21, s37
	s_cselect_b32 s21, s36, s33
	s_cmp_lg_u32 s21, 0
	s_cselect_b32 s1, s1, s11
	s_cselect_b32 s0, s0, s7
	s_xor_b64 s[34:35], s[38:39], s[34:35]
	s_xor_b64 s[0:1], s[0:1], s[34:35]
	s_sub_u32 s0, s0, s34
	s_subb_u32 s1, s1, s35
	s_cbranch_execnz .LBB1_7
.LBB1_6:
	v_cvt_f32_u32_e32 v1, s28
	s_sub_i32 s0, 0, s28
	s_mov_b32 s1, 0
	v_rcp_iflag_f32_e32 v1, v1
	v_mul_f32_e32 v1, 0x4f7ffffe, v1
	v_cvt_u32_f32_e32 v1, v1
	v_readfirstlane_b32 s7, v1
	s_mul_i32 s0, s0, s7
	s_mul_hi_u32 s0, s7, s0
	s_add_i32 s7, s7, s0
	s_mul_hi_u32 s0, s24, s7
	s_mul_i32 s11, s0, s28
	s_sub_i32 s11, s24, s11
	s_add_i32 s7, s0, 1
	s_sub_i32 s21, s11, s28
	s_cmp_ge_u32 s11, s28
	s_cselect_b32 s0, s7, s0
	s_cselect_b32 s11, s21, s11
	s_add_i32 s7, s0, 1
	s_cmp_ge_u32 s11, s28
	s_cselect_b32 s0, s7, s0
.LBB1_7:
	s_mul_i32 s7, s0, s29
	s_mul_hi_u32 s11, s0, s28
	s_add_i32 s7, s11, s7
	s_mul_i32 s11, s1, s28
	s_add_i32 s11, s7, s11
	s_mul_i32 s7, s0, s28
	s_sub_u32 s7, s24, s7
	s_subb_u32 s11, s25, s11
	v_cmp_gt_i32_e32 vcc, s20, v0
	s_mul_hi_u32 s34, s0, s8
	s_mul_i32 s35, s1, s8
	s_mul_i32 s28, s0, s8
	s_mul_hi_u32 s33, s7, s9
	s_mul_i32 s1, s11, s9
	s_mul_i32 s24, s7, s9
	s_and_saveexec_b64 s[30:31], vcc
	s_cbranch_execz .LBB1_10
; %bb.8:
	s_load_dword s25, s[4:5], 0x8c
	s_ashr_i32 s21, s20, 31
	s_ashr_i32 s29, s8, 31
	;; [unrolled: 1-line block ×4, first 2 shown]
	s_waitcnt lgkmcnt(0)
	s_and_b32 s36, s25, 0xffff
	s_lshl_b64 s[26:27], s[26:27], 2
	s_add_u32 s22, s22, s26
	v_lshlrev_b32_e32 v1, 2, v0
	s_addc_u32 s23, s23, s27
	v_mov_b32_e32 v3, s23
	v_add_co_u32_e32 v2, vcc, s22, v1
	s_lshl_b64 s[22:23], s[20:21], 2
	s_mul_i32 s13, s13, s6
	s_mul_hi_u32 s21, s12, s6
	s_add_i32 s13, s21, s13
	s_mul_i32 s12, s12, s6
	s_lshl_b32 s26, s36, 2
	s_lshl_b64 s[12:13], s[12:13], 2
	v_addc_co_u32_e32 v3, vcc, 0, v3, vcc
	v_lshlrev_b32_e32 v5, 3, v0
	s_add_u32 s12, s16, s12
	v_add_co_u32_e32 v1, vcc, s12, v5
	s_mul_i32 s12, s0, s29
	s_mul_i32 s16, s7, s37
	s_addc_u32 s13, s17, s13
	s_add_i32 s12, s34, s12
	s_add_i32 s16, s33, s16
	;; [unrolled: 1-line block ×4, first 2 shown]
	v_mov_b32_e32 v4, s13
	s_lshl_b32 s21, s36, 3
	s_lshl_b64 s[12:13], s[28:29], 2
	s_lshl_b64 s[16:17], s[24:25], 2
	s_add_u32 s16, s12, s16
	s_addc_u32 s17, s13, s17
	s_lshl_b64 s[12:13], s[10:11], 2
	s_add_u32 s11, s2, s12
	s_addc_u32 s12, s3, s13
	s_add_u32 s11, s11, s16
	v_addc_co_u32_e32 v4, vcc, 0, v4, vcc
	s_addc_u32 s12, s12, s17
	s_mov_b32 s38, 0
	v_mov_b32_e32 v6, s12
	v_add_co_u32_e32 v5, vcc, s11, v5
	v_addc_co_u32_e32 v6, vcc, 0, v6, vcc
	s_mov_b64 s[12:13], 0
	v_mov_b32_e32 v7, s23
	v_mov_b32_e32 v8, s38
	s_mov_b64 s[16:17], 0
	v_mov_b32_e32 v9, v0
.LBB1_9:                                ; =>This Inner Loop Header: Depth=1
	v_add_co_u32_e32 v10, vcc, s22, v2
	v_addc_co_u32_e32 v11, vcc, v3, v7, vcc
	v_mov_b32_e32 v17, s17
	v_add_co_u32_e32 v12, vcc, s16, v1
	global_load_dword v10, v[10:11], off
	v_addc_co_u32_e32 v13, vcc, v4, v17, vcc
	global_load_dwordx2 v[14:15], v[12:13], off
	global_load_dword v16, v[2:3], off
	v_add_co_u32_e32 v2, vcc, s26, v2
	v_addc_co_u32_e32 v3, vcc, v3, v8, vcc
	v_add_co_u32_e32 v18, vcc, s16, v5
	v_add_u32_e32 v9, s36, v9
	s_add_u32 s16, s16, s21
	v_addc_co_u32_e32 v19, vcc, v6, v17, vcc
	s_addc_u32 s17, s17, 0
	v_cmp_le_i32_e32 vcc, s20, v9
	s_or_b64 s[12:13], vcc, s[12:13]
	s_waitcnt vmcnt(1)
	v_pk_mul_f32 v[10:11], v[10:11], v[14:15] op_sel_hi:[0,1]
	s_waitcnt vmcnt(0)
	v_pk_fma_f32 v[20:21], v[16:17], v[14:15], v[10:11] op_sel:[0,0,1] op_sel_hi:[1,1,0] neg_lo:[0,0,1] neg_hi:[0,0,1]
	v_pk_fma_f32 v[10:11], v[16:17], v[14:15], v[10:11] op_sel:[0,0,1] op_sel_hi:[0,1,0]
	v_mov_b32_e32 v21, v11
	global_store_dwordx2 v[12:13], v[20:21], off
	global_store_dwordx2 v[18:19], v[20:21], off
	s_andn2_b64 exec, exec, s[12:13]
	s_cbranch_execnz .LBB1_9
.LBB1_10:
	s_or_b64 exec, exec, s[30:31]
	v_cmp_gt_i32_e32 vcc, s10, v0
	s_and_saveexec_b64 s[12:13], vcc
	s_cbranch_execz .LBB1_13
; %bb.11:
	s_mul_i32 s11, s6, s15
	s_mul_hi_u32 s12, s6, s14
	s_add_i32 s13, s12, s11
	s_mul_i32 s12, s6, s14
	s_lshl_b64 s[12:13], s[12:13], 2
	s_add_u32 s6, s18, s12
	s_addc_u32 s11, s19, s13
	s_ashr_i32 s8, s8, 31
	s_mul_i32 s0, s0, s8
	s_add_i32 s0, s34, s0
	s_add_i32 s29, s0, s35
	s_lshl_b64 s[12:13], s[28:29], 2
	s_add_u32 s2, s2, s12
	s_addc_u32 s3, s3, s13
	s_ashr_i32 s0, s9, 31
	s_mul_i32 s7, s7, s0
	s_add_i32 s0, s33, s7
	s_load_dword s4, s[4:5], 0x8c
	s_add_i32 s25, s0, s1
	s_lshl_b64 s[0:1], s[24:25], 2
	s_add_u32 s2, s2, s0
	s_addc_u32 s5, s3, s1
	s_waitcnt lgkmcnt(0)
	s_and_b32 s3, s4, 0xffff
	s_mov_b64 s[0:1], 0
	v_mov_b32_e32 v2, s11
	v_mov_b32_e32 v3, s5
.LBB1_12:                               ; =>This Inner Loop Header: Depth=1
	v_ashrrev_i32_e32 v1, 31, v0
	v_lshlrev_b64 v[4:5], 2, v[0:1]
	v_add_co_u32_e32 v6, vcc, s6, v4
	v_addc_co_u32_e32 v7, vcc, v2, v5, vcc
	global_load_dword v1, v[6:7], off
	v_add_co_u32_e32 v4, vcc, s2, v4
	v_addc_co_u32_e32 v5, vcc, v3, v5, vcc
	v_add_u32_e32 v0, s3, v0
	v_cmp_le_i32_e32 vcc, s10, v0
	s_or_b64 s[0:1], vcc, s[0:1]
	s_waitcnt vmcnt(0)
	global_store_dword v[4:5], v1, off
	s_andn2_b64 exec, exec, s[0:1]
	s_cbranch_execnz .LBB1_12
.LBB1_13:
	s_endpgm
.LBB1_14:
                                        ; implicit-def: $sgpr0_sgpr1
	s_branch .LBB1_6
	.section	.rodata,"a",@progbits
	.p2align	6, 0x0
	.amdhsa_kernel _ZN4vllm38concat_and_cache_mla_rope_fused_kernelIffLb0EffLNS_18Fp8KVCacheDataTypeE0EEEvPKlPT_S5_PKS4_PKT0_illlliPT3_S3_iiiiPKf
		.amdhsa_group_segment_fixed_size 0
		.amdhsa_private_segment_fixed_size 0
		.amdhsa_kernarg_size 384
		.amdhsa_user_sgpr_count 6
		.amdhsa_user_sgpr_private_segment_buffer 1
		.amdhsa_user_sgpr_dispatch_ptr 0
		.amdhsa_user_sgpr_queue_ptr 0
		.amdhsa_user_sgpr_kernarg_segment_ptr 1
		.amdhsa_user_sgpr_dispatch_id 0
		.amdhsa_user_sgpr_flat_scratch_init 0
		.amdhsa_user_sgpr_kernarg_preload_length 0
		.amdhsa_user_sgpr_kernarg_preload_offset 0
		.amdhsa_user_sgpr_private_segment_size 0
		.amdhsa_uses_dynamic_stack 0
		.amdhsa_system_sgpr_private_segment_wavefront_offset 0
		.amdhsa_system_sgpr_workgroup_id_x 1
		.amdhsa_system_sgpr_workgroup_id_y 0
		.amdhsa_system_sgpr_workgroup_id_z 0
		.amdhsa_system_sgpr_workgroup_info 0
		.amdhsa_system_vgpr_workitem_id 0
		.amdhsa_next_free_vgpr 22
		.amdhsa_next_free_sgpr 43
		.amdhsa_accum_offset 24
		.amdhsa_reserve_vcc 1
		.amdhsa_reserve_flat_scratch 0
		.amdhsa_float_round_mode_32 0
		.amdhsa_float_round_mode_16_64 0
		.amdhsa_float_denorm_mode_32 3
		.amdhsa_float_denorm_mode_16_64 3
		.amdhsa_dx10_clamp 1
		.amdhsa_ieee_mode 1
		.amdhsa_fp16_overflow 0
		.amdhsa_tg_split 0
		.amdhsa_exception_fp_ieee_invalid_op 0
		.amdhsa_exception_fp_denorm_src 0
		.amdhsa_exception_fp_ieee_div_zero 0
		.amdhsa_exception_fp_ieee_overflow 0
		.amdhsa_exception_fp_ieee_underflow 0
		.amdhsa_exception_fp_ieee_inexact 0
		.amdhsa_exception_int_div_zero 0
	.end_amdhsa_kernel
	.section	.text._ZN4vllm38concat_and_cache_mla_rope_fused_kernelIffLb0EffLNS_18Fp8KVCacheDataTypeE0EEEvPKlPT_S5_PKS4_PKT0_illlliPT3_S3_iiiiPKf,"axG",@progbits,_ZN4vllm38concat_and_cache_mla_rope_fused_kernelIffLb0EffLNS_18Fp8KVCacheDataTypeE0EEEvPKlPT_S5_PKS4_PKT0_illlliPT3_S3_iiiiPKf,comdat
.Lfunc_end1:
	.size	_ZN4vllm38concat_and_cache_mla_rope_fused_kernelIffLb0EffLNS_18Fp8KVCacheDataTypeE0EEEvPKlPT_S5_PKS4_PKT0_illlliPT3_S3_iiiiPKf, .Lfunc_end1-_ZN4vllm38concat_and_cache_mla_rope_fused_kernelIffLb0EffLNS_18Fp8KVCacheDataTypeE0EEEvPKlPT_S5_PKS4_PKT0_illlliPT3_S3_iiiiPKf
                                        ; -- End function
	.section	.AMDGPU.csdata,"",@progbits
; Kernel info:
; codeLenInByte = 1940
; NumSgprs: 47
; NumVgprs: 22
; NumAgprs: 0
; TotalNumVgprs: 22
; ScratchSize: 0
; MemoryBound: 0
; FloatMode: 240
; IeeeMode: 1
; LDSByteSize: 0 bytes/workgroup (compile time only)
; SGPRBlocks: 5
; VGPRBlocks: 2
; NumSGPRsForWavesPerEU: 47
; NumVGPRsForWavesPerEU: 22
; AccumOffset: 24
; Occupancy: 8
; WaveLimiterHint : 1
; COMPUTE_PGM_RSRC2:SCRATCH_EN: 0
; COMPUTE_PGM_RSRC2:USER_SGPR: 6
; COMPUTE_PGM_RSRC2:TRAP_HANDLER: 0
; COMPUTE_PGM_RSRC2:TGID_X_EN: 1
; COMPUTE_PGM_RSRC2:TGID_Y_EN: 0
; COMPUTE_PGM_RSRC2:TGID_Z_EN: 0
; COMPUTE_PGM_RSRC2:TIDIG_COMP_CNT: 0
; COMPUTE_PGM_RSRC3_GFX90A:ACCUM_OFFSET: 5
; COMPUTE_PGM_RSRC3_GFX90A:TG_SPLIT: 0
	.section	.text._ZN4vllm38concat_and_cache_mla_rope_fused_kernelIfN3c104HalfELb1EffLNS_18Fp8KVCacheDataTypeE0EEEvPKlPT_S7_PKS6_PKT0_illlliPT3_S5_iiiiPKf,"axG",@progbits,_ZN4vllm38concat_and_cache_mla_rope_fused_kernelIfN3c104HalfELb1EffLNS_18Fp8KVCacheDataTypeE0EEEvPKlPT_S7_PKS6_PKT0_illlliPT3_S5_iiiiPKf,comdat
	.protected	_ZN4vllm38concat_and_cache_mla_rope_fused_kernelIfN3c104HalfELb1EffLNS_18Fp8KVCacheDataTypeE0EEEvPKlPT_S7_PKS6_PKT0_illlliPT3_S5_iiiiPKf ; -- Begin function _ZN4vllm38concat_and_cache_mla_rope_fused_kernelIfN3c104HalfELb1EffLNS_18Fp8KVCacheDataTypeE0EEEvPKlPT_S7_PKS6_PKT0_illlliPT3_S5_iiiiPKf
	.globl	_ZN4vllm38concat_and_cache_mla_rope_fused_kernelIfN3c104HalfELb1EffLNS_18Fp8KVCacheDataTypeE0EEEvPKlPT_S7_PKS6_PKT0_illlliPT3_S5_iiiiPKf
	.p2align	8
	.type	_ZN4vllm38concat_and_cache_mla_rope_fused_kernelIfN3c104HalfELb1EffLNS_18Fp8KVCacheDataTypeE0EEEvPKlPT_S7_PKS6_PKT0_illlliPT3_S5_iiiiPKf,@function
_ZN4vllm38concat_and_cache_mla_rope_fused_kernelIfN3c104HalfELb1EffLNS_18Fp8KVCacheDataTypeE0EEEvPKlPT_S7_PKS6_PKT0_illlliPT3_S5_iiiiPKf: ; @_ZN4vllm38concat_and_cache_mla_rope_fused_kernelIfN3c104HalfELb1EffLNS_18Fp8KVCacheDataTypeE0EEEvPKlPT_S7_PKS6_PKT0_illlliPT3_S5_iiiiPKf
; %bb.0:
	s_load_dwordx2 s[2:3], s[4:5], 0x60
	s_mov_b32 s7, 0
	s_lshl_b64 s[0:1], s[6:7], 3
	s_waitcnt lgkmcnt(0)
	s_add_u32 s2, s2, s0
	s_addc_u32 s3, s3, s1
	s_load_dwordx2 s[26:27], s[2:3], 0x0
	s_waitcnt lgkmcnt(0)
	v_cmp_lt_i64_e64 s[2:3], s[26:27], 0
	s_and_b64 vcc, exec, s[2:3]
	s_cbranch_vccnz .LBB2_13
; %bb.1:
	s_load_dword s7, s[4:5], 0x28
	s_load_dwordx2 s[2:3], s[4:5], 0x0
	s_load_dwordx4 s[16:19], s[4:5], 0x10
	s_waitcnt lgkmcnt(0)
	s_ashr_i32 s24, s7, 31
	s_add_u32 s0, s2, s0
	s_addc_u32 s1, s3, s1
	s_load_dwordx2 s[20:21], s[0:1], 0x0
	s_load_dwordx2 s[22:23], s[4:5], 0x20
	s_load_dwordx8 s[8:15], s[4:5], 0x30
	s_load_dwordx2 s[2:3], s[4:5], 0x58
	s_load_dword s28, s[4:5], 0x50
	s_waitcnt lgkmcnt(0)
	s_mul_i32 s0, s20, s24
	s_mul_hi_u32 s1, s20, s7
	s_mul_i32 s21, s21, s7
	s_add_i32 s0, s1, s0
	s_add_i32 s25, s0, s21
	s_lshr_b32 s0, s7, 31
	s_mul_i32 s24, s20, s7
	s_add_i32 s7, s7, s0
	s_ashr_i32 s20, s7, 1
	s_mul_i32 s7, s20, s28
	v_cmp_gt_i32_e32 vcc, s7, v0
	s_and_saveexec_b64 s[0:1], vcc
	s_cbranch_execz .LBB2_4
; %bb.2:
	s_lshl_b64 s[28:29], s[24:25], 1
	s_add_u32 s33, s22, s28
	s_addc_u32 s30, s23, s29
	s_load_dwordx2 s[28:29], s[4:5], 0x8
	s_mul_i32 s9, s6, s9
	s_mul_hi_u32 s31, s6, s8
	s_add_i32 s9, s31, s9
	s_load_dword s31, s[4:5], 0x8c
	s_mul_i32 s8, s6, s8
	s_ashr_i32 s21, s20, 31
	s_lshl_b64 s[8:9], s[8:9], 2
	s_waitcnt lgkmcnt(0)
	s_add_u32 s34, s28, s8
	s_addc_u32 s38, s29, s9
	s_abs_i32 s35, s20
	v_cvt_f32_u32_e32 v1, s35
	s_sub_i32 s8, 0, s35
	s_and_b32 s36, s31, 0xffff
	v_mov_b32_e32 v3, s30
	v_rcp_iflag_f32_e32 v1, v1
	s_lshl_b64 s[28:29], s[20:21], 1
	s_lshl_b64 s[30:31], s[20:21], 2
	s_sub_i32 s37, 0, s20
	v_mul_f32_e32 v1, 0x4f7ffffe, v1
	v_cvt_u32_f32_e32 v1, v1
	v_mov_b32_e32 v4, s29
	v_mov_b32_e32 v5, s38
	;; [unrolled: 1-line block ×3, first 2 shown]
	v_mul_lo_u32 v2, s8, v1
	v_mul_hi_u32 v2, v1, v2
	v_add_u32_e32 v1, v1, v2
	s_mov_b64 s[8:9], 0
	v_mov_b32_e32 v2, v0
.LBB2_3:                                ; =>This Inner Loop Header: Depth=1
	v_sub_u32_e32 v8, 0, v2
	v_max_i32_e32 v8, v2, v8
	v_mul_hi_u32 v9, v8, v1
	v_mul_lo_u32 v10, v9, s35
	v_sub_u32_e32 v8, v8, v10
	v_add_u32_e32 v11, 1, v9
	v_cmp_le_u32_e32 vcc, s35, v8
	v_subrev_u32_e32 v10, s35, v8
	v_cndmask_b32_e32 v9, v9, v11, vcc
	v_cndmask_b32_e32 v8, v8, v10, vcc
	v_ashrrev_i32_e32 v7, 31, v2
	v_add_u32_e32 v10, 1, v9
	v_cmp_le_u32_e32 vcc, s35, v8
	v_xor_b32_e32 v7, s21, v7
	v_cndmask_b32_e32 v8, v9, v10, vcc
	v_xor_b32_e32 v8, v8, v7
	v_sub_u32_e32 v7, v8, v7
	v_mad_u64_u32 v[8:9], s[38:39], s37, v7, v[2:3]
	v_ashrrev_i32_e32 v12, 31, v7
	v_ashrrev_i32_e32 v9, 31, v8
	v_mul_lo_u32 v14, v7, s11
	v_mad_u64_u32 v[10:11], s[38:39], v7, s10, 0
	v_mul_lo_u32 v7, v12, s10
	v_lshlrev_b64 v[12:13], 1, v[8:9]
	v_add_co_u32_e32 v12, vcc, s33, v12
	v_addc_co_u32_e32 v13, vcc, v3, v13, vcc
	v_add3_u32 v11, v11, v14, v7
	v_add_co_u32_e32 v14, vcc, s28, v12
	v_lshlrev_b64 v[10:11], 2, v[10:11]
	v_addc_co_u32_e32 v15, vcc, v13, v4, vcc
	v_add_co_u32_e32 v7, vcc, s34, v10
	v_lshlrev_b64 v[8:9], 2, v[8:9]
	v_addc_co_u32_e32 v10, vcc, v5, v11, vcc
	global_load_ushort v16, v[12:13], off
	global_load_ushort v17, v[14:15], off
	v_add_co_u32_e32 v8, vcc, v7, v8
	v_addc_co_u32_e32 v9, vcc, v10, v9, vcc
	v_add_co_u32_e32 v10, vcc, s30, v8
	v_addc_co_u32_e32 v11, vcc, v9, v6, vcc
	global_load_dword v7, v[8:9], off
	global_load_dword v12, v[10:11], off
	v_add_u32_e32 v2, s36, v2
	v_cmp_le_i32_e32 vcc, s7, v2
	s_or_b64 s[8:9], vcc, s[8:9]
	s_waitcnt vmcnt(3)
	v_cvt_f32_f16_e32 v13, v16
	s_waitcnt vmcnt(2)
	v_cvt_f32_f16_e32 v14, v17
	s_waitcnt vmcnt(0)
	v_mul_f32_e32 v13, v12, v13
	v_mul_f32_e32 v12, v12, v14
	v_fma_mix_f32 v13, v7, v17, v13 op_sel_hi:[0,1,0]
	v_fma_mix_f32 v7, v7, v16, -v12 op_sel_hi:[0,1,0]
	global_store_dword v[8:9], v7, off
	global_store_dword v[10:11], v13, off
	s_andn2_b64 exec, exec, s[8:9]
	s_cbranch_execnz .LBB2_3
.LBB2_4:
	s_or_b64 exec, exec, s[0:1]
	s_load_dwordx4 s[8:11], s[4:5], 0x68
	s_waitcnt lgkmcnt(0)
	s_ashr_i32 s31, s11, 31
	s_mov_b32 s30, s11
	s_or_b64 s[0:1], s[26:27], s[30:31]
	s_mov_b32 s0, 0
	s_cmp_lg_u64 s[0:1], 0
	s_cbranch_scc0 .LBB2_14
; %bb.5:
	s_add_u32 s0, s30, s31
	s_mov_b32 s28, s31
	s_mov_b32 s29, s31
	s_addc_u32 s1, s31, s31
	s_xor_b64 s[36:37], s[0:1], s[28:29]
	v_cvt_f32_u32_e32 v1, s36
	v_cvt_f32_u32_e32 v2, s37
	s_sub_u32 s0, 0, s36
	s_subb_u32 s1, 0, s37
	v_madmk_f32 v1, v2, 0x4f800000, v1
	v_rcp_f32_e32 v1, v1
	v_mul_f32_e32 v1, 0x5f7ffffc, v1
	v_mul_f32_e32 v2, 0x2f800000, v1
	v_trunc_f32_e32 v2, v2
	v_madmk_f32 v1, v2, 0xcf800000, v1
	v_cvt_u32_f32_e32 v2, v2
	v_cvt_u32_f32_e32 v1, v1
	v_readfirstlane_b32 s7, v2
	v_readfirstlane_b32 s11, v1
	s_mul_i32 s21, s0, s7
	s_mul_hi_u32 s38, s0, s11
	s_mul_i32 s33, s1, s11
	s_add_i32 s21, s38, s21
	s_add_i32 s21, s21, s33
	s_mul_i32 s39, s0, s11
	s_mul_hi_u32 s33, s11, s21
	s_mul_i32 s38, s11, s21
	s_mul_hi_u32 s11, s11, s39
	s_add_u32 s11, s11, s38
	s_addc_u32 s33, 0, s33
	s_mul_hi_u32 s40, s7, s39
	s_mul_i32 s39, s7, s39
	s_add_u32 s11, s11, s39
	s_mul_hi_u32 s38, s7, s21
	s_addc_u32 s11, s33, s40
	s_addc_u32 s33, s38, 0
	s_mul_i32 s21, s7, s21
	s_add_u32 s11, s11, s21
	s_addc_u32 s21, 0, s33
	v_add_co_u32_e32 v1, vcc, s11, v1
	s_cmp_lg_u64 vcc, 0
	s_addc_u32 s7, s7, s21
	v_readfirstlane_b32 s21, v1
	s_mul_i32 s11, s0, s7
	s_mul_hi_u32 s33, s0, s21
	s_add_i32 s11, s33, s11
	s_mul_i32 s1, s1, s21
	s_add_i32 s11, s11, s1
	s_mul_i32 s0, s0, s21
	s_mul_hi_u32 s33, s7, s0
	s_mul_i32 s38, s7, s0
	s_mul_i32 s40, s21, s11
	s_mul_hi_u32 s0, s21, s0
	s_mul_hi_u32 s39, s21, s11
	s_add_u32 s0, s0, s40
	s_addc_u32 s21, 0, s39
	s_add_u32 s0, s0, s38
	s_mul_hi_u32 s1, s7, s11
	s_addc_u32 s0, s21, s33
	s_addc_u32 s1, s1, 0
	s_mul_i32 s11, s7, s11
	s_add_u32 s0, s0, s11
	s_addc_u32 s1, 0, s1
	v_add_co_u32_e32 v1, vcc, s0, v1
	s_cmp_lg_u64 vcc, 0
	s_addc_u32 s7, s7, s1
	s_ashr_i32 s38, s27, 31
	s_add_u32 s0, s26, s38
	s_mov_b32 s39, s38
	s_addc_u32 s1, s27, s38
	s_xor_b64 s[40:41], s[0:1], s[38:39]
	v_readfirstlane_b32 s11, v1
	s_mul_i32 s1, s40, s7
	s_mul_hi_u32 s21, s40, s11
	s_mul_hi_u32 s0, s40, s7
	s_add_u32 s1, s21, s1
	s_addc_u32 s0, 0, s0
	s_mul_hi_u32 s33, s41, s11
	s_mul_i32 s11, s41, s11
	s_add_u32 s1, s1, s11
	s_mul_hi_u32 s21, s41, s7
	s_addc_u32 s0, s0, s33
	s_addc_u32 s1, s21, 0
	s_mul_i32 s7, s41, s7
	s_add_u32 s7, s0, s7
	s_addc_u32 s11, 0, s1
	s_mul_i32 s0, s36, s11
	s_mul_hi_u32 s1, s36, s7
	s_add_i32 s0, s1, s0
	s_mul_i32 s1, s37, s7
	s_add_i32 s21, s0, s1
	s_mul_i32 s1, s36, s7
	v_mov_b32_e32 v1, s1
	s_sub_i32 s0, s41, s21
	v_sub_co_u32_e32 v1, vcc, s40, v1
	s_cmp_lg_u64 vcc, 0
	s_subb_u32 s33, s0, s37
	v_subrev_co_u32_e64 v2, s[0:1], s36, v1
	s_cmp_lg_u64 s[0:1], 0
	s_subb_u32 s0, s33, 0
	s_cmp_ge_u32 s0, s37
	v_readfirstlane_b32 s33, v2
	s_cselect_b32 s1, -1, 0
	s_cmp_ge_u32 s33, s36
	s_cselect_b32 s33, -1, 0
	s_cmp_eq_u32 s0, s37
	s_cselect_b32 s0, s33, s1
	s_add_u32 s1, s7, 1
	s_addc_u32 s33, s11, 0
	s_add_u32 s40, s7, 2
	s_addc_u32 s42, s11, 0
	s_cmp_lg_u32 s0, 0
	s_cselect_b32 s0, s40, s1
	s_cselect_b32 s1, s42, s33
	s_cmp_lg_u64 vcc, 0
	s_subb_u32 s21, s41, s21
	s_cmp_ge_u32 s21, s37
	v_readfirstlane_b32 s40, v1
	s_cselect_b32 s33, -1, 0
	s_cmp_ge_u32 s40, s36
	s_cselect_b32 s36, -1, 0
	s_cmp_eq_u32 s21, s37
	s_cselect_b32 s21, s36, s33
	s_cmp_lg_u32 s21, 0
	s_cselect_b32 s1, s1, s11
	s_cselect_b32 s0, s0, s7
	s_xor_b64 s[28:29], s[38:39], s[28:29]
	s_xor_b64 s[0:1], s[0:1], s[28:29]
	s_sub_u32 s28, s0, s28
	s_subb_u32 s29, s1, s29
	s_cbranch_execnz .LBB2_7
.LBB2_6:
	v_cvt_f32_u32_e32 v1, s30
	s_sub_i32 s0, 0, s30
	s_mov_b32 s29, 0
	v_rcp_iflag_f32_e32 v1, v1
	v_mul_f32_e32 v1, 0x4f7ffffe, v1
	v_cvt_u32_f32_e32 v1, v1
	v_readfirstlane_b32 s1, v1
	s_mul_i32 s0, s0, s1
	s_mul_hi_u32 s0, s1, s0
	s_add_i32 s1, s1, s0
	s_mul_hi_u32 s0, s26, s1
	s_mul_i32 s7, s0, s30
	s_sub_i32 s7, s26, s7
	s_add_i32 s1, s0, 1
	s_sub_i32 s11, s7, s30
	s_cmp_ge_u32 s7, s30
	s_cselect_b32 s0, s1, s0
	s_cselect_b32 s7, s11, s7
	s_add_i32 s1, s0, 1
	s_cmp_ge_u32 s7, s30
	s_cselect_b32 s28, s1, s0
.LBB2_7:
	s_mul_i32 s0, s28, s31
	s_mul_hi_u32 s1, s28, s30
	s_add_i32 s0, s1, s0
	s_mul_i32 s1, s29, s30
	s_add_i32 s0, s0, s1
	s_mul_i32 s1, s28, s30
	s_sub_u32 s33, s26, s1
	s_subb_u32 s7, s27, s0
	v_cmp_gt_i32_e32 vcc, s20, v0
	s_mul_hi_u32 s36, s28, s8
	s_mul_i32 s37, s29, s8
	s_mul_i32 s30, s28, s8
	s_mul_hi_u32 s29, s33, s9
	s_mul_i32 s7, s7, s9
	s_mul_i32 s26, s33, s9
	s_and_saveexec_b64 s[34:35], vcc
	s_cbranch_execz .LBB2_10
; %bb.8:
	s_mul_i32 s0, s6, s13
	s_mul_hi_u32 s1, s6, s12
	s_add_i32 s1, s1, s0
	s_mul_i32 s0, s6, s12
	s_ashr_i32 s21, s20, 31
	s_lshl_b64 s[0:1], s[0:1], 2
	s_add_u32 s38, s16, s0
	s_addc_u32 s39, s17, s1
	s_ashr_i32 s11, s8, 31
	s_mul_i32 s11, s28, s11
	s_add_i32 s11, s36, s11
	s_add_i32 s31, s11, s37
	s_ashr_i32 s11, s9, 31
	s_mul_i32 s11, s33, s11
	s_add_i32 s11, s29, s11
	s_add_i32 s27, s11, s7
	s_lshl_b64 s[12:13], s[30:31], 2
	s_lshl_b64 s[40:41], s[26:27], 2
	s_add_u32 s44, s12, s40
	s_addc_u32 s45, s13, s41
	s_load_dword s31, s[4:5], 0x8c
	s_add_u32 s12, s44, s2
	s_addc_u32 s13, s45, s3
	s_ashr_i32 s11, s10, 31
	s_lshl_b64 s[40:41], s[10:11], 2
	s_add_u32 s11, s12, s40
	s_addc_u32 s27, s13, s41
	s_waitcnt lgkmcnt(0)
	s_and_b32 s31, s31, 0xffff
	s_lshl_b64 s[12:13], s[24:25], 1
	s_add_u32 s12, s22, s12
	v_lshlrev_b32_e32 v1, 1, v0
	s_addc_u32 s13, s23, s13
	v_mov_b32_e32 v3, s13
	v_add_co_u32_e32 v2, vcc, s12, v1
	s_lshl_b32 s22, s31, 1
	s_lshl_b64 s[12:13], s[20:21], 1
	s_lshl_b64 s[42:43], s[20:21], 2
	s_add_u32 s0, s0, s42
	s_addc_u32 s1, s1, s43
	s_add_u32 s21, s16, s0
	s_addc_u32 s23, s17, s1
	s_lshl_b32 s24, s31, 2
	s_add_u32 s0, s44, s42
	s_addc_u32 s1, s45, s43
	s_add_u32 s0, s0, s40
	s_addc_u32 s1, s1, s41
	s_mov_b32 s46, 0
	s_add_u32 s25, s2, s0
	v_addc_co_u32_e32 v3, vcc, 0, v3, vcc
	v_lshlrev_b32_e32 v4, 2, v0
	s_addc_u32 s40, s3, s1
	s_mov_b64 s[16:17], 0
	v_mov_b32_e32 v1, s13
	v_mov_b32_e32 v5, s46
	;; [unrolled: 1-line block ×3, first 2 shown]
.LBB2_9:                                ; =>This Inner Loop Header: Depth=1
	v_add_co_u32_e32 v8, vcc, s12, v2
	v_addc_co_u32_e32 v9, vcc, v3, v1, vcc
	global_load_ushort v7, v[2:3], off
	global_load_ushort v16, v[8:9], off
	v_mov_b32_e32 v11, s39
	v_mov_b32_e32 v14, s23
	v_add_co_u32_e32 v10, vcc, s21, v4
	v_add_co_u32_e64 v12, s[0:1], s38, v4
	v_addc_co_u32_e64 v13, s[0:1], 0, v11, s[0:1]
	v_addc_co_u32_e32 v11, vcc, 0, v14, vcc
	global_load_dword v17, v[10:11], off
	global_load_dword v18, v[12:13], off
	v_add_co_u32_e64 v2, s[0:1], s22, v2
	s_add_u32 s21, s21, s24
	v_addc_co_u32_e64 v3, s[0:1], v3, v5, s[0:1]
	s_addc_u32 s23, s23, 0
	v_mov_b32_e32 v9, s27
	v_mov_b32_e32 v19, s40
	v_add_co_u32_e32 v8, vcc, s25, v4
	v_add_co_u32_e64 v14, s[0:1], s11, v4
	s_add_u32 s38, s38, s24
	v_addc_co_u32_e64 v15, s[0:1], 0, v9, s[0:1]
	v_addc_co_u32_e32 v9, vcc, 0, v19, vcc
	s_addc_u32 s39, s39, 0
	s_add_u32 s25, s25, s24
	s_addc_u32 s40, s40, 0
	v_add_u32_e32 v6, s31, v6
	s_add_u32 s11, s11, s24
	v_cmp_le_i32_e32 vcc, s20, v6
	s_addc_u32 s27, s27, 0
	s_or_b64 s[16:17], vcc, s[16:17]
	s_waitcnt vmcnt(3)
	v_cvt_f32_f16_e32 v19, v7
	s_waitcnt vmcnt(2)
	v_cvt_f32_f16_e32 v20, v16
	s_waitcnt vmcnt(1)
	v_mul_f32_e32 v19, v17, v19
	v_mul_f32_e32 v17, v17, v20
	s_waitcnt vmcnt(0)
	v_fma_mix_f32 v7, v18, v7, -v17 op_sel_hi:[0,1,0]
	v_fma_mix_f32 v16, v18, v16, v19 op_sel_hi:[0,1,0]
	global_store_dword v[12:13], v7, off
	global_store_dword v[10:11], v16, off
	;; [unrolled: 1-line block ×4, first 2 shown]
	s_andn2_b64 exec, exec, s[16:17]
	s_cbranch_execnz .LBB2_9
.LBB2_10:
	s_or_b64 exec, exec, s[34:35]
	v_cmp_gt_i32_e32 vcc, s10, v0
	s_and_saveexec_b64 s[0:1], vcc
	s_cbranch_execz .LBB2_13
; %bb.11:
	s_mul_i32 s0, s6, s15
	s_mul_hi_u32 s1, s6, s14
	s_add_i32 s1, s1, s0
	s_mul_i32 s0, s6, s14
	s_lshl_b64 s[0:1], s[0:1], 2
	s_add_u32 s6, s18, s0
	s_addc_u32 s11, s19, s1
	s_ashr_i32 s0, s8, 31
	s_mul_i32 s0, s28, s0
	s_add_i32 s0, s36, s0
	s_add_i32 s31, s0, s37
	s_lshl_b64 s[0:1], s[30:31], 2
	s_add_u32 s2, s2, s0
	s_addc_u32 s3, s3, s1
	s_ashr_i32 s0, s9, 31
	s_mul_i32 s33, s33, s0
	s_add_i32 s0, s29, s33
	s_load_dword s4, s[4:5], 0x8c
	s_add_i32 s27, s0, s7
	s_lshl_b64 s[0:1], s[26:27], 2
	s_add_u32 s2, s2, s0
	s_addc_u32 s5, s3, s1
	s_waitcnt lgkmcnt(0)
	s_and_b32 s3, s4, 0xffff
	s_mov_b64 s[0:1], 0
	v_mov_b32_e32 v2, s11
	v_mov_b32_e32 v3, s5
.LBB2_12:                               ; =>This Inner Loop Header: Depth=1
	v_ashrrev_i32_e32 v1, 31, v0
	v_lshlrev_b64 v[4:5], 2, v[0:1]
	v_add_co_u32_e32 v6, vcc, s6, v4
	v_addc_co_u32_e32 v7, vcc, v2, v5, vcc
	global_load_dword v1, v[6:7], off
	v_add_co_u32_e32 v4, vcc, s2, v4
	v_addc_co_u32_e32 v5, vcc, v3, v5, vcc
	v_add_u32_e32 v0, s3, v0
	v_cmp_le_i32_e32 vcc, s10, v0
	s_or_b64 s[0:1], vcc, s[0:1]
	s_waitcnt vmcnt(0)
	global_store_dword v[4:5], v1, off
	s_andn2_b64 exec, exec, s[0:1]
	s_cbranch_execnz .LBB2_12
.LBB2_13:
	s_endpgm
.LBB2_14:
                                        ; implicit-def: $sgpr28_sgpr29
	s_branch .LBB2_6
	.section	.rodata,"a",@progbits
	.p2align	6, 0x0
	.amdhsa_kernel _ZN4vllm38concat_and_cache_mla_rope_fused_kernelIfN3c104HalfELb1EffLNS_18Fp8KVCacheDataTypeE0EEEvPKlPT_S7_PKS6_PKT0_illlliPT3_S5_iiiiPKf
		.amdhsa_group_segment_fixed_size 0
		.amdhsa_private_segment_fixed_size 0
		.amdhsa_kernarg_size 384
		.amdhsa_user_sgpr_count 6
		.amdhsa_user_sgpr_private_segment_buffer 1
		.amdhsa_user_sgpr_dispatch_ptr 0
		.amdhsa_user_sgpr_queue_ptr 0
		.amdhsa_user_sgpr_kernarg_segment_ptr 1
		.amdhsa_user_sgpr_dispatch_id 0
		.amdhsa_user_sgpr_flat_scratch_init 0
		.amdhsa_user_sgpr_kernarg_preload_length 0
		.amdhsa_user_sgpr_kernarg_preload_offset 0
		.amdhsa_user_sgpr_private_segment_size 0
		.amdhsa_uses_dynamic_stack 0
		.amdhsa_system_sgpr_private_segment_wavefront_offset 0
		.amdhsa_system_sgpr_workgroup_id_x 1
		.amdhsa_system_sgpr_workgroup_id_y 0
		.amdhsa_system_sgpr_workgroup_id_z 0
		.amdhsa_system_sgpr_workgroup_info 0
		.amdhsa_system_vgpr_workitem_id 0
		.amdhsa_next_free_vgpr 21
		.amdhsa_next_free_sgpr 47
		.amdhsa_accum_offset 24
		.amdhsa_reserve_vcc 1
		.amdhsa_reserve_flat_scratch 0
		.amdhsa_float_round_mode_32 0
		.amdhsa_float_round_mode_16_64 0
		.amdhsa_float_denorm_mode_32 3
		.amdhsa_float_denorm_mode_16_64 3
		.amdhsa_dx10_clamp 1
		.amdhsa_ieee_mode 1
		.amdhsa_fp16_overflow 0
		.amdhsa_tg_split 0
		.amdhsa_exception_fp_ieee_invalid_op 0
		.amdhsa_exception_fp_denorm_src 0
		.amdhsa_exception_fp_ieee_div_zero 0
		.amdhsa_exception_fp_ieee_overflow 0
		.amdhsa_exception_fp_ieee_underflow 0
		.amdhsa_exception_fp_ieee_inexact 0
		.amdhsa_exception_int_div_zero 0
	.end_amdhsa_kernel
	.section	.text._ZN4vllm38concat_and_cache_mla_rope_fused_kernelIfN3c104HalfELb1EffLNS_18Fp8KVCacheDataTypeE0EEEvPKlPT_S7_PKS6_PKT0_illlliPT3_S5_iiiiPKf,"axG",@progbits,_ZN4vllm38concat_and_cache_mla_rope_fused_kernelIfN3c104HalfELb1EffLNS_18Fp8KVCacheDataTypeE0EEEvPKlPT_S7_PKS6_PKT0_illlliPT3_S5_iiiiPKf,comdat
.Lfunc_end2:
	.size	_ZN4vllm38concat_and_cache_mla_rope_fused_kernelIfN3c104HalfELb1EffLNS_18Fp8KVCacheDataTypeE0EEEvPKlPT_S7_PKS6_PKT0_illlliPT3_S5_iiiiPKf, .Lfunc_end2-_ZN4vllm38concat_and_cache_mla_rope_fused_kernelIfN3c104HalfELb1EffLNS_18Fp8KVCacheDataTypeE0EEEvPKlPT_S7_PKS6_PKT0_illlliPT3_S5_iiiiPKf
                                        ; -- End function
	.section	.AMDGPU.csdata,"",@progbits
; Kernel info:
; codeLenInByte = 2088
; NumSgprs: 51
; NumVgprs: 21
; NumAgprs: 0
; TotalNumVgprs: 21
; ScratchSize: 0
; MemoryBound: 0
; FloatMode: 240
; IeeeMode: 1
; LDSByteSize: 0 bytes/workgroup (compile time only)
; SGPRBlocks: 6
; VGPRBlocks: 2
; NumSGPRsForWavesPerEU: 51
; NumVGPRsForWavesPerEU: 21
; AccumOffset: 24
; Occupancy: 8
; WaveLimiterHint : 1
; COMPUTE_PGM_RSRC2:SCRATCH_EN: 0
; COMPUTE_PGM_RSRC2:USER_SGPR: 6
; COMPUTE_PGM_RSRC2:TRAP_HANDLER: 0
; COMPUTE_PGM_RSRC2:TGID_X_EN: 1
; COMPUTE_PGM_RSRC2:TGID_Y_EN: 0
; COMPUTE_PGM_RSRC2:TGID_Z_EN: 0
; COMPUTE_PGM_RSRC2:TIDIG_COMP_CNT: 0
; COMPUTE_PGM_RSRC3_GFX90A:ACCUM_OFFSET: 5
; COMPUTE_PGM_RSRC3_GFX90A:TG_SPLIT: 0
	.section	.text._ZN4vllm38concat_and_cache_mla_rope_fused_kernelIfN3c104HalfELb0EffLNS_18Fp8KVCacheDataTypeE0EEEvPKlPT_S7_PKS6_PKT0_illlliPT3_S5_iiiiPKf,"axG",@progbits,_ZN4vllm38concat_and_cache_mla_rope_fused_kernelIfN3c104HalfELb0EffLNS_18Fp8KVCacheDataTypeE0EEEvPKlPT_S7_PKS6_PKT0_illlliPT3_S5_iiiiPKf,comdat
	.protected	_ZN4vllm38concat_and_cache_mla_rope_fused_kernelIfN3c104HalfELb0EffLNS_18Fp8KVCacheDataTypeE0EEEvPKlPT_S7_PKS6_PKT0_illlliPT3_S5_iiiiPKf ; -- Begin function _ZN4vllm38concat_and_cache_mla_rope_fused_kernelIfN3c104HalfELb0EffLNS_18Fp8KVCacheDataTypeE0EEEvPKlPT_S7_PKS6_PKT0_illlliPT3_S5_iiiiPKf
	.globl	_ZN4vllm38concat_and_cache_mla_rope_fused_kernelIfN3c104HalfELb0EffLNS_18Fp8KVCacheDataTypeE0EEEvPKlPT_S7_PKS6_PKT0_illlliPT3_S5_iiiiPKf
	.p2align	8
	.type	_ZN4vllm38concat_and_cache_mla_rope_fused_kernelIfN3c104HalfELb0EffLNS_18Fp8KVCacheDataTypeE0EEEvPKlPT_S7_PKS6_PKT0_illlliPT3_S5_iiiiPKf,@function
_ZN4vllm38concat_and_cache_mla_rope_fused_kernelIfN3c104HalfELb0EffLNS_18Fp8KVCacheDataTypeE0EEEvPKlPT_S7_PKS6_PKT0_illlliPT3_S5_iiiiPKf: ; @_ZN4vllm38concat_and_cache_mla_rope_fused_kernelIfN3c104HalfELb0EffLNS_18Fp8KVCacheDataTypeE0EEEvPKlPT_S7_PKS6_PKT0_illlliPT3_S5_iiiiPKf
; %bb.0:
	s_load_dwordx2 s[2:3], s[4:5], 0x60
	s_mov_b32 s7, 0
	s_lshl_b64 s[0:1], s[6:7], 3
	s_waitcnt lgkmcnt(0)
	s_add_u32 s2, s2, s0
	s_addc_u32 s3, s3, s1
	s_load_dwordx2 s[24:25], s[2:3], 0x0
	s_waitcnt lgkmcnt(0)
	v_cmp_lt_i64_e64 s[2:3], s[24:25], 0
	s_and_b64 vcc, exec, s[2:3]
	s_cbranch_vccnz .LBB3_13
; %bb.1:
	s_load_dword s7, s[4:5], 0x28
	s_load_dwordx2 s[2:3], s[4:5], 0x0
	s_load_dwordx4 s[16:19], s[4:5], 0x10
	v_lshlrev_b32_e32 v1, 1, v0
	s_waitcnt lgkmcnt(0)
	s_ashr_i32 s26, s7, 31
	s_add_u32 s0, s2, s0
	s_addc_u32 s1, s3, s1
	s_load_dwordx2 s[20:21], s[0:1], 0x0
	s_load_dwordx2 s[22:23], s[4:5], 0x20
	s_load_dwordx8 s[8:15], s[4:5], 0x30
	s_load_dwordx2 s[2:3], s[4:5], 0x58
	s_load_dword s28, s[4:5], 0x50
	s_waitcnt lgkmcnt(0)
	s_mul_i32 s0, s20, s26
	s_mul_hi_u32 s1, s20, s7
	s_mul_i32 s21, s21, s7
	s_add_i32 s0, s1, s0
	s_add_i32 s27, s0, s21
	s_lshr_b32 s0, s7, 31
	s_mul_i32 s26, s20, s7
	s_add_i32 s7, s7, s0
	s_ashr_i32 s20, s7, 1
	s_mul_i32 s7, s20, s28
	v_cmp_gt_i32_e32 vcc, s7, v0
	s_and_saveexec_b64 s[0:1], vcc
	s_cbranch_execz .LBB3_4
; %bb.2:
	s_lshl_b64 s[28:29], s[26:27], 1
	s_add_u32 s30, s22, s28
	s_addc_u32 s38, s23, s29
	s_load_dwordx2 s[28:29], s[4:5], 0x8
	s_load_dword s34, s[4:5], 0x8c
	s_mul_i32 s9, s6, s9
	s_mul_hi_u32 s31, s6, s8
	s_add_i32 s9, s31, s9
	s_mul_i32 s8, s6, s8
	s_ashr_i32 s21, s20, 31
	s_lshl_b64 s[8:9], s[8:9], 2
	s_waitcnt lgkmcnt(0)
	s_add_u32 s31, s28, s8
	s_addc_u32 s39, s29, s9
	s_abs_i32 s33, s20
	v_cvt_f32_u32_e32 v2, s33
	s_sub_i32 s8, 0, s33
	s_and_b32 s34, s34, 0xffff
	s_lshl_b64 s[28:29], s[20:21], 1
	v_rcp_iflag_f32_e32 v2, v2
	s_sub_i32 s35, 0, s20
	s_lshl_b32 s37, s34, 1
	v_mov_b32_e32 v5, s38
	v_mul_f32_e32 v2, 0x4f7ffffe, v2
	v_cvt_u32_f32_e32 v2, v2
	v_mov_b32_e32 v6, s29
	v_mov_b32_e32 v7, s39
	;; [unrolled: 1-line block ×3, first 2 shown]
	v_mul_lo_u32 v3, s8, v2
	v_mul_hi_u32 v3, v2, v3
	s_lshl_b32 s8, s20, 1
	v_add_u32_e32 v3, v2, v3
	s_sub_i32 s36, 0, s8
	s_mov_b64 s[8:9], 0
	v_mov_b32_e32 v2, v1
.LBB3_3:                                ; =>This Inner Loop Header: Depth=1
	v_sub_u32_e32 v9, 0, v4
	v_max_i32_e32 v9, v4, v9
	v_mul_hi_u32 v10, v9, v3
	v_mul_lo_u32 v11, v10, s33
	v_sub_u32_e32 v9, v9, v11
	v_add_u32_e32 v12, 1, v10
	v_cmp_le_u32_e32 vcc, s33, v9
	v_subrev_u32_e32 v11, s33, v9
	v_cndmask_b32_e32 v10, v10, v12, vcc
	v_cndmask_b32_e32 v9, v9, v11, vcc
	v_ashrrev_i32_e32 v8, 31, v4
	v_add_u32_e32 v11, 1, v10
	v_cmp_le_u32_e32 vcc, s33, v9
	v_xor_b32_e32 v8, s21, v8
	v_cndmask_b32_e32 v9, v10, v11, vcc
	v_xor_b32_e32 v9, v9, v8
	v_sub_u32_e32 v12, v9, v8
	v_mad_u64_u32 v[8:9], s[38:39], s35, v12, v[4:5]
	v_ashrrev_i32_e32 v9, 31, v8
	v_lshlrev_b64 v[8:9], 1, v[8:9]
	v_ashrrev_i32_e32 v14, 31, v12
	v_add_co_u32_e32 v8, vcc, s30, v8
	v_mul_lo_u32 v15, v12, s11
	v_mad_u64_u32 v[10:11], s[38:39], v12, s10, 0
	v_mul_lo_u32 v14, v14, s10
	v_addc_co_u32_e32 v9, vcc, v5, v9, vcc
	v_add3_u32 v11, v11, v15, v14
	v_add_co_u32_e32 v14, vcc, s28, v8
	v_mad_u64_u32 v[12:13], s[38:39], s36, v12, v[2:3]
	v_lshlrev_b64 v[10:11], 2, v[10:11]
	v_addc_co_u32_e32 v15, vcc, v9, v6, vcc
	v_ashrrev_i32_e32 v13, 31, v12
	v_add_co_u32_e32 v10, vcc, s31, v10
	global_load_ushort v16, v[8:9], off
	global_load_ushort v17, v[14:15], off
	v_lshlrev_b64 v[12:13], 2, v[12:13]
	v_addc_co_u32_e32 v11, vcc, v7, v11, vcc
	v_add_co_u32_e32 v8, vcc, v10, v12
	v_addc_co_u32_e32 v9, vcc, v11, v13, vcc
	global_load_dwordx2 v[10:11], v[8:9], off
	v_add_u32_e32 v4, s34, v4
	v_cmp_le_i32_e32 vcc, s7, v4
	v_add_u32_e32 v2, s37, v2
	s_or_b64 s[8:9], vcc, s[8:9]
	s_waitcnt vmcnt(2)
	v_cvt_f32_f16_e32 v12, v16
	s_waitcnt vmcnt(1)
	v_cvt_f32_f16_e32 v13, v17
	s_waitcnt vmcnt(0)
	v_mul_f32_e32 v12, v11, v12
	v_mul_f32_e32 v13, v11, v13
	v_fma_mix_f32 v11, v10, v17, v12 op_sel_hi:[0,1,0]
	v_fma_mix_f32 v10, v10, v16, -v13 op_sel_hi:[0,1,0]
	global_store_dwordx2 v[8:9], v[10:11], off
	s_andn2_b64 exec, exec, s[8:9]
	s_cbranch_execnz .LBB3_3
.LBB3_4:
	s_or_b64 exec, exec, s[0:1]
	s_load_dwordx4 s[8:11], s[4:5], 0x68
	s_waitcnt lgkmcnt(0)
	s_ashr_i32 s29, s11, 31
	s_mov_b32 s28, s11
	s_or_b64 s[0:1], s[24:25], s[28:29]
	s_mov_b32 s0, 0
	s_cmp_lg_u64 s[0:1], 0
	s_cbranch_scc0 .LBB3_14
; %bb.5:
	s_add_u32 s0, s28, s29
	s_mov_b32 s34, s29
	s_mov_b32 s35, s29
	s_addc_u32 s1, s29, s29
	s_xor_b64 s[36:37], s[0:1], s[34:35]
	v_cvt_f32_u32_e32 v2, s36
	v_cvt_f32_u32_e32 v3, s37
	s_sub_u32 s0, 0, s36
	s_subb_u32 s1, 0, s37
	v_madmk_f32 v2, v3, 0x4f800000, v2
	v_rcp_f32_e32 v2, v2
	v_mul_f32_e32 v2, 0x5f7ffffc, v2
	v_mul_f32_e32 v3, 0x2f800000, v2
	v_trunc_f32_e32 v3, v3
	v_madmk_f32 v2, v3, 0xcf800000, v2
	v_cvt_u32_f32_e32 v3, v3
	v_cvt_u32_f32_e32 v2, v2
	v_readfirstlane_b32 s7, v3
	v_readfirstlane_b32 s11, v2
	s_mul_i32 s21, s0, s7
	s_mul_hi_u32 s38, s0, s11
	s_mul_i32 s33, s1, s11
	s_add_i32 s21, s38, s21
	s_add_i32 s21, s21, s33
	s_mul_i32 s39, s0, s11
	s_mul_hi_u32 s33, s11, s21
	s_mul_i32 s38, s11, s21
	s_mul_hi_u32 s11, s11, s39
	s_add_u32 s11, s11, s38
	s_addc_u32 s33, 0, s33
	s_mul_hi_u32 s40, s7, s39
	s_mul_i32 s39, s7, s39
	s_add_u32 s11, s11, s39
	s_mul_hi_u32 s38, s7, s21
	s_addc_u32 s11, s33, s40
	s_addc_u32 s33, s38, 0
	s_mul_i32 s21, s7, s21
	s_add_u32 s11, s11, s21
	s_addc_u32 s21, 0, s33
	v_add_co_u32_e32 v2, vcc, s11, v2
	s_cmp_lg_u64 vcc, 0
	s_addc_u32 s7, s7, s21
	v_readfirstlane_b32 s21, v2
	s_mul_i32 s11, s0, s7
	s_mul_hi_u32 s33, s0, s21
	s_add_i32 s11, s33, s11
	s_mul_i32 s1, s1, s21
	s_add_i32 s11, s11, s1
	s_mul_i32 s0, s0, s21
	s_mul_hi_u32 s33, s7, s0
	s_mul_i32 s38, s7, s0
	s_mul_i32 s40, s21, s11
	s_mul_hi_u32 s0, s21, s0
	s_mul_hi_u32 s39, s21, s11
	s_add_u32 s0, s0, s40
	s_addc_u32 s21, 0, s39
	s_add_u32 s0, s0, s38
	s_mul_hi_u32 s1, s7, s11
	s_addc_u32 s0, s21, s33
	s_addc_u32 s1, s1, 0
	s_mul_i32 s11, s7, s11
	s_add_u32 s0, s0, s11
	s_addc_u32 s1, 0, s1
	v_add_co_u32_e32 v2, vcc, s0, v2
	s_cmp_lg_u64 vcc, 0
	s_addc_u32 s7, s7, s1
	s_ashr_i32 s38, s25, 31
	s_add_u32 s0, s24, s38
	s_mov_b32 s39, s38
	s_addc_u32 s1, s25, s38
	s_xor_b64 s[40:41], s[0:1], s[38:39]
	v_readfirstlane_b32 s11, v2
	s_mul_i32 s1, s40, s7
	s_mul_hi_u32 s21, s40, s11
	s_mul_hi_u32 s0, s40, s7
	s_add_u32 s1, s21, s1
	s_addc_u32 s0, 0, s0
	s_mul_hi_u32 s33, s41, s11
	s_mul_i32 s11, s41, s11
	s_add_u32 s1, s1, s11
	s_mul_hi_u32 s21, s41, s7
	s_addc_u32 s0, s0, s33
	s_addc_u32 s1, s21, 0
	s_mul_i32 s7, s41, s7
	s_add_u32 s7, s0, s7
	s_addc_u32 s11, 0, s1
	s_mul_i32 s0, s36, s11
	s_mul_hi_u32 s1, s36, s7
	s_add_i32 s0, s1, s0
	s_mul_i32 s1, s37, s7
	s_add_i32 s21, s0, s1
	s_mul_i32 s1, s36, s7
	v_mov_b32_e32 v2, s1
	s_sub_i32 s0, s41, s21
	v_sub_co_u32_e32 v2, vcc, s40, v2
	s_cmp_lg_u64 vcc, 0
	s_subb_u32 s33, s0, s37
	v_subrev_co_u32_e64 v3, s[0:1], s36, v2
	s_cmp_lg_u64 s[0:1], 0
	s_subb_u32 s0, s33, 0
	s_cmp_ge_u32 s0, s37
	v_readfirstlane_b32 s33, v3
	s_cselect_b32 s1, -1, 0
	s_cmp_ge_u32 s33, s36
	s_cselect_b32 s33, -1, 0
	s_cmp_eq_u32 s0, s37
	s_cselect_b32 s0, s33, s1
	s_add_u32 s1, s7, 1
	s_addc_u32 s33, s11, 0
	s_add_u32 s40, s7, 2
	s_addc_u32 s42, s11, 0
	s_cmp_lg_u32 s0, 0
	s_cselect_b32 s0, s40, s1
	s_cselect_b32 s1, s42, s33
	s_cmp_lg_u64 vcc, 0
	s_subb_u32 s21, s41, s21
	s_cmp_ge_u32 s21, s37
	v_readfirstlane_b32 s40, v2
	s_cselect_b32 s33, -1, 0
	s_cmp_ge_u32 s40, s36
	s_cselect_b32 s36, -1, 0
	s_cmp_eq_u32 s21, s37
	s_cselect_b32 s21, s36, s33
	s_cmp_lg_u32 s21, 0
	s_cselect_b32 s1, s1, s11
	s_cselect_b32 s0, s0, s7
	s_xor_b64 s[34:35], s[38:39], s[34:35]
	s_xor_b64 s[0:1], s[0:1], s[34:35]
	s_sub_u32 s0, s0, s34
	s_subb_u32 s1, s1, s35
	s_cbranch_execnz .LBB3_7
.LBB3_6:
	v_cvt_f32_u32_e32 v2, s28
	s_sub_i32 s0, 0, s28
	s_mov_b32 s1, 0
	v_rcp_iflag_f32_e32 v2, v2
	v_mul_f32_e32 v2, 0x4f7ffffe, v2
	v_cvt_u32_f32_e32 v2, v2
	v_readfirstlane_b32 s7, v2
	s_mul_i32 s0, s0, s7
	s_mul_hi_u32 s0, s7, s0
	s_add_i32 s7, s7, s0
	s_mul_hi_u32 s0, s24, s7
	s_mul_i32 s11, s0, s28
	s_sub_i32 s11, s24, s11
	s_add_i32 s7, s0, 1
	s_sub_i32 s21, s11, s28
	s_cmp_ge_u32 s11, s28
	s_cselect_b32 s0, s7, s0
	s_cselect_b32 s11, s21, s11
	s_add_i32 s7, s0, 1
	s_cmp_ge_u32 s11, s28
	s_cselect_b32 s0, s7, s0
.LBB3_7:
	s_mul_i32 s7, s0, s29
	s_mul_hi_u32 s11, s0, s28
	s_add_i32 s7, s11, s7
	s_mul_i32 s11, s1, s28
	s_add_i32 s11, s7, s11
	s_mul_i32 s7, s0, s28
	s_sub_u32 s7, s24, s7
	s_subb_u32 s11, s25, s11
	v_cmp_gt_i32_e32 vcc, s20, v0
	s_mul_hi_u32 s34, s0, s8
	s_mul_i32 s35, s1, s8
	s_mul_i32 s28, s0, s8
	s_mul_hi_u32 s33, s7, s9
	s_mul_i32 s1, s11, s9
	s_mul_i32 s24, s7, s9
	s_and_saveexec_b64 s[30:31], vcc
	s_cbranch_execz .LBB3_10
; %bb.8:
	s_load_dword s25, s[4:5], 0x8c
	s_ashr_i32 s21, s20, 31
	s_ashr_i32 s29, s8, 31
	;; [unrolled: 1-line block ×4, first 2 shown]
	s_waitcnt lgkmcnt(0)
	s_and_b32 s36, s25, 0xffff
	s_lshl_b64 s[26:27], s[26:27], 1
	s_add_u32 s22, s22, s26
	s_addc_u32 s23, s23, s27
	v_mov_b32_e32 v3, s23
	v_add_co_u32_e32 v2, vcc, s22, v1
	s_lshl_b64 s[22:23], s[20:21], 1
	s_mul_i32 s13, s13, s6
	s_mul_hi_u32 s21, s12, s6
	s_add_i32 s13, s21, s13
	s_mul_i32 s12, s12, s6
	s_lshl_b32 s26, s36, 1
	s_lshl_b64 s[12:13], s[12:13], 2
	v_addc_co_u32_e32 v3, vcc, 0, v3, vcc
	v_lshlrev_b32_e32 v5, 3, v0
	s_add_u32 s12, s16, s12
	v_add_co_u32_e32 v1, vcc, s12, v5
	s_mul_i32 s12, s0, s29
	s_mul_i32 s16, s7, s37
	s_addc_u32 s13, s17, s13
	s_add_i32 s12, s34, s12
	s_add_i32 s16, s33, s16
	;; [unrolled: 1-line block ×4, first 2 shown]
	v_mov_b32_e32 v4, s13
	s_lshl_b32 s21, s36, 3
	s_lshl_b64 s[12:13], s[28:29], 2
	s_lshl_b64 s[16:17], s[24:25], 2
	s_add_u32 s16, s12, s16
	s_addc_u32 s17, s13, s17
	s_lshl_b64 s[12:13], s[10:11], 2
	s_add_u32 s11, s2, s12
	s_addc_u32 s12, s3, s13
	s_add_u32 s11, s11, s16
	v_addc_co_u32_e32 v4, vcc, 0, v4, vcc
	s_addc_u32 s12, s12, s17
	s_mov_b32 s38, 0
	v_mov_b32_e32 v6, s12
	v_add_co_u32_e32 v5, vcc, s11, v5
	v_addc_co_u32_e32 v6, vcc, 0, v6, vcc
	s_mov_b64 s[12:13], 0
	v_mov_b32_e32 v7, s23
	v_mov_b32_e32 v8, s38
	s_mov_b64 s[16:17], 0
	v_mov_b32_e32 v9, v0
.LBB3_9:                                ; =>This Inner Loop Header: Depth=1
	v_add_co_u32_e32 v10, vcc, s22, v2
	v_addc_co_u32_e32 v11, vcc, v3, v7, vcc
	global_load_ushort v17, v[2:3], off
	global_load_ushort v16, v[10:11], off
	v_mov_b32_e32 v15, s17
	v_add_co_u32_e32 v12, vcc, s16, v1
	v_addc_co_u32_e32 v13, vcc, v4, v15, vcc
	global_load_dwordx2 v[10:11], v[12:13], off
	v_add_co_u32_e32 v2, vcc, s26, v2
	v_addc_co_u32_e32 v3, vcc, v3, v8, vcc
	v_add_co_u32_e32 v14, vcc, s16, v5
	v_add_u32_e32 v9, s36, v9
	s_add_u32 s16, s16, s21
	v_addc_co_u32_e32 v15, vcc, v6, v15, vcc
	s_addc_u32 s17, s17, 0
	v_cmp_le_i32_e32 vcc, s20, v9
	s_or_b64 s[12:13], vcc, s[12:13]
	s_waitcnt vmcnt(2)
	v_cvt_f32_f16_e32 v18, v17
	s_waitcnt vmcnt(1)
	v_cvt_f32_f16_e32 v16, v16
	s_waitcnt vmcnt(0)
	v_pk_mul_f32 v[16:17], v[10:11], v[16:17] op_sel_hi:[1,0]
	v_pk_fma_f32 v[20:21], v[10:11], v[18:19], v[16:17] op_sel:[0,0,1] op_sel_hi:[1,1,0] neg_lo:[0,0,1] neg_hi:[0,0,1]
	v_pk_fma_f32 v[10:11], v[10:11], v[18:19], v[16:17] op_sel:[0,0,1] op_sel_hi:[1,0,0]
	v_mov_b32_e32 v21, v11
	global_store_dwordx2 v[12:13], v[20:21], off
	global_store_dwordx2 v[14:15], v[20:21], off
	s_andn2_b64 exec, exec, s[12:13]
	s_cbranch_execnz .LBB3_9
.LBB3_10:
	s_or_b64 exec, exec, s[30:31]
	v_cmp_gt_i32_e32 vcc, s10, v0
	s_and_saveexec_b64 s[12:13], vcc
	s_cbranch_execz .LBB3_13
; %bb.11:
	s_mul_i32 s11, s6, s15
	s_mul_hi_u32 s12, s6, s14
	s_add_i32 s13, s12, s11
	s_mul_i32 s12, s6, s14
	s_lshl_b64 s[12:13], s[12:13], 2
	s_add_u32 s6, s18, s12
	s_addc_u32 s11, s19, s13
	s_ashr_i32 s8, s8, 31
	s_mul_i32 s0, s0, s8
	s_add_i32 s0, s34, s0
	s_add_i32 s29, s0, s35
	s_lshl_b64 s[12:13], s[28:29], 2
	s_add_u32 s2, s2, s12
	s_addc_u32 s3, s3, s13
	s_ashr_i32 s0, s9, 31
	s_mul_i32 s7, s7, s0
	s_add_i32 s0, s33, s7
	s_load_dword s4, s[4:5], 0x8c
	s_add_i32 s25, s0, s1
	s_lshl_b64 s[0:1], s[24:25], 2
	s_add_u32 s2, s2, s0
	s_addc_u32 s5, s3, s1
	s_waitcnt lgkmcnt(0)
	s_and_b32 s3, s4, 0xffff
	s_mov_b64 s[0:1], 0
	v_mov_b32_e32 v2, s11
	v_mov_b32_e32 v3, s5
.LBB3_12:                               ; =>This Inner Loop Header: Depth=1
	v_ashrrev_i32_e32 v1, 31, v0
	v_lshlrev_b64 v[4:5], 2, v[0:1]
	v_add_co_u32_e32 v6, vcc, s6, v4
	v_addc_co_u32_e32 v7, vcc, v2, v5, vcc
	global_load_dword v1, v[6:7], off
	v_add_co_u32_e32 v4, vcc, s2, v4
	v_addc_co_u32_e32 v5, vcc, v3, v5, vcc
	v_add_u32_e32 v0, s3, v0
	v_cmp_le_i32_e32 vcc, s10, v0
	s_or_b64 s[0:1], vcc, s[0:1]
	s_waitcnt vmcnt(0)
	global_store_dword v[4:5], v1, off
	s_andn2_b64 exec, exec, s[0:1]
	s_cbranch_execnz .LBB3_12
.LBB3_13:
	s_endpgm
.LBB3_14:
                                        ; implicit-def: $sgpr0_sgpr1
	s_branch .LBB3_6
	.section	.rodata,"a",@progbits
	.p2align	6, 0x0
	.amdhsa_kernel _ZN4vllm38concat_and_cache_mla_rope_fused_kernelIfN3c104HalfELb0EffLNS_18Fp8KVCacheDataTypeE0EEEvPKlPT_S7_PKS6_PKT0_illlliPT3_S5_iiiiPKf
		.amdhsa_group_segment_fixed_size 0
		.amdhsa_private_segment_fixed_size 0
		.amdhsa_kernarg_size 384
		.amdhsa_user_sgpr_count 6
		.amdhsa_user_sgpr_private_segment_buffer 1
		.amdhsa_user_sgpr_dispatch_ptr 0
		.amdhsa_user_sgpr_queue_ptr 0
		.amdhsa_user_sgpr_kernarg_segment_ptr 1
		.amdhsa_user_sgpr_dispatch_id 0
		.amdhsa_user_sgpr_flat_scratch_init 0
		.amdhsa_user_sgpr_kernarg_preload_length 0
		.amdhsa_user_sgpr_kernarg_preload_offset 0
		.amdhsa_user_sgpr_private_segment_size 0
		.amdhsa_uses_dynamic_stack 0
		.amdhsa_system_sgpr_private_segment_wavefront_offset 0
		.amdhsa_system_sgpr_workgroup_id_x 1
		.amdhsa_system_sgpr_workgroup_id_y 0
		.amdhsa_system_sgpr_workgroup_id_z 0
		.amdhsa_system_sgpr_workgroup_info 0
		.amdhsa_system_vgpr_workitem_id 0
		.amdhsa_next_free_vgpr 22
		.amdhsa_next_free_sgpr 43
		.amdhsa_accum_offset 24
		.amdhsa_reserve_vcc 1
		.amdhsa_reserve_flat_scratch 0
		.amdhsa_float_round_mode_32 0
		.amdhsa_float_round_mode_16_64 0
		.amdhsa_float_denorm_mode_32 3
		.amdhsa_float_denorm_mode_16_64 3
		.amdhsa_dx10_clamp 1
		.amdhsa_ieee_mode 1
		.amdhsa_fp16_overflow 0
		.amdhsa_tg_split 0
		.amdhsa_exception_fp_ieee_invalid_op 0
		.amdhsa_exception_fp_denorm_src 0
		.amdhsa_exception_fp_ieee_div_zero 0
		.amdhsa_exception_fp_ieee_overflow 0
		.amdhsa_exception_fp_ieee_underflow 0
		.amdhsa_exception_fp_ieee_inexact 0
		.amdhsa_exception_int_div_zero 0
	.end_amdhsa_kernel
	.section	.text._ZN4vllm38concat_and_cache_mla_rope_fused_kernelIfN3c104HalfELb0EffLNS_18Fp8KVCacheDataTypeE0EEEvPKlPT_S7_PKS6_PKT0_illlliPT3_S5_iiiiPKf,"axG",@progbits,_ZN4vllm38concat_and_cache_mla_rope_fused_kernelIfN3c104HalfELb0EffLNS_18Fp8KVCacheDataTypeE0EEEvPKlPT_S7_PKS6_PKT0_illlliPT3_S5_iiiiPKf,comdat
.Lfunc_end3:
	.size	_ZN4vllm38concat_and_cache_mla_rope_fused_kernelIfN3c104HalfELb0EffLNS_18Fp8KVCacheDataTypeE0EEEvPKlPT_S7_PKS6_PKT0_illlliPT3_S5_iiiiPKf, .Lfunc_end3-_ZN4vllm38concat_and_cache_mla_rope_fused_kernelIfN3c104HalfELb0EffLNS_18Fp8KVCacheDataTypeE0EEEvPKlPT_S7_PKS6_PKT0_illlliPT3_S5_iiiiPKf
                                        ; -- End function
	.section	.AMDGPU.csdata,"",@progbits
; Kernel info:
; codeLenInByte = 1972
; NumSgprs: 47
; NumVgprs: 22
; NumAgprs: 0
; TotalNumVgprs: 22
; ScratchSize: 0
; MemoryBound: 0
; FloatMode: 240
; IeeeMode: 1
; LDSByteSize: 0 bytes/workgroup (compile time only)
; SGPRBlocks: 5
; VGPRBlocks: 2
; NumSGPRsForWavesPerEU: 47
; NumVGPRsForWavesPerEU: 22
; AccumOffset: 24
; Occupancy: 8
; WaveLimiterHint : 1
; COMPUTE_PGM_RSRC2:SCRATCH_EN: 0
; COMPUTE_PGM_RSRC2:USER_SGPR: 6
; COMPUTE_PGM_RSRC2:TRAP_HANDLER: 0
; COMPUTE_PGM_RSRC2:TGID_X_EN: 1
; COMPUTE_PGM_RSRC2:TGID_Y_EN: 0
; COMPUTE_PGM_RSRC2:TGID_Z_EN: 0
; COMPUTE_PGM_RSRC2:TIDIG_COMP_CNT: 0
; COMPUTE_PGM_RSRC3_GFX90A:ACCUM_OFFSET: 5
; COMPUTE_PGM_RSRC3_GFX90A:TG_SPLIT: 0
	.section	.text._ZN4vllm38concat_and_cache_mla_rope_fused_kernelIfN3c108BFloat16ELb1EffLNS_18Fp8KVCacheDataTypeE0EEEvPKlPT_S7_PKS6_PKT0_illlliPT3_S5_iiiiPKf,"axG",@progbits,_ZN4vllm38concat_and_cache_mla_rope_fused_kernelIfN3c108BFloat16ELb1EffLNS_18Fp8KVCacheDataTypeE0EEEvPKlPT_S7_PKS6_PKT0_illlliPT3_S5_iiiiPKf,comdat
	.protected	_ZN4vllm38concat_and_cache_mla_rope_fused_kernelIfN3c108BFloat16ELb1EffLNS_18Fp8KVCacheDataTypeE0EEEvPKlPT_S7_PKS6_PKT0_illlliPT3_S5_iiiiPKf ; -- Begin function _ZN4vllm38concat_and_cache_mla_rope_fused_kernelIfN3c108BFloat16ELb1EffLNS_18Fp8KVCacheDataTypeE0EEEvPKlPT_S7_PKS6_PKT0_illlliPT3_S5_iiiiPKf
	.globl	_ZN4vllm38concat_and_cache_mla_rope_fused_kernelIfN3c108BFloat16ELb1EffLNS_18Fp8KVCacheDataTypeE0EEEvPKlPT_S7_PKS6_PKT0_illlliPT3_S5_iiiiPKf
	.p2align	8
	.type	_ZN4vllm38concat_and_cache_mla_rope_fused_kernelIfN3c108BFloat16ELb1EffLNS_18Fp8KVCacheDataTypeE0EEEvPKlPT_S7_PKS6_PKT0_illlliPT3_S5_iiiiPKf,@function
_ZN4vllm38concat_and_cache_mla_rope_fused_kernelIfN3c108BFloat16ELb1EffLNS_18Fp8KVCacheDataTypeE0EEEvPKlPT_S7_PKS6_PKT0_illlliPT3_S5_iiiiPKf: ; @_ZN4vllm38concat_and_cache_mla_rope_fused_kernelIfN3c108BFloat16ELb1EffLNS_18Fp8KVCacheDataTypeE0EEEvPKlPT_S7_PKS6_PKT0_illlliPT3_S5_iiiiPKf
; %bb.0:
	s_load_dwordx2 s[2:3], s[4:5], 0x60
	s_mov_b32 s7, 0
	s_lshl_b64 s[0:1], s[6:7], 3
	s_waitcnt lgkmcnt(0)
	s_add_u32 s2, s2, s0
	s_addc_u32 s3, s3, s1
	s_load_dwordx2 s[26:27], s[2:3], 0x0
	s_waitcnt lgkmcnt(0)
	v_cmp_lt_i64_e64 s[2:3], s[26:27], 0
	s_and_b64 vcc, exec, s[2:3]
	s_cbranch_vccnz .LBB4_13
; %bb.1:
	s_load_dword s7, s[4:5], 0x28
	s_load_dwordx2 s[2:3], s[4:5], 0x0
	s_load_dwordx4 s[16:19], s[4:5], 0x10
	s_waitcnt lgkmcnt(0)
	s_ashr_i32 s24, s7, 31
	s_add_u32 s0, s2, s0
	s_addc_u32 s1, s3, s1
	s_load_dwordx2 s[20:21], s[0:1], 0x0
	s_load_dwordx2 s[22:23], s[4:5], 0x20
	s_load_dwordx8 s[8:15], s[4:5], 0x30
	s_load_dwordx2 s[2:3], s[4:5], 0x58
	s_load_dword s28, s[4:5], 0x50
	s_waitcnt lgkmcnt(0)
	s_mul_i32 s0, s20, s24
	s_mul_hi_u32 s1, s20, s7
	s_mul_i32 s21, s21, s7
	s_add_i32 s0, s1, s0
	s_add_i32 s25, s0, s21
	s_lshr_b32 s0, s7, 31
	s_mul_i32 s24, s20, s7
	s_add_i32 s7, s7, s0
	s_ashr_i32 s20, s7, 1
	s_mul_i32 s7, s20, s28
	v_cmp_gt_i32_e32 vcc, s7, v0
	s_and_saveexec_b64 s[0:1], vcc
	s_cbranch_execz .LBB4_4
; %bb.2:
	s_lshl_b64 s[28:29], s[24:25], 1
	s_add_u32 s33, s22, s28
	s_addc_u32 s30, s23, s29
	s_load_dwordx2 s[28:29], s[4:5], 0x8
	s_mul_i32 s9, s6, s9
	s_mul_hi_u32 s31, s6, s8
	s_add_i32 s9, s31, s9
	s_load_dword s31, s[4:5], 0x8c
	s_mul_i32 s8, s6, s8
	s_ashr_i32 s21, s20, 31
	s_lshl_b64 s[8:9], s[8:9], 2
	s_waitcnt lgkmcnt(0)
	s_add_u32 s34, s28, s8
	s_addc_u32 s38, s29, s9
	s_abs_i32 s35, s20
	v_cvt_f32_u32_e32 v1, s35
	s_sub_i32 s8, 0, s35
	s_and_b32 s36, s31, 0xffff
	v_mov_b32_e32 v3, s30
	v_rcp_iflag_f32_e32 v1, v1
	s_lshl_b64 s[28:29], s[20:21], 1
	s_lshl_b64 s[30:31], s[20:21], 2
	s_sub_i32 s37, 0, s20
	v_mul_f32_e32 v1, 0x4f7ffffe, v1
	v_cvt_u32_f32_e32 v1, v1
	v_mov_b32_e32 v4, s29
	v_mov_b32_e32 v5, s38
	;; [unrolled: 1-line block ×3, first 2 shown]
	v_mul_lo_u32 v2, s8, v1
	v_mul_hi_u32 v2, v1, v2
	v_add_u32_e32 v1, v1, v2
	s_mov_b64 s[8:9], 0
	v_mov_b32_e32 v2, v0
.LBB4_3:                                ; =>This Inner Loop Header: Depth=1
	v_sub_u32_e32 v8, 0, v2
	v_max_i32_e32 v8, v2, v8
	v_mul_hi_u32 v9, v8, v1
	v_mul_lo_u32 v10, v9, s35
	v_sub_u32_e32 v8, v8, v10
	v_add_u32_e32 v11, 1, v9
	v_cmp_le_u32_e32 vcc, s35, v8
	v_subrev_u32_e32 v10, s35, v8
	v_cndmask_b32_e32 v9, v9, v11, vcc
	v_cndmask_b32_e32 v8, v8, v10, vcc
	v_ashrrev_i32_e32 v7, 31, v2
	v_add_u32_e32 v10, 1, v9
	v_cmp_le_u32_e32 vcc, s35, v8
	v_xor_b32_e32 v7, s21, v7
	v_cndmask_b32_e32 v8, v9, v10, vcc
	v_xor_b32_e32 v8, v8, v7
	v_sub_u32_e32 v7, v8, v7
	v_mad_u64_u32 v[8:9], s[38:39], s37, v7, v[2:3]
	v_ashrrev_i32_e32 v12, 31, v7
	v_ashrrev_i32_e32 v9, 31, v8
	v_mul_lo_u32 v14, v7, s11
	v_mad_u64_u32 v[10:11], s[38:39], v7, s10, 0
	v_mul_lo_u32 v7, v12, s10
	v_lshlrev_b64 v[12:13], 1, v[8:9]
	v_add_co_u32_e32 v12, vcc, s33, v12
	v_addc_co_u32_e32 v13, vcc, v3, v13, vcc
	v_add3_u32 v11, v11, v14, v7
	v_add_co_u32_e32 v14, vcc, s28, v12
	v_lshlrev_b64 v[10:11], 2, v[10:11]
	v_addc_co_u32_e32 v15, vcc, v13, v4, vcc
	v_add_co_u32_e32 v7, vcc, s34, v10
	v_lshlrev_b64 v[8:9], 2, v[8:9]
	v_addc_co_u32_e32 v10, vcc, v5, v11, vcc
	v_add_co_u32_e32 v8, vcc, v7, v8
	v_addc_co_u32_e32 v9, vcc, v10, v9, vcc
	global_load_ushort v16, v[12:13], off
	global_load_ushort v17, v[14:15], off
	v_add_co_u32_e32 v10, vcc, s30, v8
	v_addc_co_u32_e32 v11, vcc, v9, v6, vcc
	global_load_dword v7, v[8:9], off
	global_load_dword v12, v[10:11], off
	v_add_u32_e32 v2, s36, v2
	v_cmp_le_i32_e32 vcc, s7, v2
	s_or_b64 s[8:9], vcc, s[8:9]
	s_waitcnt vmcnt(3)
	v_lshlrev_b32_e32 v13, 16, v16
	s_waitcnt vmcnt(2)
	v_lshlrev_b32_e32 v14, 16, v17
	s_waitcnt vmcnt(1)
	v_mul_f32_e32 v15, v7, v14
	s_waitcnt vmcnt(0)
	v_mul_f32_e32 v14, v12, v14
	v_fma_f32 v7, v7, v13, -v14
	v_fmac_f32_e32 v15, v12, v13
	global_store_dword v[8:9], v7, off
	global_store_dword v[10:11], v15, off
	s_andn2_b64 exec, exec, s[8:9]
	s_cbranch_execnz .LBB4_3
.LBB4_4:
	s_or_b64 exec, exec, s[0:1]
	s_load_dwordx4 s[8:11], s[4:5], 0x68
	s_waitcnt lgkmcnt(0)
	s_ashr_i32 s31, s11, 31
	s_mov_b32 s30, s11
	s_or_b64 s[0:1], s[26:27], s[30:31]
	s_mov_b32 s0, 0
	s_cmp_lg_u64 s[0:1], 0
	s_cbranch_scc0 .LBB4_14
; %bb.5:
	s_add_u32 s0, s30, s31
	s_mov_b32 s28, s31
	s_mov_b32 s29, s31
	s_addc_u32 s1, s31, s31
	s_xor_b64 s[36:37], s[0:1], s[28:29]
	v_cvt_f32_u32_e32 v1, s36
	v_cvt_f32_u32_e32 v2, s37
	s_sub_u32 s0, 0, s36
	s_subb_u32 s1, 0, s37
	v_madmk_f32 v1, v2, 0x4f800000, v1
	v_rcp_f32_e32 v1, v1
	v_mul_f32_e32 v1, 0x5f7ffffc, v1
	v_mul_f32_e32 v2, 0x2f800000, v1
	v_trunc_f32_e32 v2, v2
	v_madmk_f32 v1, v2, 0xcf800000, v1
	v_cvt_u32_f32_e32 v2, v2
	v_cvt_u32_f32_e32 v1, v1
	v_readfirstlane_b32 s7, v2
	v_readfirstlane_b32 s11, v1
	s_mul_i32 s21, s0, s7
	s_mul_hi_u32 s38, s0, s11
	s_mul_i32 s33, s1, s11
	s_add_i32 s21, s38, s21
	s_add_i32 s21, s21, s33
	s_mul_i32 s39, s0, s11
	s_mul_hi_u32 s33, s11, s21
	s_mul_i32 s38, s11, s21
	s_mul_hi_u32 s11, s11, s39
	s_add_u32 s11, s11, s38
	s_addc_u32 s33, 0, s33
	s_mul_hi_u32 s40, s7, s39
	s_mul_i32 s39, s7, s39
	s_add_u32 s11, s11, s39
	s_mul_hi_u32 s38, s7, s21
	s_addc_u32 s11, s33, s40
	s_addc_u32 s33, s38, 0
	s_mul_i32 s21, s7, s21
	s_add_u32 s11, s11, s21
	s_addc_u32 s21, 0, s33
	v_add_co_u32_e32 v1, vcc, s11, v1
	s_cmp_lg_u64 vcc, 0
	s_addc_u32 s7, s7, s21
	v_readfirstlane_b32 s21, v1
	s_mul_i32 s11, s0, s7
	s_mul_hi_u32 s33, s0, s21
	s_add_i32 s11, s33, s11
	s_mul_i32 s1, s1, s21
	s_add_i32 s11, s11, s1
	s_mul_i32 s0, s0, s21
	s_mul_hi_u32 s33, s7, s0
	s_mul_i32 s38, s7, s0
	s_mul_i32 s40, s21, s11
	s_mul_hi_u32 s0, s21, s0
	s_mul_hi_u32 s39, s21, s11
	s_add_u32 s0, s0, s40
	s_addc_u32 s21, 0, s39
	s_add_u32 s0, s0, s38
	s_mul_hi_u32 s1, s7, s11
	s_addc_u32 s0, s21, s33
	s_addc_u32 s1, s1, 0
	s_mul_i32 s11, s7, s11
	s_add_u32 s0, s0, s11
	s_addc_u32 s1, 0, s1
	v_add_co_u32_e32 v1, vcc, s0, v1
	s_cmp_lg_u64 vcc, 0
	s_addc_u32 s7, s7, s1
	s_ashr_i32 s38, s27, 31
	s_add_u32 s0, s26, s38
	s_mov_b32 s39, s38
	s_addc_u32 s1, s27, s38
	s_xor_b64 s[40:41], s[0:1], s[38:39]
	v_readfirstlane_b32 s11, v1
	s_mul_i32 s1, s40, s7
	s_mul_hi_u32 s21, s40, s11
	s_mul_hi_u32 s0, s40, s7
	s_add_u32 s1, s21, s1
	s_addc_u32 s0, 0, s0
	s_mul_hi_u32 s33, s41, s11
	s_mul_i32 s11, s41, s11
	s_add_u32 s1, s1, s11
	s_mul_hi_u32 s21, s41, s7
	s_addc_u32 s0, s0, s33
	s_addc_u32 s1, s21, 0
	s_mul_i32 s7, s41, s7
	s_add_u32 s7, s0, s7
	s_addc_u32 s11, 0, s1
	s_mul_i32 s0, s36, s11
	s_mul_hi_u32 s1, s36, s7
	s_add_i32 s0, s1, s0
	s_mul_i32 s1, s37, s7
	s_add_i32 s21, s0, s1
	s_mul_i32 s1, s36, s7
	v_mov_b32_e32 v1, s1
	s_sub_i32 s0, s41, s21
	v_sub_co_u32_e32 v1, vcc, s40, v1
	s_cmp_lg_u64 vcc, 0
	s_subb_u32 s33, s0, s37
	v_subrev_co_u32_e64 v2, s[0:1], s36, v1
	s_cmp_lg_u64 s[0:1], 0
	s_subb_u32 s0, s33, 0
	s_cmp_ge_u32 s0, s37
	v_readfirstlane_b32 s33, v2
	s_cselect_b32 s1, -1, 0
	s_cmp_ge_u32 s33, s36
	s_cselect_b32 s33, -1, 0
	s_cmp_eq_u32 s0, s37
	s_cselect_b32 s0, s33, s1
	s_add_u32 s1, s7, 1
	s_addc_u32 s33, s11, 0
	s_add_u32 s40, s7, 2
	s_addc_u32 s42, s11, 0
	s_cmp_lg_u32 s0, 0
	s_cselect_b32 s0, s40, s1
	s_cselect_b32 s1, s42, s33
	s_cmp_lg_u64 vcc, 0
	s_subb_u32 s21, s41, s21
	s_cmp_ge_u32 s21, s37
	v_readfirstlane_b32 s40, v1
	s_cselect_b32 s33, -1, 0
	s_cmp_ge_u32 s40, s36
	s_cselect_b32 s36, -1, 0
	s_cmp_eq_u32 s21, s37
	s_cselect_b32 s21, s36, s33
	s_cmp_lg_u32 s21, 0
	s_cselect_b32 s1, s1, s11
	s_cselect_b32 s0, s0, s7
	s_xor_b64 s[28:29], s[38:39], s[28:29]
	s_xor_b64 s[0:1], s[0:1], s[28:29]
	s_sub_u32 s28, s0, s28
	s_subb_u32 s29, s1, s29
	s_cbranch_execnz .LBB4_7
.LBB4_6:
	v_cvt_f32_u32_e32 v1, s30
	s_sub_i32 s0, 0, s30
	s_mov_b32 s29, 0
	v_rcp_iflag_f32_e32 v1, v1
	v_mul_f32_e32 v1, 0x4f7ffffe, v1
	v_cvt_u32_f32_e32 v1, v1
	v_readfirstlane_b32 s1, v1
	s_mul_i32 s0, s0, s1
	s_mul_hi_u32 s0, s1, s0
	s_add_i32 s1, s1, s0
	s_mul_hi_u32 s0, s26, s1
	s_mul_i32 s7, s0, s30
	s_sub_i32 s7, s26, s7
	s_add_i32 s1, s0, 1
	s_sub_i32 s11, s7, s30
	s_cmp_ge_u32 s7, s30
	s_cselect_b32 s0, s1, s0
	s_cselect_b32 s7, s11, s7
	s_add_i32 s1, s0, 1
	s_cmp_ge_u32 s7, s30
	s_cselect_b32 s28, s1, s0
.LBB4_7:
	s_mul_i32 s0, s28, s31
	s_mul_hi_u32 s1, s28, s30
	s_add_i32 s0, s1, s0
	s_mul_i32 s1, s29, s30
	s_add_i32 s0, s0, s1
	s_mul_i32 s1, s28, s30
	s_sub_u32 s33, s26, s1
	s_subb_u32 s7, s27, s0
	v_cmp_gt_i32_e32 vcc, s20, v0
	s_mul_hi_u32 s36, s28, s8
	s_mul_i32 s37, s29, s8
	s_mul_i32 s30, s28, s8
	s_mul_hi_u32 s29, s33, s9
	s_mul_i32 s7, s7, s9
	s_mul_i32 s26, s33, s9
	s_and_saveexec_b64 s[34:35], vcc
	s_cbranch_execz .LBB4_10
; %bb.8:
	s_mul_i32 s0, s6, s13
	s_mul_hi_u32 s1, s6, s12
	s_add_i32 s1, s1, s0
	s_mul_i32 s0, s6, s12
	s_ashr_i32 s21, s20, 31
	s_lshl_b64 s[0:1], s[0:1], 2
	s_add_u32 s38, s16, s0
	s_addc_u32 s39, s17, s1
	s_ashr_i32 s11, s8, 31
	s_mul_i32 s11, s28, s11
	s_add_i32 s11, s36, s11
	s_add_i32 s31, s11, s37
	s_ashr_i32 s11, s9, 31
	s_mul_i32 s11, s33, s11
	s_add_i32 s11, s29, s11
	s_add_i32 s27, s11, s7
	s_lshl_b64 s[12:13], s[30:31], 2
	s_lshl_b64 s[40:41], s[26:27], 2
	s_add_u32 s44, s12, s40
	s_addc_u32 s45, s13, s41
	s_load_dword s31, s[4:5], 0x8c
	s_add_u32 s12, s44, s2
	s_addc_u32 s13, s45, s3
	s_ashr_i32 s11, s10, 31
	s_lshl_b64 s[40:41], s[10:11], 2
	s_add_u32 s11, s12, s40
	s_addc_u32 s27, s13, s41
	s_waitcnt lgkmcnt(0)
	s_and_b32 s31, s31, 0xffff
	s_lshl_b64 s[12:13], s[24:25], 1
	s_add_u32 s12, s22, s12
	v_lshlrev_b32_e32 v1, 1, v0
	s_addc_u32 s13, s23, s13
	v_mov_b32_e32 v3, s13
	v_add_co_u32_e32 v2, vcc, s12, v1
	s_lshl_b32 s22, s31, 1
	s_lshl_b64 s[12:13], s[20:21], 1
	s_lshl_b64 s[42:43], s[20:21], 2
	s_add_u32 s0, s0, s42
	s_addc_u32 s1, s1, s43
	s_add_u32 s21, s16, s0
	s_addc_u32 s23, s17, s1
	s_lshl_b32 s24, s31, 2
	s_add_u32 s0, s44, s42
	s_addc_u32 s1, s45, s43
	s_add_u32 s0, s0, s40
	s_addc_u32 s1, s1, s41
	s_mov_b32 s46, 0
	s_add_u32 s25, s2, s0
	v_addc_co_u32_e32 v3, vcc, 0, v3, vcc
	v_lshlrev_b32_e32 v4, 2, v0
	s_addc_u32 s40, s3, s1
	s_mov_b64 s[16:17], 0
	v_mov_b32_e32 v1, s13
	v_mov_b32_e32 v5, s46
	;; [unrolled: 1-line block ×3, first 2 shown]
.LBB4_9:                                ; =>This Inner Loop Header: Depth=1
	v_add_co_u32_e32 v8, vcc, s12, v2
	v_addc_co_u32_e32 v9, vcc, v3, v1, vcc
	global_load_ushort v7, v[2:3], off
	global_load_ushort v16, v[8:9], off
	v_mov_b32_e32 v11, s39
	v_mov_b32_e32 v14, s23
	v_add_co_u32_e32 v10, vcc, s21, v4
	v_add_co_u32_e64 v12, s[0:1], s38, v4
	v_addc_co_u32_e64 v13, s[0:1], 0, v11, s[0:1]
	v_addc_co_u32_e32 v11, vcc, 0, v14, vcc
	global_load_dword v17, v[10:11], off
	global_load_dword v18, v[12:13], off
	s_add_u32 s21, s21, s24
	s_addc_u32 s23, s23, 0
	s_add_u32 s38, s38, s24
	v_add_co_u32_e64 v2, s[0:1], s22, v2
	s_addc_u32 s39, s39, 0
	v_add_co_u32_e32 v8, vcc, s25, v4
	v_addc_co_u32_e64 v3, s[0:1], v3, v5, s[0:1]
	s_add_u32 s25, s25, s24
	v_mov_b32_e32 v9, s27
	v_mov_b32_e32 v19, s40
	v_add_co_u32_e64 v14, s[0:1], s11, v4
	s_addc_u32 s40, s40, 0
	v_add_u32_e32 v6, s31, v6
	v_addc_co_u32_e64 v15, s[0:1], 0, v9, s[0:1]
	v_addc_co_u32_e32 v9, vcc, 0, v19, vcc
	s_add_u32 s11, s11, s24
	v_cmp_le_i32_e32 vcc, s20, v6
	s_addc_u32 s27, s27, 0
	s_or_b64 s[16:17], vcc, s[16:17]
	s_waitcnt vmcnt(3)
	v_lshlrev_b32_e32 v7, 16, v7
	s_waitcnt vmcnt(2)
	v_lshlrev_b32_e32 v16, 16, v16
	s_waitcnt vmcnt(1)
	v_mul_f32_e32 v19, v17, v16
	s_waitcnt vmcnt(0)
	v_mul_f32_e32 v16, v18, v16
	v_fma_f32 v18, v18, v7, -v19
	v_fmac_f32_e32 v16, v17, v7
	global_store_dword v[12:13], v18, off
	global_store_dword v[10:11], v16, off
	;; [unrolled: 1-line block ×4, first 2 shown]
	s_andn2_b64 exec, exec, s[16:17]
	s_cbranch_execnz .LBB4_9
.LBB4_10:
	s_or_b64 exec, exec, s[34:35]
	v_cmp_gt_i32_e32 vcc, s10, v0
	s_and_saveexec_b64 s[0:1], vcc
	s_cbranch_execz .LBB4_13
; %bb.11:
	s_mul_i32 s0, s6, s15
	s_mul_hi_u32 s1, s6, s14
	s_add_i32 s1, s1, s0
	s_mul_i32 s0, s6, s14
	s_lshl_b64 s[0:1], s[0:1], 2
	s_add_u32 s6, s18, s0
	s_addc_u32 s11, s19, s1
	s_ashr_i32 s0, s8, 31
	s_mul_i32 s0, s28, s0
	s_add_i32 s0, s36, s0
	s_add_i32 s31, s0, s37
	s_lshl_b64 s[0:1], s[30:31], 2
	s_add_u32 s2, s2, s0
	s_addc_u32 s3, s3, s1
	s_ashr_i32 s0, s9, 31
	s_mul_i32 s33, s33, s0
	s_add_i32 s0, s29, s33
	s_load_dword s4, s[4:5], 0x8c
	s_add_i32 s27, s0, s7
	s_lshl_b64 s[0:1], s[26:27], 2
	s_add_u32 s2, s2, s0
	s_addc_u32 s5, s3, s1
	s_waitcnt lgkmcnt(0)
	s_and_b32 s3, s4, 0xffff
	s_mov_b64 s[0:1], 0
	v_mov_b32_e32 v2, s11
	v_mov_b32_e32 v3, s5
.LBB4_12:                               ; =>This Inner Loop Header: Depth=1
	v_ashrrev_i32_e32 v1, 31, v0
	v_lshlrev_b64 v[4:5], 2, v[0:1]
	v_add_co_u32_e32 v6, vcc, s6, v4
	v_addc_co_u32_e32 v7, vcc, v2, v5, vcc
	global_load_dword v1, v[6:7], off
	v_add_co_u32_e32 v4, vcc, s2, v4
	v_addc_co_u32_e32 v5, vcc, v3, v5, vcc
	v_add_u32_e32 v0, s3, v0
	v_cmp_le_i32_e32 vcc, s10, v0
	s_or_b64 s[0:1], vcc, s[0:1]
	s_waitcnt vmcnt(0)
	global_store_dword v[4:5], v1, off
	s_andn2_b64 exec, exec, s[0:1]
	s_cbranch_execnz .LBB4_12
.LBB4_13:
	s_endpgm
.LBB4_14:
                                        ; implicit-def: $sgpr28_sgpr29
	s_branch .LBB4_6
	.section	.rodata,"a",@progbits
	.p2align	6, 0x0
	.amdhsa_kernel _ZN4vllm38concat_and_cache_mla_rope_fused_kernelIfN3c108BFloat16ELb1EffLNS_18Fp8KVCacheDataTypeE0EEEvPKlPT_S7_PKS6_PKT0_illlliPT3_S5_iiiiPKf
		.amdhsa_group_segment_fixed_size 0
		.amdhsa_private_segment_fixed_size 0
		.amdhsa_kernarg_size 384
		.amdhsa_user_sgpr_count 6
		.amdhsa_user_sgpr_private_segment_buffer 1
		.amdhsa_user_sgpr_dispatch_ptr 0
		.amdhsa_user_sgpr_queue_ptr 0
		.amdhsa_user_sgpr_kernarg_segment_ptr 1
		.amdhsa_user_sgpr_dispatch_id 0
		.amdhsa_user_sgpr_flat_scratch_init 0
		.amdhsa_user_sgpr_kernarg_preload_length 0
		.amdhsa_user_sgpr_kernarg_preload_offset 0
		.amdhsa_user_sgpr_private_segment_size 0
		.amdhsa_uses_dynamic_stack 0
		.amdhsa_system_sgpr_private_segment_wavefront_offset 0
		.amdhsa_system_sgpr_workgroup_id_x 1
		.amdhsa_system_sgpr_workgroup_id_y 0
		.amdhsa_system_sgpr_workgroup_id_z 0
		.amdhsa_system_sgpr_workgroup_info 0
		.amdhsa_system_vgpr_workitem_id 0
		.amdhsa_next_free_vgpr 20
		.amdhsa_next_free_sgpr 47
		.amdhsa_accum_offset 20
		.amdhsa_reserve_vcc 1
		.amdhsa_reserve_flat_scratch 0
		.amdhsa_float_round_mode_32 0
		.amdhsa_float_round_mode_16_64 0
		.amdhsa_float_denorm_mode_32 3
		.amdhsa_float_denorm_mode_16_64 3
		.amdhsa_dx10_clamp 1
		.amdhsa_ieee_mode 1
		.amdhsa_fp16_overflow 0
		.amdhsa_tg_split 0
		.amdhsa_exception_fp_ieee_invalid_op 0
		.amdhsa_exception_fp_denorm_src 0
		.amdhsa_exception_fp_ieee_div_zero 0
		.amdhsa_exception_fp_ieee_overflow 0
		.amdhsa_exception_fp_ieee_underflow 0
		.amdhsa_exception_fp_ieee_inexact 0
		.amdhsa_exception_int_div_zero 0
	.end_amdhsa_kernel
	.section	.text._ZN4vllm38concat_and_cache_mla_rope_fused_kernelIfN3c108BFloat16ELb1EffLNS_18Fp8KVCacheDataTypeE0EEEvPKlPT_S7_PKS6_PKT0_illlliPT3_S5_iiiiPKf,"axG",@progbits,_ZN4vllm38concat_and_cache_mla_rope_fused_kernelIfN3c108BFloat16ELb1EffLNS_18Fp8KVCacheDataTypeE0EEEvPKlPT_S7_PKS6_PKT0_illlliPT3_S5_iiiiPKf,comdat
.Lfunc_end4:
	.size	_ZN4vllm38concat_and_cache_mla_rope_fused_kernelIfN3c108BFloat16ELb1EffLNS_18Fp8KVCacheDataTypeE0EEEvPKlPT_S7_PKS6_PKT0_illlliPT3_S5_iiiiPKf, .Lfunc_end4-_ZN4vllm38concat_and_cache_mla_rope_fused_kernelIfN3c108BFloat16ELb1EffLNS_18Fp8KVCacheDataTypeE0EEEvPKlPT_S7_PKS6_PKT0_illlliPT3_S5_iiiiPKf
                                        ; -- End function
	.section	.AMDGPU.csdata,"",@progbits
; Kernel info:
; codeLenInByte = 2084
; NumSgprs: 51
; NumVgprs: 20
; NumAgprs: 0
; TotalNumVgprs: 20
; ScratchSize: 0
; MemoryBound: 0
; FloatMode: 240
; IeeeMode: 1
; LDSByteSize: 0 bytes/workgroup (compile time only)
; SGPRBlocks: 6
; VGPRBlocks: 2
; NumSGPRsForWavesPerEU: 51
; NumVGPRsForWavesPerEU: 20
; AccumOffset: 20
; Occupancy: 8
; WaveLimiterHint : 1
; COMPUTE_PGM_RSRC2:SCRATCH_EN: 0
; COMPUTE_PGM_RSRC2:USER_SGPR: 6
; COMPUTE_PGM_RSRC2:TRAP_HANDLER: 0
; COMPUTE_PGM_RSRC2:TGID_X_EN: 1
; COMPUTE_PGM_RSRC2:TGID_Y_EN: 0
; COMPUTE_PGM_RSRC2:TGID_Z_EN: 0
; COMPUTE_PGM_RSRC2:TIDIG_COMP_CNT: 0
; COMPUTE_PGM_RSRC3_GFX90A:ACCUM_OFFSET: 4
; COMPUTE_PGM_RSRC3_GFX90A:TG_SPLIT: 0
	.section	.text._ZN4vllm38concat_and_cache_mla_rope_fused_kernelIfN3c108BFloat16ELb0EffLNS_18Fp8KVCacheDataTypeE0EEEvPKlPT_S7_PKS6_PKT0_illlliPT3_S5_iiiiPKf,"axG",@progbits,_ZN4vllm38concat_and_cache_mla_rope_fused_kernelIfN3c108BFloat16ELb0EffLNS_18Fp8KVCacheDataTypeE0EEEvPKlPT_S7_PKS6_PKT0_illlliPT3_S5_iiiiPKf,comdat
	.protected	_ZN4vllm38concat_and_cache_mla_rope_fused_kernelIfN3c108BFloat16ELb0EffLNS_18Fp8KVCacheDataTypeE0EEEvPKlPT_S7_PKS6_PKT0_illlliPT3_S5_iiiiPKf ; -- Begin function _ZN4vllm38concat_and_cache_mla_rope_fused_kernelIfN3c108BFloat16ELb0EffLNS_18Fp8KVCacheDataTypeE0EEEvPKlPT_S7_PKS6_PKT0_illlliPT3_S5_iiiiPKf
	.globl	_ZN4vllm38concat_and_cache_mla_rope_fused_kernelIfN3c108BFloat16ELb0EffLNS_18Fp8KVCacheDataTypeE0EEEvPKlPT_S7_PKS6_PKT0_illlliPT3_S5_iiiiPKf
	.p2align	8
	.type	_ZN4vllm38concat_and_cache_mla_rope_fused_kernelIfN3c108BFloat16ELb0EffLNS_18Fp8KVCacheDataTypeE0EEEvPKlPT_S7_PKS6_PKT0_illlliPT3_S5_iiiiPKf,@function
_ZN4vllm38concat_and_cache_mla_rope_fused_kernelIfN3c108BFloat16ELb0EffLNS_18Fp8KVCacheDataTypeE0EEEvPKlPT_S7_PKS6_PKT0_illlliPT3_S5_iiiiPKf: ; @_ZN4vllm38concat_and_cache_mla_rope_fused_kernelIfN3c108BFloat16ELb0EffLNS_18Fp8KVCacheDataTypeE0EEEvPKlPT_S7_PKS6_PKT0_illlliPT3_S5_iiiiPKf
; %bb.0:
	s_load_dwordx2 s[2:3], s[4:5], 0x60
	s_mov_b32 s7, 0
	s_lshl_b64 s[0:1], s[6:7], 3
	s_waitcnt lgkmcnt(0)
	s_add_u32 s2, s2, s0
	s_addc_u32 s3, s3, s1
	s_load_dwordx2 s[24:25], s[2:3], 0x0
	s_waitcnt lgkmcnt(0)
	v_cmp_lt_i64_e64 s[2:3], s[24:25], 0
	s_and_b64 vcc, exec, s[2:3]
	s_cbranch_vccnz .LBB5_13
; %bb.1:
	s_load_dword s7, s[4:5], 0x28
	s_load_dwordx2 s[2:3], s[4:5], 0x0
	s_load_dwordx4 s[16:19], s[4:5], 0x10
	v_lshlrev_b32_e32 v1, 1, v0
	s_waitcnt lgkmcnt(0)
	s_ashr_i32 s26, s7, 31
	s_add_u32 s0, s2, s0
	s_addc_u32 s1, s3, s1
	s_load_dwordx2 s[20:21], s[0:1], 0x0
	s_load_dwordx2 s[22:23], s[4:5], 0x20
	s_load_dwordx8 s[8:15], s[4:5], 0x30
	s_load_dwordx2 s[2:3], s[4:5], 0x58
	s_load_dword s28, s[4:5], 0x50
	s_waitcnt lgkmcnt(0)
	s_mul_i32 s0, s20, s26
	s_mul_hi_u32 s1, s20, s7
	s_mul_i32 s21, s21, s7
	s_add_i32 s0, s1, s0
	s_add_i32 s27, s0, s21
	s_lshr_b32 s0, s7, 31
	s_mul_i32 s26, s20, s7
	s_add_i32 s7, s7, s0
	s_ashr_i32 s20, s7, 1
	s_mul_i32 s7, s20, s28
	v_cmp_gt_i32_e32 vcc, s7, v0
	s_and_saveexec_b64 s[0:1], vcc
	s_cbranch_execz .LBB5_4
; %bb.2:
	s_lshl_b64 s[28:29], s[26:27], 1
	s_add_u32 s30, s22, s28
	s_addc_u32 s38, s23, s29
	s_load_dwordx2 s[28:29], s[4:5], 0x8
	s_load_dword s34, s[4:5], 0x8c
	s_mul_i32 s9, s6, s9
	s_mul_hi_u32 s31, s6, s8
	s_add_i32 s9, s31, s9
	s_mul_i32 s8, s6, s8
	s_ashr_i32 s21, s20, 31
	s_lshl_b64 s[8:9], s[8:9], 2
	s_waitcnt lgkmcnt(0)
	s_add_u32 s31, s28, s8
	s_addc_u32 s39, s29, s9
	s_abs_i32 s33, s20
	v_cvt_f32_u32_e32 v2, s33
	s_sub_i32 s8, 0, s33
	s_and_b32 s34, s34, 0xffff
	s_lshl_b64 s[28:29], s[20:21], 1
	v_rcp_iflag_f32_e32 v2, v2
	s_sub_i32 s35, 0, s20
	s_lshl_b32 s37, s34, 1
	v_mov_b32_e32 v5, s38
	v_mul_f32_e32 v2, 0x4f7ffffe, v2
	v_cvt_u32_f32_e32 v2, v2
	v_mov_b32_e32 v6, s29
	v_mov_b32_e32 v7, s39
	;; [unrolled: 1-line block ×3, first 2 shown]
	v_mul_lo_u32 v3, s8, v2
	v_mul_hi_u32 v3, v2, v3
	s_lshl_b32 s8, s20, 1
	v_add_u32_e32 v3, v2, v3
	s_sub_i32 s36, 0, s8
	s_mov_b64 s[8:9], 0
	v_mov_b32_e32 v2, v1
.LBB5_3:                                ; =>This Inner Loop Header: Depth=1
	v_sub_u32_e32 v9, 0, v4
	v_max_i32_e32 v9, v4, v9
	v_mul_hi_u32 v10, v9, v3
	v_mul_lo_u32 v11, v10, s33
	v_sub_u32_e32 v9, v9, v11
	v_add_u32_e32 v12, 1, v10
	v_cmp_le_u32_e32 vcc, s33, v9
	v_subrev_u32_e32 v11, s33, v9
	v_cndmask_b32_e32 v10, v10, v12, vcc
	v_cndmask_b32_e32 v9, v9, v11, vcc
	v_ashrrev_i32_e32 v8, 31, v4
	v_add_u32_e32 v11, 1, v10
	v_cmp_le_u32_e32 vcc, s33, v9
	v_xor_b32_e32 v8, s21, v8
	v_cndmask_b32_e32 v9, v10, v11, vcc
	v_xor_b32_e32 v9, v9, v8
	v_sub_u32_e32 v12, v9, v8
	v_mad_u64_u32 v[8:9], s[38:39], s35, v12, v[4:5]
	v_ashrrev_i32_e32 v9, 31, v8
	v_lshlrev_b64 v[8:9], 1, v[8:9]
	v_ashrrev_i32_e32 v14, 31, v12
	v_add_co_u32_e32 v8, vcc, s30, v8
	v_mul_lo_u32 v15, v12, s11
	v_mad_u64_u32 v[10:11], s[38:39], v12, s10, 0
	v_mul_lo_u32 v14, v14, s10
	v_addc_co_u32_e32 v9, vcc, v5, v9, vcc
	v_add3_u32 v11, v11, v15, v14
	v_add_co_u32_e32 v14, vcc, s28, v8
	v_mad_u64_u32 v[12:13], s[38:39], s36, v12, v[2:3]
	v_lshlrev_b64 v[10:11], 2, v[10:11]
	v_addc_co_u32_e32 v15, vcc, v9, v6, vcc
	v_ashrrev_i32_e32 v13, 31, v12
	v_add_co_u32_e32 v10, vcc, s31, v10
	v_lshlrev_b64 v[12:13], 2, v[12:13]
	v_addc_co_u32_e32 v11, vcc, v7, v11, vcc
	global_load_ushort v16, v[8:9], off
	global_load_ushort v17, v[14:15], off
	v_add_co_u32_e32 v8, vcc, v10, v12
	v_addc_co_u32_e32 v9, vcc, v11, v13, vcc
	global_load_dwordx2 v[10:11], v[8:9], off
	v_add_u32_e32 v4, s34, v4
	v_cmp_le_i32_e32 vcc, s7, v4
	v_add_u32_e32 v2, s37, v2
	s_or_b64 s[8:9], vcc, s[8:9]
	s_waitcnt vmcnt(2)
	v_lshlrev_b32_e32 v14, 16, v16
	s_waitcnt vmcnt(1)
	v_lshlrev_b32_e32 v12, 16, v17
	s_waitcnt vmcnt(0)
	v_mul_f32_e32 v15, v11, v12
	v_mul_f32_e32 v13, v10, v12
	v_fma_f32 v12, v10, v14, -v15
	v_fmac_f32_e32 v13, v11, v14
	global_store_dwordx2 v[8:9], v[12:13], off
	s_andn2_b64 exec, exec, s[8:9]
	s_cbranch_execnz .LBB5_3
.LBB5_4:
	s_or_b64 exec, exec, s[0:1]
	s_load_dwordx4 s[8:11], s[4:5], 0x68
	s_waitcnt lgkmcnt(0)
	s_ashr_i32 s29, s11, 31
	s_mov_b32 s28, s11
	s_or_b64 s[0:1], s[24:25], s[28:29]
	s_mov_b32 s0, 0
	s_cmp_lg_u64 s[0:1], 0
	s_cbranch_scc0 .LBB5_14
; %bb.5:
	s_add_u32 s0, s28, s29
	s_mov_b32 s34, s29
	s_mov_b32 s35, s29
	s_addc_u32 s1, s29, s29
	s_xor_b64 s[36:37], s[0:1], s[34:35]
	v_cvt_f32_u32_e32 v2, s36
	v_cvt_f32_u32_e32 v3, s37
	s_sub_u32 s0, 0, s36
	s_subb_u32 s1, 0, s37
	v_madmk_f32 v2, v3, 0x4f800000, v2
	v_rcp_f32_e32 v2, v2
	v_mul_f32_e32 v2, 0x5f7ffffc, v2
	v_mul_f32_e32 v3, 0x2f800000, v2
	v_trunc_f32_e32 v3, v3
	v_madmk_f32 v2, v3, 0xcf800000, v2
	v_cvt_u32_f32_e32 v3, v3
	v_cvt_u32_f32_e32 v2, v2
	v_readfirstlane_b32 s7, v3
	v_readfirstlane_b32 s11, v2
	s_mul_i32 s21, s0, s7
	s_mul_hi_u32 s38, s0, s11
	s_mul_i32 s33, s1, s11
	s_add_i32 s21, s38, s21
	s_add_i32 s21, s21, s33
	s_mul_i32 s39, s0, s11
	s_mul_hi_u32 s33, s11, s21
	s_mul_i32 s38, s11, s21
	s_mul_hi_u32 s11, s11, s39
	s_add_u32 s11, s11, s38
	s_addc_u32 s33, 0, s33
	s_mul_hi_u32 s40, s7, s39
	s_mul_i32 s39, s7, s39
	s_add_u32 s11, s11, s39
	s_mul_hi_u32 s38, s7, s21
	s_addc_u32 s11, s33, s40
	s_addc_u32 s33, s38, 0
	s_mul_i32 s21, s7, s21
	s_add_u32 s11, s11, s21
	s_addc_u32 s21, 0, s33
	v_add_co_u32_e32 v2, vcc, s11, v2
	s_cmp_lg_u64 vcc, 0
	s_addc_u32 s7, s7, s21
	v_readfirstlane_b32 s21, v2
	s_mul_i32 s11, s0, s7
	s_mul_hi_u32 s33, s0, s21
	s_add_i32 s11, s33, s11
	s_mul_i32 s1, s1, s21
	s_add_i32 s11, s11, s1
	s_mul_i32 s0, s0, s21
	s_mul_hi_u32 s33, s7, s0
	s_mul_i32 s38, s7, s0
	s_mul_i32 s40, s21, s11
	s_mul_hi_u32 s0, s21, s0
	s_mul_hi_u32 s39, s21, s11
	s_add_u32 s0, s0, s40
	s_addc_u32 s21, 0, s39
	s_add_u32 s0, s0, s38
	s_mul_hi_u32 s1, s7, s11
	s_addc_u32 s0, s21, s33
	s_addc_u32 s1, s1, 0
	s_mul_i32 s11, s7, s11
	s_add_u32 s0, s0, s11
	s_addc_u32 s1, 0, s1
	v_add_co_u32_e32 v2, vcc, s0, v2
	s_cmp_lg_u64 vcc, 0
	s_addc_u32 s7, s7, s1
	s_ashr_i32 s38, s25, 31
	s_add_u32 s0, s24, s38
	s_mov_b32 s39, s38
	s_addc_u32 s1, s25, s38
	s_xor_b64 s[40:41], s[0:1], s[38:39]
	v_readfirstlane_b32 s11, v2
	s_mul_i32 s1, s40, s7
	s_mul_hi_u32 s21, s40, s11
	s_mul_hi_u32 s0, s40, s7
	s_add_u32 s1, s21, s1
	s_addc_u32 s0, 0, s0
	s_mul_hi_u32 s33, s41, s11
	s_mul_i32 s11, s41, s11
	s_add_u32 s1, s1, s11
	s_mul_hi_u32 s21, s41, s7
	s_addc_u32 s0, s0, s33
	s_addc_u32 s1, s21, 0
	s_mul_i32 s7, s41, s7
	s_add_u32 s7, s0, s7
	s_addc_u32 s11, 0, s1
	s_mul_i32 s0, s36, s11
	s_mul_hi_u32 s1, s36, s7
	s_add_i32 s0, s1, s0
	s_mul_i32 s1, s37, s7
	s_add_i32 s21, s0, s1
	s_mul_i32 s1, s36, s7
	v_mov_b32_e32 v2, s1
	s_sub_i32 s0, s41, s21
	v_sub_co_u32_e32 v2, vcc, s40, v2
	s_cmp_lg_u64 vcc, 0
	s_subb_u32 s33, s0, s37
	v_subrev_co_u32_e64 v3, s[0:1], s36, v2
	s_cmp_lg_u64 s[0:1], 0
	s_subb_u32 s0, s33, 0
	s_cmp_ge_u32 s0, s37
	v_readfirstlane_b32 s33, v3
	s_cselect_b32 s1, -1, 0
	s_cmp_ge_u32 s33, s36
	s_cselect_b32 s33, -1, 0
	s_cmp_eq_u32 s0, s37
	s_cselect_b32 s0, s33, s1
	s_add_u32 s1, s7, 1
	s_addc_u32 s33, s11, 0
	s_add_u32 s40, s7, 2
	s_addc_u32 s42, s11, 0
	s_cmp_lg_u32 s0, 0
	s_cselect_b32 s0, s40, s1
	s_cselect_b32 s1, s42, s33
	s_cmp_lg_u64 vcc, 0
	s_subb_u32 s21, s41, s21
	s_cmp_ge_u32 s21, s37
	v_readfirstlane_b32 s40, v2
	s_cselect_b32 s33, -1, 0
	s_cmp_ge_u32 s40, s36
	s_cselect_b32 s36, -1, 0
	s_cmp_eq_u32 s21, s37
	s_cselect_b32 s21, s36, s33
	s_cmp_lg_u32 s21, 0
	s_cselect_b32 s1, s1, s11
	s_cselect_b32 s0, s0, s7
	s_xor_b64 s[34:35], s[38:39], s[34:35]
	s_xor_b64 s[0:1], s[0:1], s[34:35]
	s_sub_u32 s0, s0, s34
	s_subb_u32 s1, s1, s35
	s_cbranch_execnz .LBB5_7
.LBB5_6:
	v_cvt_f32_u32_e32 v2, s28
	s_sub_i32 s0, 0, s28
	s_mov_b32 s1, 0
	v_rcp_iflag_f32_e32 v2, v2
	v_mul_f32_e32 v2, 0x4f7ffffe, v2
	v_cvt_u32_f32_e32 v2, v2
	v_readfirstlane_b32 s7, v2
	s_mul_i32 s0, s0, s7
	s_mul_hi_u32 s0, s7, s0
	s_add_i32 s7, s7, s0
	s_mul_hi_u32 s0, s24, s7
	s_mul_i32 s11, s0, s28
	s_sub_i32 s11, s24, s11
	s_add_i32 s7, s0, 1
	s_sub_i32 s21, s11, s28
	s_cmp_ge_u32 s11, s28
	s_cselect_b32 s0, s7, s0
	s_cselect_b32 s11, s21, s11
	s_add_i32 s7, s0, 1
	s_cmp_ge_u32 s11, s28
	s_cselect_b32 s0, s7, s0
.LBB5_7:
	s_mul_i32 s7, s0, s29
	s_mul_hi_u32 s11, s0, s28
	s_add_i32 s7, s11, s7
	s_mul_i32 s11, s1, s28
	s_add_i32 s11, s7, s11
	s_mul_i32 s7, s0, s28
	s_sub_u32 s7, s24, s7
	s_subb_u32 s11, s25, s11
	v_cmp_gt_i32_e32 vcc, s20, v0
	s_mul_hi_u32 s34, s0, s8
	s_mul_i32 s35, s1, s8
	s_mul_i32 s28, s0, s8
	s_mul_hi_u32 s33, s7, s9
	s_mul_i32 s1, s11, s9
	s_mul_i32 s24, s7, s9
	s_and_saveexec_b64 s[30:31], vcc
	s_cbranch_execz .LBB5_10
; %bb.8:
	s_load_dword s25, s[4:5], 0x8c
	s_ashr_i32 s21, s20, 31
	s_ashr_i32 s29, s8, 31
	;; [unrolled: 1-line block ×4, first 2 shown]
	s_waitcnt lgkmcnt(0)
	s_and_b32 s36, s25, 0xffff
	s_lshl_b64 s[26:27], s[26:27], 1
	s_add_u32 s22, s22, s26
	s_addc_u32 s23, s23, s27
	v_mov_b32_e32 v3, s23
	v_add_co_u32_e32 v2, vcc, s22, v1
	s_lshl_b64 s[22:23], s[20:21], 1
	s_mul_i32 s13, s13, s6
	s_mul_hi_u32 s21, s12, s6
	s_add_i32 s13, s21, s13
	s_mul_i32 s12, s12, s6
	s_lshl_b32 s26, s36, 1
	s_lshl_b64 s[12:13], s[12:13], 2
	v_addc_co_u32_e32 v3, vcc, 0, v3, vcc
	v_lshlrev_b32_e32 v5, 3, v0
	s_add_u32 s12, s16, s12
	v_add_co_u32_e32 v1, vcc, s12, v5
	s_mul_i32 s12, s0, s29
	s_mul_i32 s16, s7, s37
	s_addc_u32 s13, s17, s13
	s_add_i32 s12, s34, s12
	s_add_i32 s16, s33, s16
	;; [unrolled: 1-line block ×4, first 2 shown]
	v_mov_b32_e32 v4, s13
	s_lshl_b32 s21, s36, 3
	s_lshl_b64 s[12:13], s[28:29], 2
	s_lshl_b64 s[16:17], s[24:25], 2
	s_add_u32 s16, s12, s16
	s_addc_u32 s17, s13, s17
	s_lshl_b64 s[12:13], s[10:11], 2
	s_add_u32 s11, s2, s12
	s_addc_u32 s12, s3, s13
	s_add_u32 s11, s11, s16
	v_addc_co_u32_e32 v4, vcc, 0, v4, vcc
	s_addc_u32 s12, s12, s17
	s_mov_b32 s38, 0
	v_mov_b32_e32 v6, s12
	v_add_co_u32_e32 v5, vcc, s11, v5
	v_addc_co_u32_e32 v6, vcc, 0, v6, vcc
	s_mov_b64 s[12:13], 0
	v_mov_b32_e32 v7, s23
	v_mov_b32_e32 v8, s38
	s_mov_b64 s[16:17], 0
	v_mov_b32_e32 v9, v0
.LBB5_9:                                ; =>This Inner Loop Header: Depth=1
	v_add_co_u32_e32 v10, vcc, s22, v2
	v_addc_co_u32_e32 v11, vcc, v3, v7, vcc
	v_mov_b32_e32 v15, s17
	v_add_co_u32_e32 v12, vcc, s16, v1
	global_load_ushort v16, v[2:3], off
	global_load_ushort v17, v[10:11], off
	v_addc_co_u32_e32 v13, vcc, v4, v15, vcc
	global_load_dwordx2 v[10:11], v[12:13], off
	v_add_co_u32_e32 v2, vcc, s26, v2
	v_addc_co_u32_e32 v3, vcc, v3, v8, vcc
	v_add_co_u32_e32 v14, vcc, s16, v5
	v_add_u32_e32 v9, s36, v9
	s_add_u32 s16, s16, s21
	v_addc_co_u32_e32 v15, vcc, v6, v15, vcc
	s_addc_u32 s17, s17, 0
	v_cmp_le_i32_e32 vcc, s20, v9
	s_or_b64 s[12:13], vcc, s[12:13]
	s_waitcnt vmcnt(2)
	v_lshlrev_b32_e32 v16, 16, v16
	s_waitcnt vmcnt(1)
	v_lshlrev_b32_e32 v18, 16, v17
	s_waitcnt vmcnt(0)
	v_pk_mul_f32 v[18:19], v[10:11], v[18:19] op_sel_hi:[1,0]
	v_pk_fma_f32 v[20:21], v[10:11], v[16:17], v[18:19] op_sel:[0,0,1] op_sel_hi:[1,1,0] neg_lo:[0,0,1] neg_hi:[0,0,1]
	v_pk_fma_f32 v[10:11], v[10:11], v[16:17], v[18:19] op_sel:[0,0,1] op_sel_hi:[1,0,0]
	v_mov_b32_e32 v21, v11
	global_store_dwordx2 v[12:13], v[20:21], off
	global_store_dwordx2 v[14:15], v[20:21], off
	s_andn2_b64 exec, exec, s[12:13]
	s_cbranch_execnz .LBB5_9
.LBB5_10:
	s_or_b64 exec, exec, s[30:31]
	v_cmp_gt_i32_e32 vcc, s10, v0
	s_and_saveexec_b64 s[12:13], vcc
	s_cbranch_execz .LBB5_13
; %bb.11:
	s_mul_i32 s11, s6, s15
	s_mul_hi_u32 s12, s6, s14
	s_add_i32 s13, s12, s11
	s_mul_i32 s12, s6, s14
	s_lshl_b64 s[12:13], s[12:13], 2
	s_add_u32 s6, s18, s12
	s_addc_u32 s11, s19, s13
	s_ashr_i32 s8, s8, 31
	s_mul_i32 s0, s0, s8
	s_add_i32 s0, s34, s0
	s_add_i32 s29, s0, s35
	s_lshl_b64 s[12:13], s[28:29], 2
	s_add_u32 s2, s2, s12
	s_addc_u32 s3, s3, s13
	s_ashr_i32 s0, s9, 31
	s_mul_i32 s7, s7, s0
	s_add_i32 s0, s33, s7
	s_load_dword s4, s[4:5], 0x8c
	s_add_i32 s25, s0, s1
	s_lshl_b64 s[0:1], s[24:25], 2
	s_add_u32 s2, s2, s0
	s_addc_u32 s5, s3, s1
	s_waitcnt lgkmcnt(0)
	s_and_b32 s3, s4, 0xffff
	s_mov_b64 s[0:1], 0
	v_mov_b32_e32 v2, s11
	v_mov_b32_e32 v3, s5
.LBB5_12:                               ; =>This Inner Loop Header: Depth=1
	v_ashrrev_i32_e32 v1, 31, v0
	v_lshlrev_b64 v[4:5], 2, v[0:1]
	v_add_co_u32_e32 v6, vcc, s6, v4
	v_addc_co_u32_e32 v7, vcc, v2, v5, vcc
	global_load_dword v1, v[6:7], off
	v_add_co_u32_e32 v4, vcc, s2, v4
	v_addc_co_u32_e32 v5, vcc, v3, v5, vcc
	v_add_u32_e32 v0, s3, v0
	v_cmp_le_i32_e32 vcc, s10, v0
	s_or_b64 s[0:1], vcc, s[0:1]
	s_waitcnt vmcnt(0)
	global_store_dword v[4:5], v1, off
	s_andn2_b64 exec, exec, s[0:1]
	s_cbranch_execnz .LBB5_12
.LBB5_13:
	s_endpgm
.LBB5_14:
                                        ; implicit-def: $sgpr0_sgpr1
	s_branch .LBB5_6
	.section	.rodata,"a",@progbits
	.p2align	6, 0x0
	.amdhsa_kernel _ZN4vllm38concat_and_cache_mla_rope_fused_kernelIfN3c108BFloat16ELb0EffLNS_18Fp8KVCacheDataTypeE0EEEvPKlPT_S7_PKS6_PKT0_illlliPT3_S5_iiiiPKf
		.amdhsa_group_segment_fixed_size 0
		.amdhsa_private_segment_fixed_size 0
		.amdhsa_kernarg_size 384
		.amdhsa_user_sgpr_count 6
		.amdhsa_user_sgpr_private_segment_buffer 1
		.amdhsa_user_sgpr_dispatch_ptr 0
		.amdhsa_user_sgpr_queue_ptr 0
		.amdhsa_user_sgpr_kernarg_segment_ptr 1
		.amdhsa_user_sgpr_dispatch_id 0
		.amdhsa_user_sgpr_flat_scratch_init 0
		.amdhsa_user_sgpr_kernarg_preload_length 0
		.amdhsa_user_sgpr_kernarg_preload_offset 0
		.amdhsa_user_sgpr_private_segment_size 0
		.amdhsa_uses_dynamic_stack 0
		.amdhsa_system_sgpr_private_segment_wavefront_offset 0
		.amdhsa_system_sgpr_workgroup_id_x 1
		.amdhsa_system_sgpr_workgroup_id_y 0
		.amdhsa_system_sgpr_workgroup_id_z 0
		.amdhsa_system_sgpr_workgroup_info 0
		.amdhsa_system_vgpr_workitem_id 0
		.amdhsa_next_free_vgpr 22
		.amdhsa_next_free_sgpr 43
		.amdhsa_accum_offset 24
		.amdhsa_reserve_vcc 1
		.amdhsa_reserve_flat_scratch 0
		.amdhsa_float_round_mode_32 0
		.amdhsa_float_round_mode_16_64 0
		.amdhsa_float_denorm_mode_32 3
		.amdhsa_float_denorm_mode_16_64 3
		.amdhsa_dx10_clamp 1
		.amdhsa_ieee_mode 1
		.amdhsa_fp16_overflow 0
		.amdhsa_tg_split 0
		.amdhsa_exception_fp_ieee_invalid_op 0
		.amdhsa_exception_fp_denorm_src 0
		.amdhsa_exception_fp_ieee_div_zero 0
		.amdhsa_exception_fp_ieee_overflow 0
		.amdhsa_exception_fp_ieee_underflow 0
		.amdhsa_exception_fp_ieee_inexact 0
		.amdhsa_exception_int_div_zero 0
	.end_amdhsa_kernel
	.section	.text._ZN4vllm38concat_and_cache_mla_rope_fused_kernelIfN3c108BFloat16ELb0EffLNS_18Fp8KVCacheDataTypeE0EEEvPKlPT_S7_PKS6_PKT0_illlliPT3_S5_iiiiPKf,"axG",@progbits,_ZN4vllm38concat_and_cache_mla_rope_fused_kernelIfN3c108BFloat16ELb0EffLNS_18Fp8KVCacheDataTypeE0EEEvPKlPT_S7_PKS6_PKT0_illlliPT3_S5_iiiiPKf,comdat
.Lfunc_end5:
	.size	_ZN4vllm38concat_and_cache_mla_rope_fused_kernelIfN3c108BFloat16ELb0EffLNS_18Fp8KVCacheDataTypeE0EEEvPKlPT_S7_PKS6_PKT0_illlliPT3_S5_iiiiPKf, .Lfunc_end5-_ZN4vllm38concat_and_cache_mla_rope_fused_kernelIfN3c108BFloat16ELb0EffLNS_18Fp8KVCacheDataTypeE0EEEvPKlPT_S7_PKS6_PKT0_illlliPT3_S5_iiiiPKf
                                        ; -- End function
	.section	.AMDGPU.csdata,"",@progbits
; Kernel info:
; codeLenInByte = 1968
; NumSgprs: 47
; NumVgprs: 22
; NumAgprs: 0
; TotalNumVgprs: 22
; ScratchSize: 0
; MemoryBound: 0
; FloatMode: 240
; IeeeMode: 1
; LDSByteSize: 0 bytes/workgroup (compile time only)
; SGPRBlocks: 5
; VGPRBlocks: 2
; NumSGPRsForWavesPerEU: 47
; NumVGPRsForWavesPerEU: 22
; AccumOffset: 24
; Occupancy: 8
; WaveLimiterHint : 1
; COMPUTE_PGM_RSRC2:SCRATCH_EN: 0
; COMPUTE_PGM_RSRC2:USER_SGPR: 6
; COMPUTE_PGM_RSRC2:TRAP_HANDLER: 0
; COMPUTE_PGM_RSRC2:TGID_X_EN: 1
; COMPUTE_PGM_RSRC2:TGID_Y_EN: 0
; COMPUTE_PGM_RSRC2:TGID_Z_EN: 0
; COMPUTE_PGM_RSRC2:TIDIG_COMP_CNT: 0
; COMPUTE_PGM_RSRC3_GFX90A:ACCUM_OFFSET: 5
; COMPUTE_PGM_RSRC3_GFX90A:TG_SPLIT: 0
	.section	.text._ZN4vllm38concat_and_cache_mla_rope_fused_kernelIN3c104HalfEfLb1EffLNS_18Fp8KVCacheDataTypeE0EEEvPKlPT_S7_PKS6_PKT0_illlliPT3_S5_iiiiPKf,"axG",@progbits,_ZN4vllm38concat_and_cache_mla_rope_fused_kernelIN3c104HalfEfLb1EffLNS_18Fp8KVCacheDataTypeE0EEEvPKlPT_S7_PKS6_PKT0_illlliPT3_S5_iiiiPKf,comdat
	.protected	_ZN4vllm38concat_and_cache_mla_rope_fused_kernelIN3c104HalfEfLb1EffLNS_18Fp8KVCacheDataTypeE0EEEvPKlPT_S7_PKS6_PKT0_illlliPT3_S5_iiiiPKf ; -- Begin function _ZN4vllm38concat_and_cache_mla_rope_fused_kernelIN3c104HalfEfLb1EffLNS_18Fp8KVCacheDataTypeE0EEEvPKlPT_S7_PKS6_PKT0_illlliPT3_S5_iiiiPKf
	.globl	_ZN4vllm38concat_and_cache_mla_rope_fused_kernelIN3c104HalfEfLb1EffLNS_18Fp8KVCacheDataTypeE0EEEvPKlPT_S7_PKS6_PKT0_illlliPT3_S5_iiiiPKf
	.p2align	8
	.type	_ZN4vllm38concat_and_cache_mla_rope_fused_kernelIN3c104HalfEfLb1EffLNS_18Fp8KVCacheDataTypeE0EEEvPKlPT_S7_PKS6_PKT0_illlliPT3_S5_iiiiPKf,@function
_ZN4vllm38concat_and_cache_mla_rope_fused_kernelIN3c104HalfEfLb1EffLNS_18Fp8KVCacheDataTypeE0EEEvPKlPT_S7_PKS6_PKT0_illlliPT3_S5_iiiiPKf: ; @_ZN4vllm38concat_and_cache_mla_rope_fused_kernelIN3c104HalfEfLb1EffLNS_18Fp8KVCacheDataTypeE0EEEvPKlPT_S7_PKS6_PKT0_illlliPT3_S5_iiiiPKf
; %bb.0:
	s_load_dwordx2 s[2:3], s[6:7], 0x60
	s_mov_b32 s9, 0
	s_lshl_b64 s[0:1], s[8:9], 3
	s_waitcnt lgkmcnt(0)
	s_add_u32 s2, s2, s0
	s_addc_u32 s3, s3, s1
	s_load_dwordx2 s[28:29], s[2:3], 0x0
	s_waitcnt lgkmcnt(0)
	v_cmp_lt_i64_e64 s[2:3], s[28:29], 0
	s_and_b64 vcc, exec, s[2:3]
	s_cbranch_vccnz .LBB6_13
; %bb.1:
	s_load_dword s30, s[6:7], 0x28
	s_load_dwordx2 s[2:3], s[6:7], 0x0
	s_load_dwordx2 s[24:25], s[6:7], 0x20
	s_load_dwordx4 s[20:23], s[6:7], 0x10
	v_and_b32_e32 v2, 0x3ff, v0
	s_waitcnt lgkmcnt(0)
	s_ashr_i32 s9, s30, 31
	s_add_u32 s0, s2, s0
	s_addc_u32 s1, s3, s1
	s_load_dwordx2 s[10:11], s[0:1], 0x0
	s_load_dwordx8 s[12:19], s[6:7], 0x30
	s_load_dwordx2 s[2:3], s[6:7], 0x58
	s_load_dword s31, s[6:7], 0x50
	s_waitcnt lgkmcnt(0)
	s_mul_i32 s0, s10, s9
	s_mul_hi_u32 s1, s10, s30
	s_add_i32 s0, s1, s0
	s_mul_i32 s1, s11, s30
	s_add_i32 s1, s0, s1
	s_mul_i32 s0, s10, s30
	s_lshl_b64 s[26:27], s[0:1], 2
	s_add_u32 s9, s24, s26
	s_addc_u32 s33, s25, s27
	s_lshr_b32 s0, s30, 31
	s_add_i32 s30, s30, s0
	s_ashr_i32 s10, s30, 1
	s_mul_i32 s36, s10, s31
	v_cmp_gt_i32_e32 vcc, s36, v2
	s_and_saveexec_b64 s[0:1], vcc
	s_cbranch_execz .LBB6_4
; %bb.2:
	s_load_dwordx2 s[30:31], s[6:7], 0x8
	s_mul_i32 s13, s8, s13
	s_mul_hi_u32 s34, s8, s12
	s_add_i32 s13, s34, s13
	s_load_dword s34, s[6:7], 0x8c
	s_mul_i32 s12, s8, s12
	s_ashr_i32 s11, s10, 31
	s_lshl_b64 s[12:13], s[12:13], 1
	s_waitcnt lgkmcnt(0)
	s_add_u32 s37, s30, s12
	s_addc_u32 s35, s31, s13
	s_abs_i32 s38, s10
	v_cvt_f32_u32_e32 v1, s38
	s_sub_i32 s30, 0, s38
	s_and_b32 s39, s34, 0xffff
	v_mov_b32_e32 v6, s35
	v_rcp_iflag_f32_e32 v3, v1
	s_lshl_b64 s[34:35], s[10:11], 1
	s_mov_b64 s[12:13], 0
	v_mov_b32_e32 v1, s33
	v_mul_f32_e32 v3, 0x4f7ffffe, v3
	v_cvt_u32_f32_e32 v3, v3
	s_sub_i32 s40, 0, s10
	v_mov_b32_e32 v7, s35
	v_mul_lo_u32 v4, s30, v3
	v_mul_hi_u32 v4, v3, v4
	s_lshl_b64 s[30:31], s[10:11], 2
	v_add_u32_e32 v3, v3, v4
	v_mov_b32_e32 v5, s31
	v_mov_b32_e32 v4, v2
.LBB6_3:                                ; =>This Inner Loop Header: Depth=1
	v_sub_u32_e32 v9, 0, v4
	v_max_i32_e32 v9, v4, v9
	v_mul_hi_u32 v10, v9, v3
	v_mul_lo_u32 v11, v10, s38
	v_sub_u32_e32 v9, v9, v11
	v_add_u32_e32 v12, 1, v10
	v_cmp_le_u32_e32 vcc, s38, v9
	v_subrev_u32_e32 v11, s38, v9
	v_cndmask_b32_e32 v10, v10, v12, vcc
	v_cndmask_b32_e32 v9, v9, v11, vcc
	v_ashrrev_i32_e32 v8, 31, v4
	v_add_u32_e32 v11, 1, v10
	v_cmp_le_u32_e32 vcc, s38, v9
	v_xor_b32_e32 v8, s11, v8
	v_cndmask_b32_e32 v9, v10, v11, vcc
	v_xor_b32_e32 v9, v9, v8
	v_sub_u32_e32 v10, v9, v8
	v_mad_u64_u32 v[8:9], s[42:43], s40, v10, v[4:5]
	v_ashrrev_i32_e32 v12, 31, v10
	v_ashrrev_i32_e32 v9, 31, v8
	v_mul_lo_u32 v15, v12, s14
	v_lshlrev_b64 v[12:13], 2, v[8:9]
	v_add_co_u32_e32 v12, vcc, s9, v12
	v_mul_lo_u32 v14, v10, s15
	v_mad_u64_u32 v[10:11], s[42:43], v10, s14, 0
	v_addc_co_u32_e32 v13, vcc, v1, v13, vcc
	v_add3_u32 v11, v11, v14, v15
	v_add_co_u32_e32 v14, vcc, s30, v12
	v_lshlrev_b64 v[10:11], 1, v[10:11]
	v_addc_co_u32_e32 v15, vcc, v13, v5, vcc
	v_add_co_u32_e32 v10, vcc, s37, v10
	v_lshlrev_b64 v[8:9], 1, v[8:9]
	v_addc_co_u32_e32 v11, vcc, v6, v11, vcc
	global_load_dword v16, v[12:13], off
	global_load_dword v17, v[14:15], off
	v_add_co_u32_e32 v8, vcc, v10, v8
	v_addc_co_u32_e32 v9, vcc, v11, v9, vcc
	v_add_co_u32_e32 v10, vcc, s34, v8
	v_addc_co_u32_e32 v11, vcc, v9, v7, vcc
	global_load_ushort v12, v[8:9], off
	global_load_ushort v13, v[10:11], off
	v_add_u32_e32 v4, s39, v4
	v_cmp_le_i32_e32 vcc, s36, v4
	s_or_b64 s[12:13], vcc, s[12:13]
	s_waitcnt vmcnt(3)
	v_cvt_f16_f32_e32 v14, v16
	s_waitcnt vmcnt(2)
	v_cvt_f16_f32_e32 v15, v17
	s_waitcnt vmcnt(0)
	v_mul_f16_e32 v16, v13, v14
	v_mul_f16_e32 v13, v13, v15
	v_fma_f16 v15, v12, v15, v16
	v_fma_f16 v12, v12, v14, -v13
	global_store_short v[8:9], v12, off
	global_store_short v[10:11], v15, off
	s_andn2_b64 exec, exec, s[12:13]
	s_cbranch_execnz .LBB6_3
.LBB6_4:
	s_or_b64 exec, exec, s[0:1]
	s_load_dwordx4 s[12:15], s[6:7], 0x68
	s_waitcnt lgkmcnt(0)
	s_ashr_i32 s35, s15, 31
	s_mov_b32 s34, s15
	s_or_b64 s[0:1], s[28:29], s[34:35]
	s_mov_b32 s0, 0
	s_cmp_lg_u64 s[0:1], 0
	s_cbranch_scc0 .LBB6_14
; %bb.5:
	s_add_u32 s0, s34, s35
	s_mov_b32 s30, s35
	s_mov_b32 s31, s35
	s_addc_u32 s1, s35, s35
	s_xor_b64 s[38:39], s[0:1], s[30:31]
	v_cvt_f32_u32_e32 v1, s38
	v_cvt_f32_u32_e32 v3, s39
	s_sub_u32 s0, 0, s38
	s_subb_u32 s1, 0, s39
	v_madmk_f32 v1, v3, 0x4f800000, v1
	v_rcp_f32_e32 v1, v1
	v_mul_f32_e32 v1, 0x5f7ffffc, v1
	v_mul_f32_e32 v3, 0x2f800000, v1
	v_trunc_f32_e32 v3, v3
	v_madmk_f32 v1, v3, 0xcf800000, v1
	v_cvt_u32_f32_e32 v3, v3
	v_cvt_u32_f32_e32 v1, v1
	v_readfirstlane_b32 s11, v3
	v_readfirstlane_b32 s15, v1
	s_mul_i32 s40, s0, s11
	s_mul_hi_u32 s42, s0, s15
	s_mul_i32 s41, s1, s15
	s_add_i32 s40, s42, s40
	s_add_i32 s40, s40, s41
	s_mul_i32 s43, s0, s15
	s_mul_hi_u32 s41, s15, s40
	s_mul_i32 s42, s15, s40
	s_mul_hi_u32 s15, s15, s43
	s_add_u32 s15, s15, s42
	s_addc_u32 s41, 0, s41
	s_mul_hi_u32 s44, s11, s43
	s_mul_i32 s43, s11, s43
	s_add_u32 s15, s15, s43
	s_mul_hi_u32 s42, s11, s40
	s_addc_u32 s15, s41, s44
	s_addc_u32 s41, s42, 0
	s_mul_i32 s40, s11, s40
	s_add_u32 s15, s15, s40
	s_addc_u32 s40, 0, s41
	v_add_co_u32_e32 v1, vcc, s15, v1
	s_cmp_lg_u64 vcc, 0
	s_addc_u32 s11, s11, s40
	v_readfirstlane_b32 s40, v1
	s_mul_i32 s15, s0, s11
	s_mul_hi_u32 s41, s0, s40
	s_add_i32 s15, s41, s15
	s_mul_i32 s1, s1, s40
	s_add_i32 s15, s15, s1
	s_mul_i32 s0, s0, s40
	s_mul_hi_u32 s41, s11, s0
	s_mul_i32 s42, s11, s0
	s_mul_i32 s44, s40, s15
	s_mul_hi_u32 s0, s40, s0
	s_mul_hi_u32 s43, s40, s15
	s_add_u32 s0, s0, s44
	s_addc_u32 s40, 0, s43
	s_add_u32 s0, s0, s42
	s_mul_hi_u32 s1, s11, s15
	s_addc_u32 s0, s40, s41
	s_addc_u32 s1, s1, 0
	s_mul_i32 s15, s11, s15
	s_add_u32 s0, s0, s15
	s_addc_u32 s1, 0, s1
	v_add_co_u32_e32 v1, vcc, s0, v1
	s_cmp_lg_u64 vcc, 0
	s_addc_u32 s11, s11, s1
	s_ashr_i32 s40, s29, 31
	s_add_u32 s0, s28, s40
	s_mov_b32 s41, s40
	s_addc_u32 s1, s29, s40
	s_xor_b64 s[42:43], s[0:1], s[40:41]
	v_readfirstlane_b32 s15, v1
	s_mul_i32 s1, s42, s11
	s_mul_hi_u32 s44, s42, s15
	s_mul_hi_u32 s0, s42, s11
	s_add_u32 s1, s44, s1
	s_addc_u32 s0, 0, s0
	s_mul_hi_u32 s45, s43, s15
	s_mul_i32 s15, s43, s15
	s_add_u32 s1, s1, s15
	s_mul_hi_u32 s44, s43, s11
	s_addc_u32 s0, s0, s45
	s_addc_u32 s1, s44, 0
	s_mul_i32 s11, s43, s11
	s_add_u32 s11, s0, s11
	s_addc_u32 s15, 0, s1
	s_mul_i32 s0, s38, s15
	s_mul_hi_u32 s1, s38, s11
	s_add_i32 s0, s1, s0
	s_mul_i32 s1, s39, s11
	s_add_i32 s44, s0, s1
	s_mul_i32 s1, s38, s11
	v_mov_b32_e32 v1, s1
	s_sub_i32 s0, s43, s44
	v_sub_co_u32_e32 v1, vcc, s42, v1
	s_cmp_lg_u64 vcc, 0
	s_subb_u32 s42, s0, s39
	v_subrev_co_u32_e64 v3, s[0:1], s38, v1
	s_cmp_lg_u64 s[0:1], 0
	s_subb_u32 s0, s42, 0
	s_cmp_ge_u32 s0, s39
	v_readfirstlane_b32 s42, v3
	s_cselect_b32 s1, -1, 0
	s_cmp_ge_u32 s42, s38
	s_cselect_b32 s42, -1, 0
	s_cmp_eq_u32 s0, s39
	s_cselect_b32 s0, s42, s1
	s_add_u32 s1, s11, 1
	s_addc_u32 s42, s15, 0
	s_add_u32 s45, s11, 2
	s_addc_u32 s46, s15, 0
	s_cmp_lg_u32 s0, 0
	s_cselect_b32 s0, s45, s1
	s_cselect_b32 s1, s46, s42
	s_cmp_lg_u64 vcc, 0
	s_subb_u32 s42, s43, s44
	s_cmp_ge_u32 s42, s39
	v_readfirstlane_b32 s44, v1
	s_cselect_b32 s43, -1, 0
	s_cmp_ge_u32 s44, s38
	s_cselect_b32 s38, -1, 0
	s_cmp_eq_u32 s42, s39
	s_cselect_b32 s38, s38, s43
	s_cmp_lg_u32 s38, 0
	s_cselect_b32 s1, s1, s15
	s_cselect_b32 s0, s0, s11
	s_xor_b64 s[30:31], s[40:41], s[30:31]
	s_xor_b64 s[0:1], s[0:1], s[30:31]
	s_sub_u32 s30, s0, s30
	s_subb_u32 s31, s1, s31
	s_cbranch_execnz .LBB6_7
.LBB6_6:
	v_cvt_f32_u32_e32 v1, s34
	s_sub_i32 s0, 0, s34
	s_mov_b32 s31, 0
	v_rcp_iflag_f32_e32 v1, v1
	v_mul_f32_e32 v1, 0x4f7ffffe, v1
	v_cvt_u32_f32_e32 v1, v1
	v_readfirstlane_b32 s1, v1
	s_mul_i32 s0, s0, s1
	s_mul_hi_u32 s0, s1, s0
	s_add_i32 s1, s1, s0
	s_mul_hi_u32 s0, s28, s1
	s_mul_i32 s11, s0, s34
	s_sub_i32 s11, s28, s11
	s_add_i32 s1, s0, 1
	s_sub_i32 s15, s11, s34
	s_cmp_ge_u32 s11, s34
	s_cselect_b32 s0, s1, s0
	s_cselect_b32 s11, s15, s11
	s_add_i32 s1, s0, 1
	s_cmp_ge_u32 s11, s34
	s_cselect_b32 s30, s1, s0
.LBB6_7:
	s_mul_i32 s0, s30, s35
	s_mul_hi_u32 s1, s30, s34
	s_add_i32 s0, s1, s0
	s_mul_i32 s1, s31, s34
	s_add_i32 s0, s0, s1
	s_mul_i32 s1, s30, s34
	s_sub_u32 s38, s28, s1
	s_subb_u32 s0, s29, s0
	v_cmp_gt_i32_e32 vcc, s10, v2
	s_mul_hi_u32 s40, s30, s12
	s_mul_i32 s41, s31, s12
	s_mul_i32 s34, s30, s12
	s_mul_hi_u32 s39, s38, s13
	s_mul_i32 s31, s0, s13
	s_mul_i32 s28, s38, s13
	s_and_saveexec_b64 s[36:37], vcc
	s_cbranch_execz .LBB6_10
; %bb.8:
	s_load_dwordx2 s[0:1], s[4:5], 0x4
	s_ashr_i32 s4, s12, 31
	v_bfe_u32 v1, v0, 10, 10
	s_ashr_i32 s11, s10, 31
	v_lshlrev_b32_e32 v4, 1, v2
	s_waitcnt lgkmcnt(0)
	s_lshr_b32 s0, s0, 16
	s_mul_i32 s0, s0, s1
	v_mul_lo_u32 v3, s0, v2
	s_mul_i32 s0, s30, s4
	s_add_i32 s0, s40, s0
	s_add_i32 s35, s0, s41
	s_ashr_i32 s0, s13, 31
	s_mul_i32 s0, s38, s0
	s_add_i32 s0, s39, s0
	s_add_i32 s29, s0, s31
	v_mad_u32_u24 v1, v1, s1, v3
	s_lshl_b64 s[0:1], s[34:35], 2
	s_lshl_b64 s[4:5], s[28:29], 2
	s_add_u32 s43, s0, s4
	s_addc_u32 s46, s1, s5
	s_load_dword s35, s[6:7], 0x8c
	s_add_u32 s4, s43, s2
	s_addc_u32 s5, s46, s3
	s_ashr_i32 s15, s14, 31
	s_lshl_b64 s[0:1], s[14:15], 2
	s_add_u32 s15, s4, s0
	s_addc_u32 s29, s5, s1
	s_waitcnt lgkmcnt(0)
	s_and_b32 s35, s35, 0xffff
	s_lshl_b32 s42, s35, 2
	s_lshl_b64 s[44:45], s[10:11], 2
	s_add_u32 s4, s26, s44
	s_addc_u32 s5, s27, s45
	s_add_u32 s24, s24, s4
	s_addc_u32 s25, s25, s5
	s_lshl_b64 s[4:5], s[10:11], 1
	s_mul_i32 s11, s17, s8
	s_mul_hi_u32 s17, s16, s8
	s_add_i32 s17, s17, s11
	s_mul_i32 s16, s16, s8
	s_lshl_b64 s[16:17], s[16:17], 1
	s_add_u32 s11, s20, s16
	s_addc_u32 s16, s21, s17
	v_add_co_u32_e32 v4, vcc, s11, v4
	s_lshl_b32 s11, s35, 1
	v_mov_b32_e32 v5, s16
	s_add_u32 s16, s43, s44
	s_addc_u32 s17, s46, s45
	s_add_u32 s0, s16, s0
	v_bfe_u32 v0, v0, 20, 10
	s_addc_u32 s1, s17, s1
	v_add_lshl_u32 v1, v1, v0, 1
	s_mov_b32 s47, 0
	s_add_u32 s20, s2, s0
	v_add_u32_e32 v3, 0x800, v1
	v_lshlrev_b32_e32 v0, 2, v2
	v_addc_co_u32_e32 v5, vcc, 0, v5, vcc
	s_addc_u32 s21, s3, s1
	s_mov_b64 s[16:17], 0
	v_mov_b32_e32 v6, s5
	v_mov_b32_e32 v7, s47
	;; [unrolled: 1-line block ×3, first 2 shown]
.LBB6_9:                                ; =>This Inner Loop Header: Depth=1
	v_add_co_u32_e64 v12, s[0:1], s4, v4
	v_mov_b32_e32 v11, s25
	v_add_co_u32_e32 v10, vcc, s24, v0
	v_addc_co_u32_e64 v13, s[0:1], v5, v6, s[0:1]
	v_mov_b32_e32 v9, s33
	v_add_co_u32_e64 v14, s[0:1], s9, v0
	v_addc_co_u32_e32 v11, vcc, 0, v11, vcc
	global_load_ushort v16, v[4:5], off
	v_addc_co_u32_e64 v15, s[0:1], 0, v9, s[0:1]
	global_load_dword v9, v[10:11], off
	global_load_dword v17, v[14:15], off
	global_load_ushort v18, v[12:13], off
	s_add_u32 s9, s9, s42
	v_mov_b32_e32 v11, s29
	v_mov_b32_e32 v19, s21
	v_add_co_u32_e32 v10, vcc, s20, v0
	v_add_co_u32_e64 v14, s[0:1], s15, v0
	s_addc_u32 s33, s33, 0
	v_addc_co_u32_e64 v15, s[0:1], 0, v11, s[0:1]
	v_addc_co_u32_e32 v11, vcc, 0, v19, vcc
	s_add_u32 s24, s24, s42
	s_addc_u32 s25, s25, 0
	s_add_u32 s20, s20, s42
	s_addc_u32 s21, s21, 0
	v_add_u32_e32 v8, s35, v8
	s_add_u32 s15, s15, s42
	v_cmp_le_i32_e32 vcc, s10, v8
	s_addc_u32 s29, s29, 0
	s_or_b64 s[16:17], vcc, s[16:17]
	s_waitcnt vmcnt(2)
	v_cvt_f16_f32_e32 v9, v9
	s_waitcnt vmcnt(1)
	v_cvt_f16_f32_e32 v17, v17
	s_waitcnt vmcnt(0)
	v_mul_f16_e32 v19, v18, v9
	v_mul_f16_e32 v18, v18, v17
	v_fma_f16 v17, v16, v17, -v19
	v_fma_f16 v9, v16, v9, v18
	ds_write_b16 v3, v17
	ds_write_b16 v1, v9
	global_store_short v[4:5], v17, off
	global_store_short v[12:13], v9, off
	ds_read_b32 v9, v3
	ds_read_b32 v12, v1
	v_add_co_u32_e32 v4, vcc, s11, v4
	v_addc_co_u32_e32 v5, vcc, v5, v7, vcc
	s_waitcnt lgkmcnt(1)
	global_store_dword v[14:15], v9, off
	s_waitcnt lgkmcnt(0)
	global_store_dword v[10:11], v12, off
	s_andn2_b64 exec, exec, s[16:17]
	s_cbranch_execnz .LBB6_9
.LBB6_10:
	s_or_b64 exec, exec, s[36:37]
	v_cmp_gt_i32_e32 vcc, s14, v2
	s_and_saveexec_b64 s[0:1], vcc
	s_cbranch_execz .LBB6_13
; %bb.11:
	s_mul_i32 s0, s8, s19
	s_mul_hi_u32 s1, s8, s18
	s_add_i32 s1, s1, s0
	s_mul_i32 s0, s8, s18
	s_lshl_b64 s[0:1], s[0:1], 1
	s_add_u32 s4, s22, s0
	s_addc_u32 s5, s23, s1
	s_ashr_i32 s0, s12, 31
	s_mul_i32 s0, s30, s0
	s_add_i32 s0, s40, s0
	s_add_i32 s35, s0, s41
	s_lshl_b64 s[0:1], s[34:35], 2
	s_add_u32 s2, s2, s0
	s_addc_u32 s3, s3, s1
	s_ashr_i32 s0, s13, 31
	s_mul_i32 s38, s38, s0
	s_add_i32 s0, s39, s38
	s_load_dword s6, s[6:7], 0x8c
	s_add_i32 s29, s0, s31
	s_lshl_b64 s[0:1], s[28:29], 2
	s_add_u32 s2, s2, s0
	s_addc_u32 s7, s3, s1
	s_waitcnt lgkmcnt(0)
	s_and_b32 s3, s6, 0xffff
	s_mov_b64 s[0:1], 0
	v_mov_b32_e32 v0, s5
	v_mov_b32_e32 v1, s7
.LBB6_12:                               ; =>This Inner Loop Header: Depth=1
	v_ashrrev_i32_e32 v3, 31, v2
	v_lshlrev_b64 v[4:5], 1, v[2:3]
	v_add_co_u32_e32 v4, vcc, s4, v4
	v_addc_co_u32_e32 v5, vcc, v0, v5, vcc
	global_load_dword v6, v[4:5], off
	v_lshlrev_b64 v[4:5], 2, v[2:3]
	v_add_co_u32_e32 v4, vcc, s2, v4
	v_addc_co_u32_e32 v5, vcc, v1, v5, vcc
	v_add_u32_e32 v2, s3, v2
	v_cmp_le_i32_e32 vcc, s14, v2
	s_or_b64 s[0:1], vcc, s[0:1]
	s_waitcnt vmcnt(0)
	global_store_dword v[4:5], v6, off
	s_andn2_b64 exec, exec, s[0:1]
	s_cbranch_execnz .LBB6_12
.LBB6_13:
	s_endpgm
.LBB6_14:
                                        ; implicit-def: $sgpr30_sgpr31
	s_branch .LBB6_6
	.section	.rodata,"a",@progbits
	.p2align	6, 0x0
	.amdhsa_kernel _ZN4vllm38concat_and_cache_mla_rope_fused_kernelIN3c104HalfEfLb1EffLNS_18Fp8KVCacheDataTypeE0EEEvPKlPT_S7_PKS6_PKT0_illlliPT3_S5_iiiiPKf
		.amdhsa_group_segment_fixed_size 4096
		.amdhsa_private_segment_fixed_size 0
		.amdhsa_kernarg_size 384
		.amdhsa_user_sgpr_count 8
		.amdhsa_user_sgpr_private_segment_buffer 1
		.amdhsa_user_sgpr_dispatch_ptr 1
		.amdhsa_user_sgpr_queue_ptr 0
		.amdhsa_user_sgpr_kernarg_segment_ptr 1
		.amdhsa_user_sgpr_dispatch_id 0
		.amdhsa_user_sgpr_flat_scratch_init 0
		.amdhsa_user_sgpr_kernarg_preload_length 0
		.amdhsa_user_sgpr_kernarg_preload_offset 0
		.amdhsa_user_sgpr_private_segment_size 0
		.amdhsa_uses_dynamic_stack 0
		.amdhsa_system_sgpr_private_segment_wavefront_offset 0
		.amdhsa_system_sgpr_workgroup_id_x 1
		.amdhsa_system_sgpr_workgroup_id_y 0
		.amdhsa_system_sgpr_workgroup_id_z 0
		.amdhsa_system_sgpr_workgroup_info 0
		.amdhsa_system_vgpr_workitem_id 2
		.amdhsa_next_free_vgpr 20
		.amdhsa_next_free_sgpr 48
		.amdhsa_accum_offset 20
		.amdhsa_reserve_vcc 1
		.amdhsa_reserve_flat_scratch 0
		.amdhsa_float_round_mode_32 0
		.amdhsa_float_round_mode_16_64 0
		.amdhsa_float_denorm_mode_32 3
		.amdhsa_float_denorm_mode_16_64 3
		.amdhsa_dx10_clamp 1
		.amdhsa_ieee_mode 1
		.amdhsa_fp16_overflow 0
		.amdhsa_tg_split 0
		.amdhsa_exception_fp_ieee_invalid_op 0
		.amdhsa_exception_fp_denorm_src 0
		.amdhsa_exception_fp_ieee_div_zero 0
		.amdhsa_exception_fp_ieee_overflow 0
		.amdhsa_exception_fp_ieee_underflow 0
		.amdhsa_exception_fp_ieee_inexact 0
		.amdhsa_exception_int_div_zero 0
	.end_amdhsa_kernel
	.section	.text._ZN4vllm38concat_and_cache_mla_rope_fused_kernelIN3c104HalfEfLb1EffLNS_18Fp8KVCacheDataTypeE0EEEvPKlPT_S7_PKS6_PKT0_illlliPT3_S5_iiiiPKf,"axG",@progbits,_ZN4vllm38concat_and_cache_mla_rope_fused_kernelIN3c104HalfEfLb1EffLNS_18Fp8KVCacheDataTypeE0EEEvPKlPT_S7_PKS6_PKT0_illlliPT3_S5_iiiiPKf,comdat
.Lfunc_end6:
	.size	_ZN4vllm38concat_and_cache_mla_rope_fused_kernelIN3c104HalfEfLb1EffLNS_18Fp8KVCacheDataTypeE0EEEvPKlPT_S7_PKS6_PKT0_illlliPT3_S5_iiiiPKf, .Lfunc_end6-_ZN4vllm38concat_and_cache_mla_rope_fused_kernelIN3c104HalfEfLb1EffLNS_18Fp8KVCacheDataTypeE0EEEvPKlPT_S7_PKS6_PKT0_illlliPT3_S5_iiiiPKf
                                        ; -- End function
	.section	.AMDGPU.csdata,"",@progbits
; Kernel info:
; codeLenInByte = 2196
; NumSgprs: 52
; NumVgprs: 20
; NumAgprs: 0
; TotalNumVgprs: 20
; ScratchSize: 0
; MemoryBound: 0
; FloatMode: 240
; IeeeMode: 1
; LDSByteSize: 4096 bytes/workgroup (compile time only)
; SGPRBlocks: 6
; VGPRBlocks: 2
; NumSGPRsForWavesPerEU: 52
; NumVGPRsForWavesPerEU: 20
; AccumOffset: 20
; Occupancy: 8
; WaveLimiterHint : 1
; COMPUTE_PGM_RSRC2:SCRATCH_EN: 0
; COMPUTE_PGM_RSRC2:USER_SGPR: 8
; COMPUTE_PGM_RSRC2:TRAP_HANDLER: 0
; COMPUTE_PGM_RSRC2:TGID_X_EN: 1
; COMPUTE_PGM_RSRC2:TGID_Y_EN: 0
; COMPUTE_PGM_RSRC2:TGID_Z_EN: 0
; COMPUTE_PGM_RSRC2:TIDIG_COMP_CNT: 2
; COMPUTE_PGM_RSRC3_GFX90A:ACCUM_OFFSET: 4
; COMPUTE_PGM_RSRC3_GFX90A:TG_SPLIT: 0
	.section	.text._ZN4vllm38concat_and_cache_mla_rope_fused_kernelIN3c104HalfEfLb0EffLNS_18Fp8KVCacheDataTypeE0EEEvPKlPT_S7_PKS6_PKT0_illlliPT3_S5_iiiiPKf,"axG",@progbits,_ZN4vllm38concat_and_cache_mla_rope_fused_kernelIN3c104HalfEfLb0EffLNS_18Fp8KVCacheDataTypeE0EEEvPKlPT_S7_PKS6_PKT0_illlliPT3_S5_iiiiPKf,comdat
	.protected	_ZN4vllm38concat_and_cache_mla_rope_fused_kernelIN3c104HalfEfLb0EffLNS_18Fp8KVCacheDataTypeE0EEEvPKlPT_S7_PKS6_PKT0_illlliPT3_S5_iiiiPKf ; -- Begin function _ZN4vllm38concat_and_cache_mla_rope_fused_kernelIN3c104HalfEfLb0EffLNS_18Fp8KVCacheDataTypeE0EEEvPKlPT_S7_PKS6_PKT0_illlliPT3_S5_iiiiPKf
	.globl	_ZN4vllm38concat_and_cache_mla_rope_fused_kernelIN3c104HalfEfLb0EffLNS_18Fp8KVCacheDataTypeE0EEEvPKlPT_S7_PKS6_PKT0_illlliPT3_S5_iiiiPKf
	.p2align	8
	.type	_ZN4vllm38concat_and_cache_mla_rope_fused_kernelIN3c104HalfEfLb0EffLNS_18Fp8KVCacheDataTypeE0EEEvPKlPT_S7_PKS6_PKT0_illlliPT3_S5_iiiiPKf,@function
_ZN4vllm38concat_and_cache_mla_rope_fused_kernelIN3c104HalfEfLb0EffLNS_18Fp8KVCacheDataTypeE0EEEvPKlPT_S7_PKS6_PKT0_illlliPT3_S5_iiiiPKf: ; @_ZN4vllm38concat_and_cache_mla_rope_fused_kernelIN3c104HalfEfLb0EffLNS_18Fp8KVCacheDataTypeE0EEEvPKlPT_S7_PKS6_PKT0_illlliPT3_S5_iiiiPKf
; %bb.0:
	s_load_dwordx2 s[2:3], s[6:7], 0x60
	s_mov_b32 s9, 0
	s_lshl_b64 s[0:1], s[8:9], 3
	s_waitcnt lgkmcnt(0)
	s_add_u32 s2, s2, s0
	s_addc_u32 s3, s3, s1
	s_load_dwordx2 s[28:29], s[2:3], 0x0
	s_waitcnt lgkmcnt(0)
	v_cmp_lt_i64_e64 s[2:3], s[28:29], 0
	s_and_b64 vcc, exec, s[2:3]
	s_cbranch_vccnz .LBB7_13
; %bb.1:
	s_load_dword s9, s[6:7], 0x28
	s_load_dwordx2 s[10:11], s[6:7], 0x0
	s_load_dwordx2 s[2:3], s[6:7], 0x20
	s_load_dwordx4 s[20:23], s[6:7], 0x10
	v_and_b32_e32 v2, 0x3ff, v0
	s_waitcnt lgkmcnt(0)
	s_ashr_i32 s26, s9, 31
	s_add_u32 s0, s10, s0
	s_addc_u32 s1, s11, s1
	s_load_dwordx2 s[24:25], s[0:1], 0x0
	s_load_dwordx8 s[12:19], s[6:7], 0x30
	s_load_dwordx2 s[10:11], s[6:7], 0x58
	s_load_dword s30, s[6:7], 0x50
	s_waitcnt lgkmcnt(0)
	s_mul_i32 s0, s24, s26
	s_mul_hi_u32 s1, s24, s9
	s_add_i32 s0, s1, s0
	s_mul_i32 s1, s25, s9
	s_add_i32 s27, s0, s1
	s_lshr_b32 s0, s9, 31
	s_mul_i32 s26, s24, s9
	s_add_i32 s9, s9, s0
	s_ashr_i32 s24, s9, 1
	s_mul_i32 s9, s24, s30
	v_cmp_gt_i32_e32 vcc, s9, v2
	s_and_saveexec_b64 s[0:1], vcc
	s_cbranch_execz .LBB7_4
; %bb.2:
	s_lshl_b64 s[30:31], s[26:27], 2
	s_add_u32 s33, s2, s30
	s_addc_u32 s40, s3, s31
	s_load_dwordx2 s[30:31], s[6:7], 0x8
	s_load_dword s36, s[6:7], 0x8c
	s_mul_i32 s13, s8, s13
	s_mul_hi_u32 s34, s8, s12
	s_add_i32 s13, s34, s13
	s_mul_i32 s12, s8, s12
	s_ashr_i32 s25, s24, 31
	s_lshl_b64 s[12:13], s[12:13], 1
	s_waitcnt lgkmcnt(0)
	s_add_u32 s34, s30, s12
	s_addc_u32 s41, s31, s13
	s_abs_i32 s35, s24
	v_cvt_f32_u32_e32 v1, s35
	s_sub_i32 s12, 0, s35
	s_and_b32 s36, s36, 0xffff
	s_lshl_b64 s[30:31], s[24:25], 2
	v_rcp_iflag_f32_e32 v1, v1
	s_sub_i32 s37, 0, s24
	v_lshlrev_b32_e32 v4, 1, v2
	s_lshl_b32 s39, s36, 1
	v_mul_f32_e32 v1, 0x4f7ffffe, v1
	v_cvt_u32_f32_e32 v1, v1
	v_mov_b32_e32 v5, s31
	v_mov_b32_e32 v7, s41
	;; [unrolled: 1-line block ×3, first 2 shown]
	v_mul_lo_u32 v3, s12, v1
	v_mul_hi_u32 v3, v1, v3
	s_lshl_b32 s12, s24, 1
	v_add_u32_e32 v1, v1, v3
	s_sub_i32 s38, 0, s12
	s_mov_b64 s[12:13], 0
	v_mov_b32_e32 v3, s40
.LBB7_3:                                ; =>This Inner Loop Header: Depth=1
	v_sub_u32_e32 v9, 0, v6
	v_max_i32_e32 v9, v6, v9
	v_mul_hi_u32 v10, v9, v1
	v_mul_lo_u32 v11, v10, s35
	v_sub_u32_e32 v9, v9, v11
	v_add_u32_e32 v12, 1, v10
	v_cmp_le_u32_e32 vcc, s35, v9
	v_subrev_u32_e32 v11, s35, v9
	v_cndmask_b32_e32 v10, v10, v12, vcc
	v_cndmask_b32_e32 v9, v9, v11, vcc
	v_ashrrev_i32_e32 v8, 31, v6
	v_add_u32_e32 v11, 1, v10
	v_cmp_le_u32_e32 vcc, s35, v9
	v_xor_b32_e32 v8, s25, v8
	v_cndmask_b32_e32 v9, v10, v11, vcc
	v_xor_b32_e32 v9, v9, v8
	v_sub_u32_e32 v12, v9, v8
	v_mad_u64_u32 v[8:9], s[40:41], s37, v12, v[6:7]
	v_ashrrev_i32_e32 v9, 31, v8
	v_lshlrev_b64 v[8:9], 2, v[8:9]
	v_ashrrev_i32_e32 v14, 31, v12
	v_add_co_u32_e32 v8, vcc, s33, v8
	v_mul_lo_u32 v15, v12, s15
	v_mad_u64_u32 v[10:11], s[40:41], v12, s14, 0
	v_mul_lo_u32 v14, v14, s14
	v_addc_co_u32_e32 v9, vcc, v3, v9, vcc
	v_add3_u32 v11, v11, v15, v14
	v_add_co_u32_e32 v14, vcc, s30, v8
	v_mad_u64_u32 v[12:13], s[40:41], s38, v12, v[4:5]
	v_lshlrev_b64 v[10:11], 1, v[10:11]
	v_addc_co_u32_e32 v15, vcc, v9, v5, vcc
	v_ashrrev_i32_e32 v13, 31, v12
	v_add_co_u32_e32 v10, vcc, s34, v10
	global_load_dword v16, v[8:9], off
	global_load_dword v17, v[14:15], off
	v_lshlrev_b64 v[12:13], 1, v[12:13]
	v_addc_co_u32_e32 v11, vcc, v7, v11, vcc
	v_add_co_u32_e32 v8, vcc, v10, v12
	v_addc_co_u32_e32 v9, vcc, v11, v13, vcc
	global_load_dword v10, v[8:9], off
	v_add_u32_e32 v6, s36, v6
	v_cmp_le_i32_e32 vcc, s9, v6
	v_add_u32_e32 v4, s39, v4
	s_or_b64 s[12:13], vcc, s[12:13]
	s_waitcnt vmcnt(2)
	v_cvt_f16_f32_e32 v11, v16
	s_waitcnt vmcnt(1)
	v_cvt_f16_f32_e32 v12, v17
	s_waitcnt vmcnt(0)
	v_mul_f16_sdwa v13, v10, v11 dst_sel:DWORD dst_unused:UNUSED_PAD src0_sel:WORD_1 src1_sel:DWORD
	v_mul_f16_sdwa v14, v10, v12 dst_sel:DWORD dst_unused:UNUSED_PAD src0_sel:WORD_1 src1_sel:DWORD
	v_fma_f16 v12, v10, v12, v13
	v_fma_f16 v10, v10, v11, -v14
	v_pack_b32_f16 v10, v10, v12
	global_store_dword v[8:9], v10, off
	s_andn2_b64 exec, exec, s[12:13]
	s_cbranch_execnz .LBB7_3
.LBB7_4:
	s_or_b64 exec, exec, s[0:1]
	s_load_dwordx4 s[12:15], s[6:7], 0x68
	s_waitcnt lgkmcnt(0)
	s_ashr_i32 s35, s15, 31
	s_mov_b32 s34, s15
	s_or_b64 s[0:1], s[28:29], s[34:35]
	s_mov_b32 s0, 0
	s_cmp_lg_u64 s[0:1], 0
	s_cbranch_scc0 .LBB7_14
; %bb.5:
	s_add_u32 s0, s34, s35
	s_mov_b32 s30, s35
	s_mov_b32 s31, s35
	s_addc_u32 s1, s35, s35
	s_xor_b64 s[38:39], s[0:1], s[30:31]
	v_cvt_f32_u32_e32 v1, s38
	v_cvt_f32_u32_e32 v3, s39
	s_sub_u32 s0, 0, s38
	s_subb_u32 s1, 0, s39
	v_madmk_f32 v1, v3, 0x4f800000, v1
	v_rcp_f32_e32 v1, v1
	v_mul_f32_e32 v1, 0x5f7ffffc, v1
	v_mul_f32_e32 v3, 0x2f800000, v1
	v_trunc_f32_e32 v3, v3
	v_madmk_f32 v1, v3, 0xcf800000, v1
	v_cvt_u32_f32_e32 v3, v3
	v_cvt_u32_f32_e32 v1, v1
	v_readfirstlane_b32 s9, v3
	v_readfirstlane_b32 s15, v1
	s_mul_i32 s25, s0, s9
	s_mul_hi_u32 s40, s0, s15
	s_mul_i32 s33, s1, s15
	s_add_i32 s25, s40, s25
	s_add_i32 s25, s25, s33
	s_mul_i32 s41, s0, s15
	s_mul_hi_u32 s33, s15, s25
	s_mul_i32 s40, s15, s25
	s_mul_hi_u32 s15, s15, s41
	s_add_u32 s15, s15, s40
	s_addc_u32 s33, 0, s33
	s_mul_hi_u32 s42, s9, s41
	s_mul_i32 s41, s9, s41
	s_add_u32 s15, s15, s41
	s_mul_hi_u32 s40, s9, s25
	s_addc_u32 s15, s33, s42
	s_addc_u32 s33, s40, 0
	s_mul_i32 s25, s9, s25
	s_add_u32 s15, s15, s25
	s_addc_u32 s25, 0, s33
	v_add_co_u32_e32 v1, vcc, s15, v1
	s_cmp_lg_u64 vcc, 0
	s_addc_u32 s9, s9, s25
	v_readfirstlane_b32 s25, v1
	s_mul_i32 s15, s0, s9
	s_mul_hi_u32 s33, s0, s25
	s_add_i32 s15, s33, s15
	s_mul_i32 s1, s1, s25
	s_add_i32 s15, s15, s1
	s_mul_i32 s0, s0, s25
	s_mul_hi_u32 s33, s9, s0
	s_mul_i32 s40, s9, s0
	s_mul_i32 s42, s25, s15
	s_mul_hi_u32 s0, s25, s0
	s_mul_hi_u32 s41, s25, s15
	s_add_u32 s0, s0, s42
	s_addc_u32 s25, 0, s41
	s_add_u32 s0, s0, s40
	s_mul_hi_u32 s1, s9, s15
	s_addc_u32 s0, s25, s33
	s_addc_u32 s1, s1, 0
	s_mul_i32 s15, s9, s15
	s_add_u32 s0, s0, s15
	s_addc_u32 s1, 0, s1
	v_add_co_u32_e32 v1, vcc, s0, v1
	s_cmp_lg_u64 vcc, 0
	s_addc_u32 s9, s9, s1
	s_ashr_i32 s40, s29, 31
	s_add_u32 s0, s28, s40
	s_mov_b32 s41, s40
	s_addc_u32 s1, s29, s40
	s_xor_b64 s[42:43], s[0:1], s[40:41]
	v_readfirstlane_b32 s15, v1
	s_mul_i32 s1, s42, s9
	s_mul_hi_u32 s25, s42, s15
	s_mul_hi_u32 s0, s42, s9
	s_add_u32 s1, s25, s1
	s_addc_u32 s0, 0, s0
	s_mul_hi_u32 s33, s43, s15
	s_mul_i32 s15, s43, s15
	s_add_u32 s1, s1, s15
	s_mul_hi_u32 s25, s43, s9
	s_addc_u32 s0, s0, s33
	s_addc_u32 s1, s25, 0
	s_mul_i32 s9, s43, s9
	s_add_u32 s9, s0, s9
	s_addc_u32 s15, 0, s1
	s_mul_i32 s0, s38, s15
	s_mul_hi_u32 s1, s38, s9
	s_add_i32 s0, s1, s0
	s_mul_i32 s1, s39, s9
	s_add_i32 s25, s0, s1
	s_mul_i32 s1, s38, s9
	v_mov_b32_e32 v1, s1
	s_sub_i32 s0, s43, s25
	v_sub_co_u32_e32 v1, vcc, s42, v1
	s_cmp_lg_u64 vcc, 0
	s_subb_u32 s33, s0, s39
	v_subrev_co_u32_e64 v3, s[0:1], s38, v1
	s_cmp_lg_u64 s[0:1], 0
	s_subb_u32 s0, s33, 0
	s_cmp_ge_u32 s0, s39
	v_readfirstlane_b32 s33, v3
	s_cselect_b32 s1, -1, 0
	s_cmp_ge_u32 s33, s38
	s_cselect_b32 s33, -1, 0
	s_cmp_eq_u32 s0, s39
	s_cselect_b32 s0, s33, s1
	s_add_u32 s1, s9, 1
	s_addc_u32 s33, s15, 0
	s_add_u32 s42, s9, 2
	s_addc_u32 s44, s15, 0
	s_cmp_lg_u32 s0, 0
	s_cselect_b32 s0, s42, s1
	s_cselect_b32 s1, s44, s33
	s_cmp_lg_u64 vcc, 0
	s_subb_u32 s25, s43, s25
	s_cmp_ge_u32 s25, s39
	v_readfirstlane_b32 s42, v1
	s_cselect_b32 s33, -1, 0
	s_cmp_ge_u32 s42, s38
	s_cselect_b32 s38, -1, 0
	s_cmp_eq_u32 s25, s39
	s_cselect_b32 s25, s38, s33
	s_cmp_lg_u32 s25, 0
	s_cselect_b32 s1, s1, s15
	s_cselect_b32 s0, s0, s9
	s_xor_b64 s[30:31], s[40:41], s[30:31]
	s_xor_b64 s[0:1], s[0:1], s[30:31]
	s_sub_u32 s30, s0, s30
	s_subb_u32 s31, s1, s31
	s_cbranch_execnz .LBB7_7
.LBB7_6:
	v_cvt_f32_u32_e32 v1, s34
	s_sub_i32 s0, 0, s34
	s_mov_b32 s31, 0
	v_rcp_iflag_f32_e32 v1, v1
	v_mul_f32_e32 v1, 0x4f7ffffe, v1
	v_cvt_u32_f32_e32 v1, v1
	v_readfirstlane_b32 s1, v1
	s_mul_i32 s0, s0, s1
	s_mul_hi_u32 s0, s1, s0
	s_add_i32 s1, s1, s0
	s_mul_hi_u32 s0, s28, s1
	s_mul_i32 s9, s0, s34
	s_sub_i32 s9, s28, s9
	s_add_i32 s1, s0, 1
	s_sub_i32 s15, s9, s34
	s_cmp_ge_u32 s9, s34
	s_cselect_b32 s0, s1, s0
	s_cselect_b32 s9, s15, s9
	s_add_i32 s1, s0, 1
	s_cmp_ge_u32 s9, s34
	s_cselect_b32 s30, s1, s0
.LBB7_7:
	s_mul_i32 s0, s30, s35
	s_mul_hi_u32 s1, s30, s34
	s_add_i32 s0, s1, s0
	s_mul_i32 s1, s31, s34
	s_add_i32 s0, s0, s1
	s_mul_i32 s1, s30, s34
	s_sub_u32 s33, s28, s1
	s_subb_u32 s9, s29, s0
	v_cmp_gt_i32_e32 vcc, s24, v2
	s_mul_hi_u32 s38, s30, s12
	s_mul_i32 s39, s31, s12
	s_mul_i32 s34, s30, s12
	s_mul_hi_u32 s31, s33, s13
	s_mul_i32 s9, s9, s13
	s_mul_i32 s28, s33, s13
	s_and_saveexec_b64 s[36:37], vcc
	s_cbranch_execz .LBB7_10
; %bb.8:
	s_load_dwordx2 s[0:1], s[4:5], 0x4
	v_bfe_u32 v1, v0, 10, 10
	s_load_dword s4, s[6:7], 0x8c
	s_ashr_i32 s25, s24, 31
	s_ashr_i32 s5, s12, 31
	s_waitcnt lgkmcnt(0)
	s_lshr_b32 s0, s0, 16
	s_mul_i32 s0, s0, s1
	v_mul_lo_u32 v3, s0, v2
	v_mad_u32_u24 v1, v1, s1, v3
	s_ashr_i32 s29, s13, 31
	s_ashr_i32 s15, s14, 31
	s_and_b32 s40, s4, 0xffff
	s_lshl_b64 s[0:1], s[26:27], 2
	s_add_u32 s0, s2, s0
	v_bfe_u32 v0, v0, 20, 10
	v_lshlrev_b32_e32 v9, 2, v2
	s_addc_u32 s1, s3, s1
	v_add_lshl_u32 v3, v1, v0, 1
	v_mov_b32_e32 v0, s1
	v_add_co_u32_e32 v5, vcc, s0, v9
	v_addc_co_u32_e32 v6, vcc, 0, v0, vcc
	s_lshl_b64 s[0:1], s[24:25], 2
	v_add_co_u32_e32 v7, vcc, s0, v5
	s_mul_i32 s0, s30, s5
	s_mul_i32 s2, s33, s29
	s_add_i32 s0, s38, s0
	s_add_i32 s2, s31, s2
	s_add_i32 s35, s0, s39
	s_add_i32 s29, s2, s9
	s_lshl_b32 s26, s40, 2
	v_mov_b32_e32 v0, s1
	s_lshl_b64 s[0:1], s[34:35], 2
	s_lshl_b64 s[2:3], s[28:29], 2
	s_add_u32 s2, s0, s2
	s_addc_u32 s3, s1, s3
	s_lshl_b64 s[0:1], s[14:15], 2
	s_add_u32 s0, s10, s0
	s_addc_u32 s1, s11, s1
	s_add_u32 s0, s0, s2
	v_addc_co_u32_e32 v8, vcc, v6, v0, vcc
	v_lshlrev_b32_e32 v0, 3, v2
	s_addc_u32 s1, s1, s3
	v_mov_b32_e32 v1, s1
	v_add_co_u32_e32 v0, vcc, s0, v0
	s_mul_i32 s0, s17, s8
	s_mul_hi_u32 s1, s16, s8
	s_add_i32 s1, s1, s0
	s_mul_i32 s0, s16, s8
	s_lshl_b32 s15, s40, 3
	s_lshl_b64 s[0:1], s[0:1], 1
	s_add_u32 s0, s20, s0
	v_addc_co_u32_e32 v1, vcc, 0, v1, vcc
	s_addc_u32 s1, s21, s1
	s_mov_b32 s27, 0
	v_mov_b32_e32 v10, s1
	v_add_co_u32_e32 v9, vcc, s0, v9
	v_add_u32_e32 v4, 0x800, v3
	v_addc_co_u32_e32 v10, vcc, 0, v10, vcc
	s_mov_b64 s[4:5], 0
	v_mov_b32_e32 v11, s27
	s_mov_b64 s[16:17], 0
	v_mov_b32_e32 v12, v2
.LBB7_9:                                ; =>This Inner Loop Header: Depth=1
	v_mov_b32_e32 v13, s17
	v_add_co_u32_e32 v14, vcc, s16, v7
	v_add_co_u32_e64 v16, s[0:1], s16, v9
	v_add_co_u32_e64 v18, s[2:3], s16, v5
	v_addc_co_u32_e32 v15, vcc, v8, v13, vcc
	v_addc_co_u32_e64 v19, s[2:3], v6, v13, s[2:3]
	v_addc_co_u32_e64 v17, vcc, v10, v13, s[0:1]
	global_load_dword v13, v[14:15], off
	global_load_dword v20, v[18:19], off
	;; [unrolled: 1-line block ×3, first 2 shown]
	v_add_u32_e32 v12, s40, v12
	s_add_u32 s16, s16, s26
	s_addc_u32 s17, s17, 0
	v_cmp_le_i32_e32 vcc, s24, v12
	s_or_b64 s[4:5], vcc, s[4:5]
	s_waitcnt vmcnt(2)
	v_cvt_f16_f32_e32 v13, v13
	s_waitcnt vmcnt(1)
	v_cvt_f16_f32_e32 v14, v20
	s_waitcnt vmcnt(0)
	v_mul_f16_sdwa v15, v21, v13 dst_sel:DWORD dst_unused:UNUSED_PAD src0_sel:WORD_1 src1_sel:DWORD
	v_mul_f16_sdwa v18, v21, v14 dst_sel:DWORD dst_unused:UNUSED_PAD src0_sel:WORD_1 src1_sel:DWORD
	v_fma_f16 v14, v21, v14, -v15
	v_fma_f16 v13, v21, v13, v18
	ds_write_b16 v4, v14
	ds_write_b16 v3, v13
	v_pack_b32_f16 v13, v14, v13
	ds_read_b32 v14, v4
	ds_read_b32 v15, v3
	global_store_dword v[16:17], v13, off
	s_waitcnt lgkmcnt(0)
	global_store_dwordx2 v[0:1], v[14:15], off
	v_add_co_u32_e32 v0, vcc, s15, v0
	v_addc_co_u32_e32 v1, vcc, v1, v11, vcc
	s_andn2_b64 exec, exec, s[4:5]
	s_cbranch_execnz .LBB7_9
.LBB7_10:
	s_or_b64 exec, exec, s[36:37]
	v_cmp_gt_i32_e32 vcc, s14, v2
	s_and_saveexec_b64 s[0:1], vcc
	s_cbranch_execz .LBB7_13
; %bb.11:
	s_mul_i32 s0, s8, s19
	s_mul_hi_u32 s1, s8, s18
	s_add_i32 s1, s1, s0
	s_mul_i32 s0, s8, s18
	s_lshl_b64 s[0:1], s[0:1], 1
	s_add_u32 s2, s22, s0
	s_addc_u32 s5, s23, s1
	s_ashr_i32 s0, s12, 31
	s_mul_i32 s0, s30, s0
	s_add_i32 s0, s38, s0
	s_add_i32 s35, s0, s39
	s_lshl_b64 s[0:1], s[34:35], 2
	s_add_u32 s3, s10, s0
	s_addc_u32 s4, s11, s1
	s_ashr_i32 s0, s13, 31
	s_mul_i32 s33, s33, s0
	s_add_i32 s0, s31, s33
	s_load_dword s6, s[6:7], 0x8c
	s_add_i32 s29, s0, s9
	s_lshl_b64 s[0:1], s[28:29], 2
	s_add_u32 s3, s3, s0
	s_addc_u32 s7, s4, s1
	s_waitcnt lgkmcnt(0)
	s_and_b32 s4, s6, 0xffff
	s_mov_b64 s[0:1], 0
	v_mov_b32_e32 v0, s5
	v_mov_b32_e32 v1, s7
.LBB7_12:                               ; =>This Inner Loop Header: Depth=1
	v_ashrrev_i32_e32 v3, 31, v2
	v_lshlrev_b64 v[4:5], 1, v[2:3]
	v_add_co_u32_e32 v4, vcc, s2, v4
	v_addc_co_u32_e32 v5, vcc, v0, v5, vcc
	global_load_dword v6, v[4:5], off
	v_lshlrev_b64 v[4:5], 2, v[2:3]
	v_add_co_u32_e32 v4, vcc, s3, v4
	v_addc_co_u32_e32 v5, vcc, v1, v5, vcc
	v_add_u32_e32 v2, s4, v2
	v_cmp_le_i32_e32 vcc, s14, v2
	s_or_b64 s[0:1], vcc, s[0:1]
	s_waitcnt vmcnt(0)
	global_store_dword v[4:5], v6, off
	s_andn2_b64 exec, exec, s[0:1]
	s_cbranch_execnz .LBB7_12
.LBB7_13:
	s_endpgm
.LBB7_14:
                                        ; implicit-def: $sgpr30_sgpr31
	s_branch .LBB7_6
	.section	.rodata,"a",@progbits
	.p2align	6, 0x0
	.amdhsa_kernel _ZN4vllm38concat_and_cache_mla_rope_fused_kernelIN3c104HalfEfLb0EffLNS_18Fp8KVCacheDataTypeE0EEEvPKlPT_S7_PKS6_PKT0_illlliPT3_S5_iiiiPKf
		.amdhsa_group_segment_fixed_size 4096
		.amdhsa_private_segment_fixed_size 0
		.amdhsa_kernarg_size 384
		.amdhsa_user_sgpr_count 8
		.amdhsa_user_sgpr_private_segment_buffer 1
		.amdhsa_user_sgpr_dispatch_ptr 1
		.amdhsa_user_sgpr_queue_ptr 0
		.amdhsa_user_sgpr_kernarg_segment_ptr 1
		.amdhsa_user_sgpr_dispatch_id 0
		.amdhsa_user_sgpr_flat_scratch_init 0
		.amdhsa_user_sgpr_kernarg_preload_length 0
		.amdhsa_user_sgpr_kernarg_preload_offset 0
		.amdhsa_user_sgpr_private_segment_size 0
		.amdhsa_uses_dynamic_stack 0
		.amdhsa_system_sgpr_private_segment_wavefront_offset 0
		.amdhsa_system_sgpr_workgroup_id_x 1
		.amdhsa_system_sgpr_workgroup_id_y 0
		.amdhsa_system_sgpr_workgroup_id_z 0
		.amdhsa_system_sgpr_workgroup_info 0
		.amdhsa_system_vgpr_workitem_id 2
		.amdhsa_next_free_vgpr 22
		.amdhsa_next_free_sgpr 45
		.amdhsa_accum_offset 24
		.amdhsa_reserve_vcc 1
		.amdhsa_reserve_flat_scratch 0
		.amdhsa_float_round_mode_32 0
		.amdhsa_float_round_mode_16_64 0
		.amdhsa_float_denorm_mode_32 3
		.amdhsa_float_denorm_mode_16_64 3
		.amdhsa_dx10_clamp 1
		.amdhsa_ieee_mode 1
		.amdhsa_fp16_overflow 0
		.amdhsa_tg_split 0
		.amdhsa_exception_fp_ieee_invalid_op 0
		.amdhsa_exception_fp_denorm_src 0
		.amdhsa_exception_fp_ieee_div_zero 0
		.amdhsa_exception_fp_ieee_overflow 0
		.amdhsa_exception_fp_ieee_underflow 0
		.amdhsa_exception_fp_ieee_inexact 0
		.amdhsa_exception_int_div_zero 0
	.end_amdhsa_kernel
	.section	.text._ZN4vllm38concat_and_cache_mla_rope_fused_kernelIN3c104HalfEfLb0EffLNS_18Fp8KVCacheDataTypeE0EEEvPKlPT_S7_PKS6_PKT0_illlliPT3_S5_iiiiPKf,"axG",@progbits,_ZN4vllm38concat_and_cache_mla_rope_fused_kernelIN3c104HalfEfLb0EffLNS_18Fp8KVCacheDataTypeE0EEEvPKlPT_S7_PKS6_PKT0_illlliPT3_S5_iiiiPKf,comdat
.Lfunc_end7:
	.size	_ZN4vllm38concat_and_cache_mla_rope_fused_kernelIN3c104HalfEfLb0EffLNS_18Fp8KVCacheDataTypeE0EEEvPKlPT_S7_PKS6_PKT0_illlliPT3_S5_iiiiPKf, .Lfunc_end7-_ZN4vllm38concat_and_cache_mla_rope_fused_kernelIN3c104HalfEfLb0EffLNS_18Fp8KVCacheDataTypeE0EEEvPKlPT_S7_PKS6_PKT0_illlliPT3_S5_iiiiPKf
                                        ; -- End function
	.section	.AMDGPU.csdata,"",@progbits
; Kernel info:
; codeLenInByte = 2140
; NumSgprs: 49
; NumVgprs: 22
; NumAgprs: 0
; TotalNumVgprs: 22
; ScratchSize: 0
; MemoryBound: 0
; FloatMode: 240
; IeeeMode: 1
; LDSByteSize: 4096 bytes/workgroup (compile time only)
; SGPRBlocks: 6
; VGPRBlocks: 2
; NumSGPRsForWavesPerEU: 49
; NumVGPRsForWavesPerEU: 22
; AccumOffset: 24
; Occupancy: 8
; WaveLimiterHint : 1
; COMPUTE_PGM_RSRC2:SCRATCH_EN: 0
; COMPUTE_PGM_RSRC2:USER_SGPR: 8
; COMPUTE_PGM_RSRC2:TRAP_HANDLER: 0
; COMPUTE_PGM_RSRC2:TGID_X_EN: 1
; COMPUTE_PGM_RSRC2:TGID_Y_EN: 0
; COMPUTE_PGM_RSRC2:TGID_Z_EN: 0
; COMPUTE_PGM_RSRC2:TIDIG_COMP_CNT: 2
; COMPUTE_PGM_RSRC3_GFX90A:ACCUM_OFFSET: 5
; COMPUTE_PGM_RSRC3_GFX90A:TG_SPLIT: 0
	.section	.text._ZN4vllm38concat_and_cache_mla_rope_fused_kernelIN3c104HalfES2_Lb1EffLNS_18Fp8KVCacheDataTypeE0EEEvPKlPT_S7_PKS6_PKT0_illlliPT3_S5_iiiiPKf,"axG",@progbits,_ZN4vllm38concat_and_cache_mla_rope_fused_kernelIN3c104HalfES2_Lb1EffLNS_18Fp8KVCacheDataTypeE0EEEvPKlPT_S7_PKS6_PKT0_illlliPT3_S5_iiiiPKf,comdat
	.protected	_ZN4vllm38concat_and_cache_mla_rope_fused_kernelIN3c104HalfES2_Lb1EffLNS_18Fp8KVCacheDataTypeE0EEEvPKlPT_S7_PKS6_PKT0_illlliPT3_S5_iiiiPKf ; -- Begin function _ZN4vllm38concat_and_cache_mla_rope_fused_kernelIN3c104HalfES2_Lb1EffLNS_18Fp8KVCacheDataTypeE0EEEvPKlPT_S7_PKS6_PKT0_illlliPT3_S5_iiiiPKf
	.globl	_ZN4vllm38concat_and_cache_mla_rope_fused_kernelIN3c104HalfES2_Lb1EffLNS_18Fp8KVCacheDataTypeE0EEEvPKlPT_S7_PKS6_PKT0_illlliPT3_S5_iiiiPKf
	.p2align	8
	.type	_ZN4vllm38concat_and_cache_mla_rope_fused_kernelIN3c104HalfES2_Lb1EffLNS_18Fp8KVCacheDataTypeE0EEEvPKlPT_S7_PKS6_PKT0_illlliPT3_S5_iiiiPKf,@function
_ZN4vllm38concat_and_cache_mla_rope_fused_kernelIN3c104HalfES2_Lb1EffLNS_18Fp8KVCacheDataTypeE0EEEvPKlPT_S7_PKS6_PKT0_illlliPT3_S5_iiiiPKf: ; @_ZN4vllm38concat_and_cache_mla_rope_fused_kernelIN3c104HalfES2_Lb1EffLNS_18Fp8KVCacheDataTypeE0EEEvPKlPT_S7_PKS6_PKT0_illlliPT3_S5_iiiiPKf
; %bb.0:
	s_load_dwordx2 s[2:3], s[6:7], 0x60
	s_mov_b32 s9, 0
	s_lshl_b64 s[0:1], s[8:9], 3
	s_waitcnt lgkmcnt(0)
	s_add_u32 s2, s2, s0
	s_addc_u32 s3, s3, s1
	s_load_dwordx2 s[28:29], s[2:3], 0x0
	s_waitcnt lgkmcnt(0)
	v_cmp_lt_i64_e64 s[2:3], s[28:29], 0
	s_and_b64 vcc, exec, s[2:3]
	s_cbranch_vccnz .LBB8_13
; %bb.1:
	s_load_dword s30, s[6:7], 0x28
	s_load_dwordx2 s[10:11], s[6:7], 0x0
	s_load_dwordx2 s[2:3], s[6:7], 0x20
	s_load_dwordx4 s[20:23], s[6:7], 0x10
	v_and_b32_e32 v2, 0x3ff, v0
	s_waitcnt lgkmcnt(0)
	s_ashr_i32 s9, s30, 31
	s_add_u32 s0, s10, s0
	s_addc_u32 s1, s11, s1
	s_load_dwordx2 s[24:25], s[0:1], 0x0
	s_load_dwordx8 s[12:19], s[6:7], 0x30
	s_load_dwordx2 s[10:11], s[6:7], 0x58
	s_load_dword s31, s[6:7], 0x50
	s_waitcnt lgkmcnt(0)
	s_mul_i32 s0, s24, s9
	s_mul_hi_u32 s1, s24, s30
	s_add_i32 s0, s1, s0
	s_mul_i32 s1, s25, s30
	s_add_i32 s1, s0, s1
	s_mul_i32 s0, s24, s30
	s_lshl_b64 s[26:27], s[0:1], 1
	s_add_u32 s9, s2, s26
	s_addc_u32 s33, s3, s27
	s_lshr_b32 s0, s30, 31
	s_add_i32 s30, s30, s0
	s_ashr_i32 s24, s30, 1
	s_mul_i32 s34, s24, s31
	v_cmp_gt_i32_e32 vcc, s34, v2
	s_and_saveexec_b64 s[0:1], vcc
	s_cbranch_execz .LBB8_4
; %bb.2:
	s_load_dwordx2 s[30:31], s[6:7], 0x8
	s_load_dword s37, s[6:7], 0x8c
	s_mul_i32 s13, s8, s13
	s_mul_hi_u32 s35, s8, s12
	s_add_i32 s13, s35, s13
	s_mul_i32 s12, s8, s12
	s_ashr_i32 s25, s24, 31
	s_lshl_b64 s[12:13], s[12:13], 1
	s_waitcnt lgkmcnt(0)
	s_add_u32 s35, s30, s12
	s_addc_u32 s39, s31, s13
	s_abs_i32 s36, s24
	v_cvt_f32_u32_e32 v1, s36
	s_sub_i32 s30, 0, s36
	s_mov_b64 s[12:13], 0
	s_and_b32 s37, s37, 0xffff
	v_rcp_iflag_f32_e32 v3, v1
	v_mov_b32_e32 v1, s33
	s_sub_i32 s38, 0, s24
	v_mov_b32_e32 v6, s39
	v_mul_f32_e32 v3, 0x4f7ffffe, v3
	v_cvt_u32_f32_e32 v3, v3
	v_mul_lo_u32 v4, s30, v3
	v_mul_hi_u32 v4, v3, v4
	s_lshl_b64 s[30:31], s[24:25], 1
	v_add_u32_e32 v3, v3, v4
	v_mov_b32_e32 v5, s31
	v_mov_b32_e32 v4, v2
.LBB8_3:                                ; =>This Inner Loop Header: Depth=1
	v_sub_u32_e32 v8, 0, v4
	v_max_i32_e32 v8, v4, v8
	v_mul_hi_u32 v9, v8, v3
	v_mul_lo_u32 v10, v9, s36
	v_sub_u32_e32 v8, v8, v10
	v_add_u32_e32 v11, 1, v9
	v_cmp_le_u32_e32 vcc, s36, v8
	v_subrev_u32_e32 v10, s36, v8
	v_cndmask_b32_e32 v9, v9, v11, vcc
	v_cndmask_b32_e32 v8, v8, v10, vcc
	v_ashrrev_i32_e32 v7, 31, v4
	v_add_u32_e32 v10, 1, v9
	v_cmp_le_u32_e32 vcc, s36, v8
	v_xor_b32_e32 v7, s25, v7
	v_cndmask_b32_e32 v8, v9, v10, vcc
	v_xor_b32_e32 v8, v8, v7
	v_sub_u32_e32 v7, v8, v7
	v_mad_u64_u32 v[8:9], s[40:41], s38, v7, v[4:5]
	v_ashrrev_i32_e32 v9, 31, v8
	v_ashrrev_i32_e32 v12, 31, v7
	v_lshlrev_b64 v[8:9], 1, v[8:9]
	v_mul_lo_u32 v13, v7, s15
	v_mad_u64_u32 v[10:11], s[40:41], v7, s14, 0
	v_mul_lo_u32 v7, v12, s14
	v_add_co_u32_e32 v12, vcc, s9, v8
	v_add3_u32 v11, v11, v13, v7
	v_addc_co_u32_e32 v13, vcc, v1, v9, vcc
	v_add_co_u32_e32 v14, vcc, s30, v12
	v_lshlrev_b64 v[10:11], 1, v[10:11]
	v_addc_co_u32_e32 v15, vcc, v13, v5, vcc
	v_add_co_u32_e32 v7, vcc, s35, v10
	v_addc_co_u32_e32 v10, vcc, v6, v11, vcc
	v_add_co_u32_e32 v8, vcc, v7, v8
	;; [unrolled: 2-line block ×3, first 2 shown]
	global_load_ushort v16, v[12:13], off
	global_load_ushort v17, v[14:15], off
	v_addc_co_u32_e32 v11, vcc, v9, v5, vcc
	global_load_ushort v7, v[8:9], off
	global_load_ushort v12, v[10:11], off
	v_add_u32_e32 v4, s37, v4
	v_cmp_le_i32_e32 vcc, s34, v4
	s_or_b64 s[12:13], vcc, s[12:13]
	s_waitcnt vmcnt(0)
	v_mul_f16_e32 v13, v17, v12
	v_mul_f16_e32 v12, v16, v12
	v_fma_f16 v13, v16, v7, -v13
	v_fma_f16 v7, v17, v7, v12
	global_store_short v[8:9], v13, off
	global_store_short v[10:11], v7, off
	s_andn2_b64 exec, exec, s[12:13]
	s_cbranch_execnz .LBB8_3
.LBB8_4:
	s_or_b64 exec, exec, s[0:1]
	s_load_dwordx4 s[12:15], s[6:7], 0x68
	s_waitcnt lgkmcnt(0)
	s_ashr_i32 s35, s15, 31
	s_mov_b32 s34, s15
	s_or_b64 s[0:1], s[28:29], s[34:35]
	s_mov_b32 s0, 0
	s_cmp_lg_u64 s[0:1], 0
	s_cbranch_scc0 .LBB8_14
; %bb.5:
	s_add_u32 s0, s34, s35
	s_mov_b32 s30, s35
	s_mov_b32 s31, s35
	s_addc_u32 s1, s35, s35
	s_xor_b64 s[38:39], s[0:1], s[30:31]
	v_cvt_f32_u32_e32 v1, s38
	v_cvt_f32_u32_e32 v3, s39
	s_sub_u32 s0, 0, s38
	s_subb_u32 s1, 0, s39
	v_madmk_f32 v1, v3, 0x4f800000, v1
	v_rcp_f32_e32 v1, v1
	v_mul_f32_e32 v1, 0x5f7ffffc, v1
	v_mul_f32_e32 v3, 0x2f800000, v1
	v_trunc_f32_e32 v3, v3
	v_madmk_f32 v1, v3, 0xcf800000, v1
	v_cvt_u32_f32_e32 v3, v3
	v_cvt_u32_f32_e32 v1, v1
	v_readfirstlane_b32 s15, v3
	v_readfirstlane_b32 s25, v1
	s_mul_i32 s40, s0, s15
	s_mul_hi_u32 s42, s0, s25
	s_mul_i32 s41, s1, s25
	s_add_i32 s40, s42, s40
	s_add_i32 s40, s40, s41
	s_mul_i32 s43, s0, s25
	s_mul_hi_u32 s41, s25, s40
	s_mul_i32 s42, s25, s40
	s_mul_hi_u32 s25, s25, s43
	s_add_u32 s25, s25, s42
	s_addc_u32 s41, 0, s41
	s_mul_hi_u32 s44, s15, s43
	s_mul_i32 s43, s15, s43
	s_add_u32 s25, s25, s43
	s_mul_hi_u32 s42, s15, s40
	s_addc_u32 s25, s41, s44
	s_addc_u32 s41, s42, 0
	s_mul_i32 s40, s15, s40
	s_add_u32 s25, s25, s40
	s_addc_u32 s40, 0, s41
	v_add_co_u32_e32 v1, vcc, s25, v1
	s_cmp_lg_u64 vcc, 0
	s_addc_u32 s15, s15, s40
	v_readfirstlane_b32 s40, v1
	s_mul_i32 s25, s0, s15
	s_mul_hi_u32 s41, s0, s40
	s_add_i32 s25, s41, s25
	s_mul_i32 s1, s1, s40
	s_add_i32 s25, s25, s1
	s_mul_i32 s0, s0, s40
	s_mul_hi_u32 s41, s15, s0
	s_mul_i32 s42, s15, s0
	s_mul_i32 s44, s40, s25
	s_mul_hi_u32 s0, s40, s0
	s_mul_hi_u32 s43, s40, s25
	s_add_u32 s0, s0, s44
	s_addc_u32 s40, 0, s43
	s_add_u32 s0, s0, s42
	s_mul_hi_u32 s1, s15, s25
	s_addc_u32 s0, s40, s41
	s_addc_u32 s1, s1, 0
	s_mul_i32 s25, s15, s25
	s_add_u32 s0, s0, s25
	s_addc_u32 s1, 0, s1
	v_add_co_u32_e32 v1, vcc, s0, v1
	s_cmp_lg_u64 vcc, 0
	s_addc_u32 s15, s15, s1
	s_ashr_i32 s40, s29, 31
	s_add_u32 s0, s28, s40
	s_mov_b32 s41, s40
	s_addc_u32 s1, s29, s40
	s_xor_b64 s[42:43], s[0:1], s[40:41]
	v_readfirstlane_b32 s25, v1
	s_mul_i32 s1, s42, s15
	s_mul_hi_u32 s44, s42, s25
	s_mul_hi_u32 s0, s42, s15
	s_add_u32 s1, s44, s1
	s_addc_u32 s0, 0, s0
	s_mul_hi_u32 s45, s43, s25
	s_mul_i32 s25, s43, s25
	s_add_u32 s1, s1, s25
	s_mul_hi_u32 s44, s43, s15
	s_addc_u32 s0, s0, s45
	s_addc_u32 s1, s44, 0
	s_mul_i32 s15, s43, s15
	s_add_u32 s15, s0, s15
	s_addc_u32 s25, 0, s1
	s_mul_i32 s0, s38, s25
	s_mul_hi_u32 s1, s38, s15
	s_add_i32 s0, s1, s0
	s_mul_i32 s1, s39, s15
	s_add_i32 s44, s0, s1
	s_mul_i32 s1, s38, s15
	v_mov_b32_e32 v1, s1
	s_sub_i32 s0, s43, s44
	v_sub_co_u32_e32 v1, vcc, s42, v1
	s_cmp_lg_u64 vcc, 0
	s_subb_u32 s42, s0, s39
	v_subrev_co_u32_e64 v3, s[0:1], s38, v1
	s_cmp_lg_u64 s[0:1], 0
	s_subb_u32 s0, s42, 0
	s_cmp_ge_u32 s0, s39
	v_readfirstlane_b32 s42, v3
	s_cselect_b32 s1, -1, 0
	s_cmp_ge_u32 s42, s38
	s_cselect_b32 s42, -1, 0
	s_cmp_eq_u32 s0, s39
	s_cselect_b32 s0, s42, s1
	s_add_u32 s1, s15, 1
	s_addc_u32 s42, s25, 0
	s_add_u32 s45, s15, 2
	s_addc_u32 s46, s25, 0
	s_cmp_lg_u32 s0, 0
	s_cselect_b32 s0, s45, s1
	s_cselect_b32 s1, s46, s42
	s_cmp_lg_u64 vcc, 0
	s_subb_u32 s42, s43, s44
	s_cmp_ge_u32 s42, s39
	v_readfirstlane_b32 s44, v1
	s_cselect_b32 s43, -1, 0
	s_cmp_ge_u32 s44, s38
	s_cselect_b32 s38, -1, 0
	s_cmp_eq_u32 s42, s39
	s_cselect_b32 s38, s38, s43
	s_cmp_lg_u32 s38, 0
	s_cselect_b32 s1, s1, s25
	s_cselect_b32 s0, s0, s15
	s_xor_b64 s[30:31], s[40:41], s[30:31]
	s_xor_b64 s[0:1], s[0:1], s[30:31]
	s_sub_u32 s30, s0, s30
	s_subb_u32 s31, s1, s31
	s_cbranch_execnz .LBB8_7
.LBB8_6:
	v_cvt_f32_u32_e32 v1, s34
	s_sub_i32 s0, 0, s34
	s_mov_b32 s31, 0
	v_rcp_iflag_f32_e32 v1, v1
	v_mul_f32_e32 v1, 0x4f7ffffe, v1
	v_cvt_u32_f32_e32 v1, v1
	v_readfirstlane_b32 s1, v1
	s_mul_i32 s0, s0, s1
	s_mul_hi_u32 s0, s1, s0
	s_add_i32 s1, s1, s0
	s_mul_hi_u32 s0, s28, s1
	s_mul_i32 s15, s0, s34
	s_sub_i32 s15, s28, s15
	s_add_i32 s1, s0, 1
	s_sub_i32 s25, s15, s34
	s_cmp_ge_u32 s15, s34
	s_cselect_b32 s0, s1, s0
	s_cselect_b32 s15, s25, s15
	s_add_i32 s1, s0, 1
	s_cmp_ge_u32 s15, s34
	s_cselect_b32 s30, s1, s0
.LBB8_7:
	s_mul_i32 s0, s30, s35
	s_mul_hi_u32 s1, s30, s34
	s_add_i32 s0, s1, s0
	s_mul_i32 s1, s31, s34
	s_add_i32 s0, s0, s1
	s_mul_i32 s1, s30, s34
	s_sub_u32 s38, s28, s1
	s_subb_u32 s0, s29, s0
	v_cmp_gt_i32_e32 vcc, s24, v2
	s_mul_hi_u32 s40, s30, s12
	s_mul_i32 s41, s31, s12
	s_mul_i32 s34, s30, s12
	s_mul_hi_u32 s39, s38, s13
	s_mul_i32 s31, s0, s13
	s_mul_i32 s28, s38, s13
	s_and_saveexec_b64 s[36:37], vcc
	s_cbranch_execz .LBB8_10
; %bb.8:
	s_load_dwordx2 s[0:1], s[4:5], 0x4
	v_bfe_u32 v1, v0, 10, 10
	s_mul_i32 s4, s8, s17
	s_ashr_i32 s25, s24, 31
	v_bfe_u32 v0, v0, 20, 10
	s_waitcnt lgkmcnt(0)
	s_lshr_b32 s0, s0, 16
	s_mul_i32 s0, s0, s1
	v_mul_lo_u32 v3, s0, v2
	s_mul_hi_u32 s0, s8, s16
	v_mad_u32_u24 v1, v1, s1, v3
	s_add_i32 s1, s0, s4
	s_load_dword s4, s[6:7], 0x8c
	s_mul_i32 s0, s8, s16
	s_lshl_b64 s[0:1], s[0:1], 1
	s_add_u32 s42, s20, s0
	s_addc_u32 s43, s21, s1
	s_waitcnt lgkmcnt(0)
	s_and_b32 s44, s4, 0xffff
	s_ashr_i32 s29, s12, 31
	s_ashr_i32 s48, s13, 31
	;; [unrolled: 1-line block ×3, first 2 shown]
	s_lshl_b32 s45, s44, 1
	s_lshl_b64 s[4:5], s[24:25], 1
	s_add_u32 s16, s26, s4
	s_addc_u32 s17, s27, s5
	s_add_u32 s26, s2, s16
	s_addc_u32 s27, s3, s17
	;; [unrolled: 2-line block ×3, first 2 shown]
	s_add_u32 s46, s20, s0
	s_mul_i32 s0, s30, s29
	s_mul_i32 s2, s38, s48
	s_addc_u32 s47, s21, s1
	s_add_i32 s0, s40, s0
	s_add_i32 s2, s39, s2
	;; [unrolled: 1-line block ×4, first 2 shown]
	s_lshl_b64 s[16:17], s[24:25], 2
	s_lshl_b64 s[0:1], s[34:35], 2
	;; [unrolled: 1-line block ×3, first 2 shown]
	s_add_u32 s2, s0, s2
	s_addc_u32 s3, s1, s3
	s_lshl_b64 s[0:1], s[14:15], 2
	s_add_u32 s0, s2, s0
	s_addc_u32 s1, s3, s1
	s_add_u32 s0, s10, s0
	v_lshlrev_b32_e32 v4, 2, v2
	s_addc_u32 s1, s11, s1
	v_add_lshl_u32 v1, v1, v0, 1
	s_mov_b32 s49, 0
	v_mov_b32_e32 v5, s1
	v_add_co_u32_e32 v4, vcc, s0, v4
	v_add_u32_e32 v3, 0x800, v1
	v_lshlrev_b32_e32 v0, 1, v2
	v_addc_co_u32_e32 v5, vcc, 0, v5, vcc
	s_lshl_b32 s15, s44, 2
	s_mov_b64 s[20:21], 0
	v_mov_b32_e32 v6, s17
	v_mov_b32_e32 v7, s49
	;; [unrolled: 1-line block ×3, first 2 shown]
.LBB8_9:                                ; =>This Inner Loop Header: Depth=1
	v_mov_b32_e32 v11, s27
	v_add_co_u32_e32 v10, vcc, s26, v0
	v_mov_b32_e32 v9, s33
	v_mov_b32_e32 v13, s43
	v_add_co_u32_e64 v12, s[0:1], s42, v0
	v_mov_b32_e32 v15, s47
	v_add_co_u32_e64 v14, s[2:3], s46, v0
	v_add_co_u32_e64 v16, s[4:5], s9, v0
	v_addc_co_u32_e32 v11, vcc, 0, v11, vcc
	v_addc_co_u32_e64 v17, s[4:5], 0, v9, s[4:5]
	v_addc_co_u32_e64 v13, vcc, 0, v13, s[0:1]
	v_addc_co_u32_e64 v15, vcc, 0, v15, s[2:3]
	global_load_ushort v9, v[10:11], off
	global_load_ushort v18, v[14:15], off
	;; [unrolled: 1-line block ×4, first 2 shown]
	s_add_u32 s9, s9, s45
	s_addc_u32 s33, s33, 0
	s_add_u32 s26, s26, s45
	s_addc_u32 s27, s27, 0
	s_add_u32 s46, s46, s45
	v_add_co_u32_e32 v10, vcc, s16, v4
	s_addc_u32 s47, s47, 0
	v_addc_co_u32_e32 v11, vcc, v5, v6, vcc
	v_add_u32_e32 v8, s44, v8
	s_add_u32 s42, s42, s45
	v_cmp_le_i32_e32 vcc, s24, v8
	s_addc_u32 s43, s43, 0
	s_or_b64 s[20:21], vcc, s[20:21]
	s_waitcnt vmcnt(2)
	v_mul_f16_e32 v16, v9, v18
	s_waitcnt vmcnt(1)
	v_mul_f16_e32 v17, v19, v18
	s_waitcnt vmcnt(0)
	v_fma_f16 v16, v19, v20, -v16
	v_fma_f16 v9, v9, v20, v17
	ds_write_b16 v3, v16
	ds_write_b16 v1, v9
	global_store_short v[12:13], v16, off
	global_store_short v[14:15], v9, off
	ds_read_b32 v9, v3
	ds_read_b32 v12, v1
	s_waitcnt lgkmcnt(1)
	global_store_dword v[4:5], v9, off
	s_waitcnt lgkmcnt(0)
	global_store_dword v[10:11], v12, off
	v_add_co_u32_e32 v4, vcc, s15, v4
	v_addc_co_u32_e32 v5, vcc, v5, v7, vcc
	s_andn2_b64 exec, exec, s[20:21]
	s_cbranch_execnz .LBB8_9
.LBB8_10:
	s_or_b64 exec, exec, s[36:37]
	v_cmp_gt_i32_e32 vcc, s14, v2
	s_and_saveexec_b64 s[0:1], vcc
	s_cbranch_execz .LBB8_13
; %bb.11:
	s_mul_i32 s0, s8, s19
	s_mul_hi_u32 s1, s8, s18
	s_add_i32 s1, s1, s0
	s_mul_i32 s0, s8, s18
	s_lshl_b64 s[0:1], s[0:1], 1
	s_add_u32 s2, s22, s0
	s_addc_u32 s5, s23, s1
	s_ashr_i32 s0, s12, 31
	s_mul_i32 s0, s30, s0
	s_add_i32 s0, s40, s0
	s_add_i32 s35, s0, s41
	s_lshl_b64 s[0:1], s[34:35], 2
	s_add_u32 s3, s10, s0
	s_addc_u32 s4, s11, s1
	s_ashr_i32 s0, s13, 31
	s_mul_i32 s38, s38, s0
	s_add_i32 s0, s39, s38
	s_load_dword s6, s[6:7], 0x8c
	s_add_i32 s29, s0, s31
	s_lshl_b64 s[0:1], s[28:29], 2
	s_add_u32 s3, s3, s0
	s_addc_u32 s7, s4, s1
	s_waitcnt lgkmcnt(0)
	s_and_b32 s4, s6, 0xffff
	s_mov_b64 s[0:1], 0
	v_mov_b32_e32 v0, s5
	v_mov_b32_e32 v1, s7
.LBB8_12:                               ; =>This Inner Loop Header: Depth=1
	v_ashrrev_i32_e32 v3, 31, v2
	v_lshlrev_b64 v[4:5], 1, v[2:3]
	v_add_co_u32_e32 v4, vcc, s2, v4
	v_addc_co_u32_e32 v5, vcc, v0, v5, vcc
	global_load_dword v6, v[4:5], off
	v_lshlrev_b64 v[4:5], 2, v[2:3]
	v_add_co_u32_e32 v4, vcc, s3, v4
	v_addc_co_u32_e32 v5, vcc, v1, v5, vcc
	v_add_u32_e32 v2, s4, v2
	v_cmp_le_i32_e32 vcc, s14, v2
	s_or_b64 s[0:1], vcc, s[0:1]
	s_waitcnt vmcnt(0)
	global_store_dword v[4:5], v6, off
	s_andn2_b64 exec, exec, s[0:1]
	s_cbranch_execnz .LBB8_12
.LBB8_13:
	s_endpgm
.LBB8_14:
                                        ; implicit-def: $sgpr30_sgpr31
	s_branch .LBB8_6
	.section	.rodata,"a",@progbits
	.p2align	6, 0x0
	.amdhsa_kernel _ZN4vllm38concat_and_cache_mla_rope_fused_kernelIN3c104HalfES2_Lb1EffLNS_18Fp8KVCacheDataTypeE0EEEvPKlPT_S7_PKS6_PKT0_illlliPT3_S5_iiiiPKf
		.amdhsa_group_segment_fixed_size 4096
		.amdhsa_private_segment_fixed_size 0
		.amdhsa_kernarg_size 384
		.amdhsa_user_sgpr_count 8
		.amdhsa_user_sgpr_private_segment_buffer 1
		.amdhsa_user_sgpr_dispatch_ptr 1
		.amdhsa_user_sgpr_queue_ptr 0
		.amdhsa_user_sgpr_kernarg_segment_ptr 1
		.amdhsa_user_sgpr_dispatch_id 0
		.amdhsa_user_sgpr_flat_scratch_init 0
		.amdhsa_user_sgpr_kernarg_preload_length 0
		.amdhsa_user_sgpr_kernarg_preload_offset 0
		.amdhsa_user_sgpr_private_segment_size 0
		.amdhsa_uses_dynamic_stack 0
		.amdhsa_system_sgpr_private_segment_wavefront_offset 0
		.amdhsa_system_sgpr_workgroup_id_x 1
		.amdhsa_system_sgpr_workgroup_id_y 0
		.amdhsa_system_sgpr_workgroup_id_z 0
		.amdhsa_system_sgpr_workgroup_info 0
		.amdhsa_system_vgpr_workitem_id 2
		.amdhsa_next_free_vgpr 21
		.amdhsa_next_free_sgpr 50
		.amdhsa_accum_offset 24
		.amdhsa_reserve_vcc 1
		.amdhsa_reserve_flat_scratch 0
		.amdhsa_float_round_mode_32 0
		.amdhsa_float_round_mode_16_64 0
		.amdhsa_float_denorm_mode_32 3
		.amdhsa_float_denorm_mode_16_64 3
		.amdhsa_dx10_clamp 1
		.amdhsa_ieee_mode 1
		.amdhsa_fp16_overflow 0
		.amdhsa_tg_split 0
		.amdhsa_exception_fp_ieee_invalid_op 0
		.amdhsa_exception_fp_denorm_src 0
		.amdhsa_exception_fp_ieee_div_zero 0
		.amdhsa_exception_fp_ieee_overflow 0
		.amdhsa_exception_fp_ieee_underflow 0
		.amdhsa_exception_fp_ieee_inexact 0
		.amdhsa_exception_int_div_zero 0
	.end_amdhsa_kernel
	.section	.text._ZN4vllm38concat_and_cache_mla_rope_fused_kernelIN3c104HalfES2_Lb1EffLNS_18Fp8KVCacheDataTypeE0EEEvPKlPT_S7_PKS6_PKT0_illlliPT3_S5_iiiiPKf,"axG",@progbits,_ZN4vllm38concat_and_cache_mla_rope_fused_kernelIN3c104HalfES2_Lb1EffLNS_18Fp8KVCacheDataTypeE0EEEvPKlPT_S7_PKS6_PKT0_illlliPT3_S5_iiiiPKf,comdat
.Lfunc_end8:
	.size	_ZN4vllm38concat_and_cache_mla_rope_fused_kernelIN3c104HalfES2_Lb1EffLNS_18Fp8KVCacheDataTypeE0EEEvPKlPT_S7_PKS6_PKT0_illlliPT3_S5_iiiiPKf, .Lfunc_end8-_ZN4vllm38concat_and_cache_mla_rope_fused_kernelIN3c104HalfES2_Lb1EffLNS_18Fp8KVCacheDataTypeE0EEEvPKlPT_S7_PKS6_PKT0_illlliPT3_S5_iiiiPKf
                                        ; -- End function
	.section	.AMDGPU.csdata,"",@progbits
; Kernel info:
; codeLenInByte = 2148
; NumSgprs: 54
; NumVgprs: 21
; NumAgprs: 0
; TotalNumVgprs: 21
; ScratchSize: 0
; MemoryBound: 0
; FloatMode: 240
; IeeeMode: 1
; LDSByteSize: 4096 bytes/workgroup (compile time only)
; SGPRBlocks: 6
; VGPRBlocks: 2
; NumSGPRsForWavesPerEU: 54
; NumVGPRsForWavesPerEU: 21
; AccumOffset: 24
; Occupancy: 8
; WaveLimiterHint : 1
; COMPUTE_PGM_RSRC2:SCRATCH_EN: 0
; COMPUTE_PGM_RSRC2:USER_SGPR: 8
; COMPUTE_PGM_RSRC2:TRAP_HANDLER: 0
; COMPUTE_PGM_RSRC2:TGID_X_EN: 1
; COMPUTE_PGM_RSRC2:TGID_Y_EN: 0
; COMPUTE_PGM_RSRC2:TGID_Z_EN: 0
; COMPUTE_PGM_RSRC2:TIDIG_COMP_CNT: 2
; COMPUTE_PGM_RSRC3_GFX90A:ACCUM_OFFSET: 5
; COMPUTE_PGM_RSRC3_GFX90A:TG_SPLIT: 0
	.section	.text._ZN4vllm38concat_and_cache_mla_rope_fused_kernelIN3c104HalfES2_Lb0EffLNS_18Fp8KVCacheDataTypeE0EEEvPKlPT_S7_PKS6_PKT0_illlliPT3_S5_iiiiPKf,"axG",@progbits,_ZN4vllm38concat_and_cache_mla_rope_fused_kernelIN3c104HalfES2_Lb0EffLNS_18Fp8KVCacheDataTypeE0EEEvPKlPT_S7_PKS6_PKT0_illlliPT3_S5_iiiiPKf,comdat
	.protected	_ZN4vllm38concat_and_cache_mla_rope_fused_kernelIN3c104HalfES2_Lb0EffLNS_18Fp8KVCacheDataTypeE0EEEvPKlPT_S7_PKS6_PKT0_illlliPT3_S5_iiiiPKf ; -- Begin function _ZN4vllm38concat_and_cache_mla_rope_fused_kernelIN3c104HalfES2_Lb0EffLNS_18Fp8KVCacheDataTypeE0EEEvPKlPT_S7_PKS6_PKT0_illlliPT3_S5_iiiiPKf
	.globl	_ZN4vllm38concat_and_cache_mla_rope_fused_kernelIN3c104HalfES2_Lb0EffLNS_18Fp8KVCacheDataTypeE0EEEvPKlPT_S7_PKS6_PKT0_illlliPT3_S5_iiiiPKf
	.p2align	8
	.type	_ZN4vllm38concat_and_cache_mla_rope_fused_kernelIN3c104HalfES2_Lb0EffLNS_18Fp8KVCacheDataTypeE0EEEvPKlPT_S7_PKS6_PKT0_illlliPT3_S5_iiiiPKf,@function
_ZN4vllm38concat_and_cache_mla_rope_fused_kernelIN3c104HalfES2_Lb0EffLNS_18Fp8KVCacheDataTypeE0EEEvPKlPT_S7_PKS6_PKT0_illlliPT3_S5_iiiiPKf: ; @_ZN4vllm38concat_and_cache_mla_rope_fused_kernelIN3c104HalfES2_Lb0EffLNS_18Fp8KVCacheDataTypeE0EEEvPKlPT_S7_PKS6_PKT0_illlliPT3_S5_iiiiPKf
; %bb.0:
	s_load_dwordx2 s[2:3], s[6:7], 0x60
	s_mov_b32 s9, 0
	s_lshl_b64 s[0:1], s[8:9], 3
	s_waitcnt lgkmcnt(0)
	s_add_u32 s2, s2, s0
	s_addc_u32 s3, s3, s1
	s_load_dwordx2 s[28:29], s[2:3], 0x0
	s_waitcnt lgkmcnt(0)
	v_cmp_lt_i64_e64 s[2:3], s[28:29], 0
	s_and_b64 vcc, exec, s[2:3]
	s_cbranch_vccnz .LBB9_13
; %bb.1:
	s_load_dword s9, s[6:7], 0x28
	s_load_dwordx2 s[2:3], s[6:7], 0x0
	s_load_dwordx2 s[24:25], s[6:7], 0x20
	s_load_dwordx4 s[20:23], s[6:7], 0x10
	v_and_b32_e32 v2, 0x3ff, v0
	s_waitcnt lgkmcnt(0)
	s_ashr_i32 s26, s9, 31
	s_add_u32 s0, s2, s0
	s_addc_u32 s1, s3, s1
	s_load_dwordx2 s[10:11], s[0:1], 0x0
	s_load_dwordx8 s[12:19], s[6:7], 0x30
	s_load_dwordx2 s[2:3], s[6:7], 0x58
	s_load_dword s30, s[6:7], 0x50
	v_lshlrev_b32_e32 v1, 1, v2
	s_waitcnt lgkmcnt(0)
	s_mul_i32 s0, s10, s26
	s_mul_hi_u32 s1, s10, s9
	s_add_i32 s0, s1, s0
	s_mul_i32 s1, s11, s9
	s_add_i32 s27, s0, s1
	s_lshr_b32 s0, s9, 31
	s_mul_i32 s26, s10, s9
	s_add_i32 s9, s9, s0
	s_ashr_i32 s10, s9, 1
	s_mul_i32 s9, s10, s30
	v_cmp_gt_i32_e32 vcc, s9, v2
	s_and_saveexec_b64 s[0:1], vcc
	s_cbranch_execz .LBB9_4
; %bb.2:
	s_lshl_b64 s[30:31], s[26:27], 1
	s_add_u32 s33, s24, s30
	s_addc_u32 s40, s25, s31
	s_load_dwordx2 s[30:31], s[6:7], 0x8
	s_load_dword s36, s[6:7], 0x8c
	s_mul_i32 s13, s8, s13
	s_mul_hi_u32 s34, s8, s12
	s_add_i32 s13, s34, s13
	s_mul_i32 s12, s8, s12
	s_ashr_i32 s11, s10, 31
	s_lshl_b64 s[12:13], s[12:13], 1
	s_waitcnt lgkmcnt(0)
	s_add_u32 s34, s30, s12
	s_addc_u32 s41, s31, s13
	s_abs_i32 s35, s10
	v_cvt_f32_u32_e32 v3, s35
	s_sub_i32 s12, 0, s35
	s_and_b32 s36, s36, 0xffff
	s_lshl_b64 s[30:31], s[10:11], 1
	v_rcp_iflag_f32_e32 v3, v3
	s_sub_i32 s37, 0, s10
	s_lshl_b32 s39, s36, 1
	v_mov_b32_e32 v5, s40
	v_mul_f32_e32 v3, 0x4f7ffffe, v3
	v_cvt_u32_f32_e32 v3, v3
	v_mov_b32_e32 v7, s31
	v_mov_b32_e32 v8, s41
	;; [unrolled: 1-line block ×3, first 2 shown]
	v_mul_lo_u32 v4, s12, v3
	v_mul_hi_u32 v4, v3, v4
	s_lshl_b32 s12, s10, 1
	v_add_u32_e32 v3, v3, v4
	s_sub_i32 s38, 0, s12
	s_mov_b64 s[12:13], 0
	v_mov_b32_e32 v4, v1
.LBB9_3:                                ; =>This Inner Loop Header: Depth=1
	v_sub_u32_e32 v10, 0, v6
	v_max_i32_e32 v10, v6, v10
	v_mul_hi_u32 v11, v10, v3
	v_mul_lo_u32 v12, v11, s35
	v_sub_u32_e32 v10, v10, v12
	v_add_u32_e32 v13, 1, v11
	v_cmp_le_u32_e32 vcc, s35, v10
	v_subrev_u32_e32 v12, s35, v10
	v_cndmask_b32_e32 v11, v11, v13, vcc
	v_cndmask_b32_e32 v10, v10, v12, vcc
	v_ashrrev_i32_e32 v9, 31, v6
	v_add_u32_e32 v12, 1, v11
	v_cmp_le_u32_e32 vcc, s35, v10
	v_xor_b32_e32 v9, s11, v9
	v_cndmask_b32_e32 v10, v11, v12, vcc
	v_xor_b32_e32 v10, v10, v9
	v_sub_u32_e32 v9, v10, v9
	v_mad_u64_u32 v[10:11], s[40:41], s37, v9, v[6:7]
	v_ashrrev_i32_e32 v11, 31, v10
	v_lshlrev_b64 v[10:11], 1, v[10:11]
	v_ashrrev_i32_e32 v16, 31, v9
	v_add_co_u32_e32 v10, vcc, s33, v10
	v_mul_lo_u32 v17, v9, s15
	v_mad_u64_u32 v[12:13], s[40:41], v9, s14, 0
	v_mad_u64_u32 v[14:15], s[40:41], s38, v9, v[4:5]
	v_mul_lo_u32 v9, v16, s14
	v_addc_co_u32_e32 v11, vcc, v5, v11, vcc
	v_add3_u32 v13, v13, v17, v9
	v_add_co_u32_e32 v16, vcc, s30, v10
	v_lshlrev_b64 v[12:13], 1, v[12:13]
	v_addc_co_u32_e32 v17, vcc, v11, v7, vcc
	v_ashrrev_i32_e32 v15, 31, v14
	v_add_co_u32_e32 v9, vcc, s34, v12
	v_lshlrev_b64 v[14:15], 1, v[14:15]
	v_addc_co_u32_e32 v12, vcc, v8, v13, vcc
	global_load_ushort v13, v[10:11], off
	global_load_ushort v18, v[16:17], off
	v_add_co_u32_e32 v10, vcc, v9, v14
	v_addc_co_u32_e32 v11, vcc, v12, v15, vcc
	global_load_dword v9, v[10:11], off
	v_add_u32_e32 v6, s36, v6
	v_cmp_le_i32_e32 vcc, s9, v6
	v_add_u32_e32 v4, s39, v4
	s_or_b64 s[12:13], vcc, s[12:13]
	s_waitcnt vmcnt(0)
	v_mul_f16_sdwa v12, v18, v9 dst_sel:DWORD dst_unused:UNUSED_PAD src0_sel:DWORD src1_sel:WORD_1
	v_mul_f16_sdwa v14, v13, v9 dst_sel:DWORD dst_unused:UNUSED_PAD src0_sel:DWORD src1_sel:WORD_1
	v_fma_f16 v12, v13, v9, -v12
	v_fma_f16 v9, v18, v9, v14
	v_pack_b32_f16 v9, v12, v9
	global_store_dword v[10:11], v9, off
	s_andn2_b64 exec, exec, s[12:13]
	s_cbranch_execnz .LBB9_3
.LBB9_4:
	s_or_b64 exec, exec, s[0:1]
	s_load_dwordx4 s[12:15], s[6:7], 0x68
	s_waitcnt lgkmcnt(0)
	s_ashr_i32 s31, s15, 31
	s_mov_b32 s30, s15
	s_or_b64 s[0:1], s[28:29], s[30:31]
	s_mov_b32 s0, 0
	s_cmp_lg_u64 s[0:1], 0
	s_cbranch_scc0 .LBB9_14
; %bb.5:
	s_add_u32 s0, s30, s31
	s_mov_b32 s36, s31
	s_mov_b32 s37, s31
	s_addc_u32 s1, s31, s31
	s_xor_b64 s[38:39], s[0:1], s[36:37]
	v_cvt_f32_u32_e32 v3, s38
	v_cvt_f32_u32_e32 v4, s39
	s_sub_u32 s0, 0, s38
	s_subb_u32 s1, 0, s39
	v_madmk_f32 v3, v4, 0x4f800000, v3
	v_rcp_f32_e32 v3, v3
	v_mul_f32_e32 v3, 0x5f7ffffc, v3
	v_mul_f32_e32 v4, 0x2f800000, v3
	v_trunc_f32_e32 v4, v4
	v_madmk_f32 v3, v4, 0xcf800000, v3
	v_cvt_u32_f32_e32 v4, v4
	v_cvt_u32_f32_e32 v3, v3
	v_readfirstlane_b32 s9, v4
	v_readfirstlane_b32 s11, v3
	s_mul_i32 s15, s0, s9
	s_mul_hi_u32 s40, s0, s11
	s_mul_i32 s33, s1, s11
	s_add_i32 s15, s40, s15
	s_add_i32 s15, s15, s33
	s_mul_i32 s41, s0, s11
	s_mul_hi_u32 s33, s11, s15
	s_mul_i32 s40, s11, s15
	s_mul_hi_u32 s11, s11, s41
	s_add_u32 s11, s11, s40
	s_addc_u32 s33, 0, s33
	s_mul_hi_u32 s42, s9, s41
	s_mul_i32 s41, s9, s41
	s_add_u32 s11, s11, s41
	s_mul_hi_u32 s40, s9, s15
	s_addc_u32 s11, s33, s42
	s_addc_u32 s33, s40, 0
	s_mul_i32 s15, s9, s15
	s_add_u32 s11, s11, s15
	s_addc_u32 s15, 0, s33
	v_add_co_u32_e32 v3, vcc, s11, v3
	s_cmp_lg_u64 vcc, 0
	s_addc_u32 s9, s9, s15
	v_readfirstlane_b32 s15, v3
	s_mul_i32 s11, s0, s9
	s_mul_hi_u32 s33, s0, s15
	s_add_i32 s11, s33, s11
	s_mul_i32 s1, s1, s15
	s_add_i32 s11, s11, s1
	s_mul_i32 s0, s0, s15
	s_mul_hi_u32 s33, s9, s0
	s_mul_i32 s40, s9, s0
	s_mul_i32 s42, s15, s11
	s_mul_hi_u32 s0, s15, s0
	s_mul_hi_u32 s41, s15, s11
	s_add_u32 s0, s0, s42
	s_addc_u32 s15, 0, s41
	s_add_u32 s0, s0, s40
	s_mul_hi_u32 s1, s9, s11
	s_addc_u32 s0, s15, s33
	s_addc_u32 s1, s1, 0
	s_mul_i32 s11, s9, s11
	s_add_u32 s0, s0, s11
	s_addc_u32 s1, 0, s1
	v_add_co_u32_e32 v3, vcc, s0, v3
	s_cmp_lg_u64 vcc, 0
	s_addc_u32 s9, s9, s1
	s_ashr_i32 s40, s29, 31
	s_add_u32 s0, s28, s40
	s_mov_b32 s41, s40
	s_addc_u32 s1, s29, s40
	s_xor_b64 s[42:43], s[0:1], s[40:41]
	v_readfirstlane_b32 s11, v3
	s_mul_i32 s1, s42, s9
	s_mul_hi_u32 s15, s42, s11
	s_mul_hi_u32 s0, s42, s9
	s_add_u32 s1, s15, s1
	s_addc_u32 s0, 0, s0
	s_mul_hi_u32 s33, s43, s11
	s_mul_i32 s11, s43, s11
	s_add_u32 s1, s1, s11
	s_mul_hi_u32 s15, s43, s9
	s_addc_u32 s0, s0, s33
	s_addc_u32 s1, s15, 0
	s_mul_i32 s9, s43, s9
	s_add_u32 s9, s0, s9
	s_addc_u32 s11, 0, s1
	s_mul_i32 s0, s38, s11
	s_mul_hi_u32 s1, s38, s9
	s_add_i32 s0, s1, s0
	s_mul_i32 s1, s39, s9
	s_add_i32 s15, s0, s1
	s_mul_i32 s1, s38, s9
	v_mov_b32_e32 v3, s1
	s_sub_i32 s0, s43, s15
	v_sub_co_u32_e32 v3, vcc, s42, v3
	s_cmp_lg_u64 vcc, 0
	s_subb_u32 s33, s0, s39
	v_subrev_co_u32_e64 v4, s[0:1], s38, v3
	s_cmp_lg_u64 s[0:1], 0
	s_subb_u32 s0, s33, 0
	s_cmp_ge_u32 s0, s39
	v_readfirstlane_b32 s33, v4
	s_cselect_b32 s1, -1, 0
	s_cmp_ge_u32 s33, s38
	s_cselect_b32 s33, -1, 0
	s_cmp_eq_u32 s0, s39
	s_cselect_b32 s0, s33, s1
	s_add_u32 s1, s9, 1
	s_addc_u32 s33, s11, 0
	s_add_u32 s42, s9, 2
	s_addc_u32 s44, s11, 0
	s_cmp_lg_u32 s0, 0
	s_cselect_b32 s0, s42, s1
	s_cselect_b32 s1, s44, s33
	s_cmp_lg_u64 vcc, 0
	s_subb_u32 s15, s43, s15
	s_cmp_ge_u32 s15, s39
	v_readfirstlane_b32 s42, v3
	s_cselect_b32 s33, -1, 0
	s_cmp_ge_u32 s42, s38
	s_cselect_b32 s38, -1, 0
	s_cmp_eq_u32 s15, s39
	s_cselect_b32 s15, s38, s33
	s_cmp_lg_u32 s15, 0
	s_cselect_b32 s1, s1, s11
	s_cselect_b32 s0, s0, s9
	s_xor_b64 s[36:37], s[40:41], s[36:37]
	s_xor_b64 s[0:1], s[0:1], s[36:37]
	s_sub_u32 s0, s0, s36
	s_subb_u32 s1, s1, s37
	s_cbranch_execnz .LBB9_7
.LBB9_6:
	v_cvt_f32_u32_e32 v3, s30
	s_sub_i32 s0, 0, s30
	s_mov_b32 s1, 0
	v_rcp_iflag_f32_e32 v3, v3
	v_mul_f32_e32 v3, 0x4f7ffffe, v3
	v_cvt_u32_f32_e32 v3, v3
	v_readfirstlane_b32 s9, v3
	s_mul_i32 s0, s0, s9
	s_mul_hi_u32 s0, s9, s0
	s_add_i32 s9, s9, s0
	s_mul_hi_u32 s0, s28, s9
	s_mul_i32 s11, s0, s30
	s_sub_i32 s11, s28, s11
	s_add_i32 s9, s0, 1
	s_sub_i32 s15, s11, s30
	s_cmp_ge_u32 s11, s30
	s_cselect_b32 s0, s9, s0
	s_cselect_b32 s11, s15, s11
	s_add_i32 s9, s0, 1
	s_cmp_ge_u32 s11, s30
	s_cselect_b32 s0, s9, s0
.LBB9_7:
	s_mul_i32 s9, s0, s31
	s_mul_hi_u32 s11, s0, s30
	s_add_i32 s9, s11, s9
	s_mul_i32 s11, s1, s30
	s_add_i32 s11, s9, s11
	s_mul_i32 s9, s0, s30
	s_sub_u32 s9, s28, s9
	s_subb_u32 s11, s29, s11
	v_cmp_gt_i32_e32 vcc, s10, v2
	s_mul_hi_u32 s36, s0, s12
	s_mul_i32 s37, s1, s12
	s_mul_i32 s30, s0, s12
	s_mul_hi_u32 s33, s9, s13
	s_mul_i32 s1, s11, s13
	s_mul_i32 s28, s9, s13
	s_and_saveexec_b64 s[34:35], vcc
	s_cbranch_execz .LBB9_10
; %bb.8:
	s_load_dwordx2 s[4:5], s[4:5], 0x4
	v_bfe_u32 v3, v0, 10, 10
	s_load_dword s29, s[6:7], 0x8c
	s_ashr_i32 s11, s10, 31
	s_ashr_i32 s31, s12, 31
	s_waitcnt lgkmcnt(0)
	s_lshr_b32 s4, s4, 16
	s_mul_i32 s4, s4, s5
	v_mul_lo_u32 v4, s4, v2
	v_mad_u32_u24 v3, v3, s5, v4
	s_ashr_i32 s39, s13, 31
	s_ashr_i32 s15, s14, 31
	s_and_b32 s38, s29, 0xffff
	s_lshl_b64 s[4:5], s[26:27], 1
	s_add_u32 s4, s24, s4
	v_bfe_u32 v0, v0, 20, 10
	s_addc_u32 s5, s25, s5
	v_add_lshl_u32 v3, v3, v0, 1
	v_mov_b32_e32 v4, s5
	v_add_co_u32_e32 v0, vcc, s4, v1
	s_lshl_b64 s[4:5], s[10:11], 1
	s_mul_i32 s11, s0, s31
	s_add_i32 s11, s36, s11
	s_add_i32 s31, s11, s37
	s_mul_i32 s11, s9, s39
	s_add_i32 s11, s33, s11
	s_add_i32 s29, s11, s1
	s_lshl_b32 s24, s38, 1
	s_lshl_b64 s[26:27], s[30:31], 2
	s_lshl_b64 s[40:41], s[28:29], 2
	s_add_u32 s11, s26, s40
	s_addc_u32 s25, s27, s41
	s_lshl_b64 s[26:27], s[14:15], 2
	s_add_u32 s15, s2, s26
	s_addc_u32 s26, s3, s27
	s_add_u32 s11, s15, s11
	s_addc_u32 s15, s26, s25
	v_mov_b32_e32 v5, s15
	s_mul_i32 s15, s17, s8
	s_mul_hi_u32 s17, s16, s8
	v_addc_co_u32_e32 v1, vcc, 0, v4, vcc
	v_lshlrev_b32_e32 v4, 3, v2
	s_add_i32 s17, s17, s15
	s_mul_i32 s16, s16, s8
	v_add_co_u32_e32 v4, vcc, s11, v4
	s_lshl_b32 s11, s38, 3
	s_lshl_b64 s[16:17], s[16:17], 1
	s_add_u32 s15, s20, s16
	v_addc_co_u32_e32 v5, vcc, 0, v5, vcc
	v_lshlrev_b32_e32 v6, 2, v2
	s_addc_u32 s16, s21, s17
	v_mov_b32_e32 v7, s16
	v_add_co_u32_e32 v6, vcc, s15, v6
	v_addc_co_u32_e32 v7, vcc, 0, v7, vcc
	s_mov_b32 s42, 0
	v_add_co_u32_e32 v6, vcc, 2, v6
	v_add_u32_e32 v8, 0x800, v3
	v_addc_co_u32_e32 v7, vcc, 0, v7, vcc
	s_lshl_b32 s15, s38, 2
	s_mov_b64 s[16:17], 0
	v_mov_b32_e32 v9, s5
	v_mov_b32_e32 v10, s42
	;; [unrolled: 1-line block ×5, first 2 shown]
	s_mov_b32 s20, s42
.LBB9_9:                                ; =>This Inner Loop Header: Depth=1
	v_add_co_u32_e32 v14, vcc, s4, v0
	global_load_ushort v16, v[0:1], off
	v_addc_co_u32_e32 v15, vcc, v1, v9, vcc
	global_load_dword v17, v[6:7], off offset:-2
	global_load_ushort v18, v[14:15], off
	v_add_co_u32_e32 v0, vcc, s24, v0
	v_add_u32_e32 v13, s38, v13
	v_addc_co_u32_e32 v1, vcc, v1, v10, vcc
	v_cmp_le_i32_e32 vcc, s10, v13
	s_or_b64 s[16:17], vcc, s[16:17]
	s_waitcnt vmcnt(1)
	v_mul_f16_sdwa v14, v16, v17 dst_sel:DWORD dst_unused:UNUSED_PAD src0_sel:DWORD src1_sel:WORD_1
	s_waitcnt vmcnt(0)
	v_mul_f16_sdwa v15, v18, v17 dst_sel:DWORD dst_unused:UNUSED_PAD src0_sel:DWORD src1_sel:WORD_1
	v_fma_f16 v14, v18, v17, v14
	v_fma_f16 v15, v16, v17, -v15
	ds_write_b16 v3, v14
	ds_write_b16 v8, v15
	v_pack_b32_f16 v14, v15, v14
	ds_read_b32 v15, v3
	global_store_dword v[6:7], v14, off offset:-2
	ds_read_b32 v14, v8
	v_add_co_u32_e32 v6, vcc, s15, v6
	v_addc_co_u32_e32 v7, vcc, v7, v12, vcc
	s_waitcnt lgkmcnt(0)
	global_store_dwordx2 v[4:5], v[14:15], off
	v_add_co_u32_e32 v4, vcc, s11, v4
	v_addc_co_u32_e32 v5, vcc, v5, v11, vcc
	s_andn2_b64 exec, exec, s[16:17]
	s_cbranch_execnz .LBB9_9
.LBB9_10:
	s_or_b64 exec, exec, s[34:35]
	v_cmp_gt_i32_e32 vcc, s14, v2
	s_and_saveexec_b64 s[4:5], vcc
	s_cbranch_execz .LBB9_13
; %bb.11:
	s_mul_i32 s4, s8, s19
	s_mul_hi_u32 s5, s8, s18
	s_add_i32 s5, s5, s4
	s_mul_i32 s4, s8, s18
	s_lshl_b64 s[4:5], s[4:5], 1
	s_add_u32 s4, s22, s4
	s_addc_u32 s5, s23, s5
	s_ashr_i32 s8, s12, 31
	s_mul_i32 s0, s0, s8
	s_add_i32 s0, s36, s0
	s_add_i32 s31, s0, s37
	s_lshl_b64 s[10:11], s[30:31], 2
	s_add_u32 s2, s2, s10
	s_addc_u32 s3, s3, s11
	s_ashr_i32 s0, s13, 31
	s_mul_i32 s9, s9, s0
	s_add_i32 s0, s33, s9
	s_load_dword s6, s[6:7], 0x8c
	s_add_i32 s29, s0, s1
	s_lshl_b64 s[0:1], s[28:29], 2
	s_add_u32 s2, s2, s0
	s_addc_u32 s7, s3, s1
	s_waitcnt lgkmcnt(0)
	s_and_b32 s3, s6, 0xffff
	s_mov_b64 s[0:1], 0
	v_mov_b32_e32 v0, s5
	v_mov_b32_e32 v1, s7
.LBB9_12:                               ; =>This Inner Loop Header: Depth=1
	v_ashrrev_i32_e32 v3, 31, v2
	v_lshlrev_b64 v[4:5], 1, v[2:3]
	v_add_co_u32_e32 v4, vcc, s4, v4
	v_addc_co_u32_e32 v5, vcc, v0, v5, vcc
	global_load_dword v6, v[4:5], off
	v_lshlrev_b64 v[4:5], 2, v[2:3]
	v_add_co_u32_e32 v4, vcc, s2, v4
	v_addc_co_u32_e32 v5, vcc, v1, v5, vcc
	v_add_u32_e32 v2, s3, v2
	v_cmp_le_i32_e32 vcc, s14, v2
	s_or_b64 s[0:1], vcc, s[0:1]
	s_waitcnt vmcnt(0)
	global_store_dword v[4:5], v6, off
	s_andn2_b64 exec, exec, s[0:1]
	s_cbranch_execnz .LBB9_12
.LBB9_13:
	s_endpgm
.LBB9_14:
                                        ; implicit-def: $sgpr0_sgpr1
	s_branch .LBB9_6
	.section	.rodata,"a",@progbits
	.p2align	6, 0x0
	.amdhsa_kernel _ZN4vllm38concat_and_cache_mla_rope_fused_kernelIN3c104HalfES2_Lb0EffLNS_18Fp8KVCacheDataTypeE0EEEvPKlPT_S7_PKS6_PKT0_illlliPT3_S5_iiiiPKf
		.amdhsa_group_segment_fixed_size 4096
		.amdhsa_private_segment_fixed_size 0
		.amdhsa_kernarg_size 384
		.amdhsa_user_sgpr_count 8
		.amdhsa_user_sgpr_private_segment_buffer 1
		.amdhsa_user_sgpr_dispatch_ptr 1
		.amdhsa_user_sgpr_queue_ptr 0
		.amdhsa_user_sgpr_kernarg_segment_ptr 1
		.amdhsa_user_sgpr_dispatch_id 0
		.amdhsa_user_sgpr_flat_scratch_init 0
		.amdhsa_user_sgpr_kernarg_preload_length 0
		.amdhsa_user_sgpr_kernarg_preload_offset 0
		.amdhsa_user_sgpr_private_segment_size 0
		.amdhsa_uses_dynamic_stack 0
		.amdhsa_system_sgpr_private_segment_wavefront_offset 0
		.amdhsa_system_sgpr_workgroup_id_x 1
		.amdhsa_system_sgpr_workgroup_id_y 0
		.amdhsa_system_sgpr_workgroup_id_z 0
		.amdhsa_system_sgpr_workgroup_info 0
		.amdhsa_system_vgpr_workitem_id 2
		.amdhsa_next_free_vgpr 19
		.amdhsa_next_free_sgpr 45
		.amdhsa_accum_offset 20
		.amdhsa_reserve_vcc 1
		.amdhsa_reserve_flat_scratch 0
		.amdhsa_float_round_mode_32 0
		.amdhsa_float_round_mode_16_64 0
		.amdhsa_float_denorm_mode_32 3
		.amdhsa_float_denorm_mode_16_64 3
		.amdhsa_dx10_clamp 1
		.amdhsa_ieee_mode 1
		.amdhsa_fp16_overflow 0
		.amdhsa_tg_split 0
		.amdhsa_exception_fp_ieee_invalid_op 0
		.amdhsa_exception_fp_denorm_src 0
		.amdhsa_exception_fp_ieee_div_zero 0
		.amdhsa_exception_fp_ieee_overflow 0
		.amdhsa_exception_fp_ieee_underflow 0
		.amdhsa_exception_fp_ieee_inexact 0
		.amdhsa_exception_int_div_zero 0
	.end_amdhsa_kernel
	.section	.text._ZN4vllm38concat_and_cache_mla_rope_fused_kernelIN3c104HalfES2_Lb0EffLNS_18Fp8KVCacheDataTypeE0EEEvPKlPT_S7_PKS6_PKT0_illlliPT3_S5_iiiiPKf,"axG",@progbits,_ZN4vllm38concat_and_cache_mla_rope_fused_kernelIN3c104HalfES2_Lb0EffLNS_18Fp8KVCacheDataTypeE0EEEvPKlPT_S7_PKS6_PKT0_illlliPT3_S5_iiiiPKf,comdat
.Lfunc_end9:
	.size	_ZN4vllm38concat_and_cache_mla_rope_fused_kernelIN3c104HalfES2_Lb0EffLNS_18Fp8KVCacheDataTypeE0EEEvPKlPT_S7_PKS6_PKT0_illlliPT3_S5_iiiiPKf, .Lfunc_end9-_ZN4vllm38concat_and_cache_mla_rope_fused_kernelIN3c104HalfES2_Lb0EffLNS_18Fp8KVCacheDataTypeE0EEEvPKlPT_S7_PKS6_PKT0_illlliPT3_S5_iiiiPKf
                                        ; -- End function
	.section	.AMDGPU.csdata,"",@progbits
; Kernel info:
; codeLenInByte = 2100
; NumSgprs: 49
; NumVgprs: 19
; NumAgprs: 0
; TotalNumVgprs: 19
; ScratchSize: 0
; MemoryBound: 0
; FloatMode: 240
; IeeeMode: 1
; LDSByteSize: 4096 bytes/workgroup (compile time only)
; SGPRBlocks: 6
; VGPRBlocks: 2
; NumSGPRsForWavesPerEU: 49
; NumVGPRsForWavesPerEU: 19
; AccumOffset: 20
; Occupancy: 8
; WaveLimiterHint : 1
; COMPUTE_PGM_RSRC2:SCRATCH_EN: 0
; COMPUTE_PGM_RSRC2:USER_SGPR: 8
; COMPUTE_PGM_RSRC2:TRAP_HANDLER: 0
; COMPUTE_PGM_RSRC2:TGID_X_EN: 1
; COMPUTE_PGM_RSRC2:TGID_Y_EN: 0
; COMPUTE_PGM_RSRC2:TGID_Z_EN: 0
; COMPUTE_PGM_RSRC2:TIDIG_COMP_CNT: 2
; COMPUTE_PGM_RSRC3_GFX90A:ACCUM_OFFSET: 4
; COMPUTE_PGM_RSRC3_GFX90A:TG_SPLIT: 0
	.section	.text._ZN4vllm38concat_and_cache_mla_rope_fused_kernelIN3c104HalfENS1_8BFloat16ELb1EffLNS_18Fp8KVCacheDataTypeE0EEEvPKlPT_S8_PKS7_PKT0_illlliPT3_S6_iiiiPKf,"axG",@progbits,_ZN4vllm38concat_and_cache_mla_rope_fused_kernelIN3c104HalfENS1_8BFloat16ELb1EffLNS_18Fp8KVCacheDataTypeE0EEEvPKlPT_S8_PKS7_PKT0_illlliPT3_S6_iiiiPKf,comdat
	.protected	_ZN4vllm38concat_and_cache_mla_rope_fused_kernelIN3c104HalfENS1_8BFloat16ELb1EffLNS_18Fp8KVCacheDataTypeE0EEEvPKlPT_S8_PKS7_PKT0_illlliPT3_S6_iiiiPKf ; -- Begin function _ZN4vllm38concat_and_cache_mla_rope_fused_kernelIN3c104HalfENS1_8BFloat16ELb1EffLNS_18Fp8KVCacheDataTypeE0EEEvPKlPT_S8_PKS7_PKT0_illlliPT3_S6_iiiiPKf
	.globl	_ZN4vllm38concat_and_cache_mla_rope_fused_kernelIN3c104HalfENS1_8BFloat16ELb1EffLNS_18Fp8KVCacheDataTypeE0EEEvPKlPT_S8_PKS7_PKT0_illlliPT3_S6_iiiiPKf
	.p2align	8
	.type	_ZN4vllm38concat_and_cache_mla_rope_fused_kernelIN3c104HalfENS1_8BFloat16ELb1EffLNS_18Fp8KVCacheDataTypeE0EEEvPKlPT_S8_PKS7_PKT0_illlliPT3_S6_iiiiPKf,@function
_ZN4vllm38concat_and_cache_mla_rope_fused_kernelIN3c104HalfENS1_8BFloat16ELb1EffLNS_18Fp8KVCacheDataTypeE0EEEvPKlPT_S8_PKS7_PKT0_illlliPT3_S6_iiiiPKf: ; @_ZN4vllm38concat_and_cache_mla_rope_fused_kernelIN3c104HalfENS1_8BFloat16ELb1EffLNS_18Fp8KVCacheDataTypeE0EEEvPKlPT_S8_PKS7_PKT0_illlliPT3_S6_iiiiPKf
; %bb.0:
	s_load_dwordx2 s[2:3], s[6:7], 0x60
	s_mov_b32 s9, 0
	s_lshl_b64 s[0:1], s[8:9], 3
	s_waitcnt lgkmcnt(0)
	s_add_u32 s2, s2, s0
	s_addc_u32 s3, s3, s1
	s_load_dwordx2 s[28:29], s[2:3], 0x0
	s_waitcnt lgkmcnt(0)
	v_cmp_lt_i64_e64 s[2:3], s[28:29], 0
	s_and_b64 vcc, exec, s[2:3]
	s_cbranch_vccnz .LBB10_13
; %bb.1:
	s_load_dword s30, s[6:7], 0x28
	s_load_dwordx2 s[10:11], s[6:7], 0x0
	s_load_dwordx2 s[2:3], s[6:7], 0x20
	s_load_dwordx4 s[20:23], s[6:7], 0x10
	v_and_b32_e32 v2, 0x3ff, v0
	s_waitcnt lgkmcnt(0)
	s_ashr_i32 s9, s30, 31
	s_add_u32 s0, s10, s0
	s_addc_u32 s1, s11, s1
	s_load_dwordx2 s[24:25], s[0:1], 0x0
	s_load_dwordx8 s[12:19], s[6:7], 0x30
	s_load_dwordx2 s[10:11], s[6:7], 0x58
	s_load_dword s31, s[6:7], 0x50
	s_waitcnt lgkmcnt(0)
	s_mul_i32 s0, s24, s9
	s_mul_hi_u32 s1, s24, s30
	s_add_i32 s0, s1, s0
	s_mul_i32 s1, s25, s30
	s_add_i32 s1, s0, s1
	s_mul_i32 s0, s24, s30
	s_lshl_b64 s[26:27], s[0:1], 1
	s_add_u32 s9, s2, s26
	s_addc_u32 s33, s3, s27
	s_lshr_b32 s0, s30, 31
	s_add_i32 s30, s30, s0
	s_ashr_i32 s24, s30, 1
	s_mul_i32 s34, s24, s31
	v_cmp_gt_i32_e32 vcc, s34, v2
	s_and_saveexec_b64 s[0:1], vcc
	s_cbranch_execz .LBB10_4
; %bb.2:
	s_load_dwordx2 s[30:31], s[6:7], 0x8
	s_load_dword s37, s[6:7], 0x8c
	s_mul_i32 s13, s8, s13
	s_mul_hi_u32 s35, s8, s12
	s_add_i32 s13, s35, s13
	s_mul_i32 s12, s8, s12
	s_ashr_i32 s25, s24, 31
	s_lshl_b64 s[12:13], s[12:13], 1
	s_waitcnt lgkmcnt(0)
	s_add_u32 s35, s30, s12
	s_addc_u32 s39, s31, s13
	s_abs_i32 s36, s24
	v_cvt_f32_u32_e32 v1, s36
	s_sub_i32 s30, 0, s36
	s_mov_b64 s[12:13], 0
	s_and_b32 s37, s37, 0xffff
	v_rcp_iflag_f32_e32 v3, v1
	v_mov_b32_e32 v1, s33
	s_sub_i32 s38, 0, s24
	v_mov_b32_e32 v6, s39
	v_mul_f32_e32 v3, 0x4f7ffffe, v3
	v_cvt_u32_f32_e32 v3, v3
	v_mul_lo_u32 v4, s30, v3
	v_mul_hi_u32 v4, v3, v4
	s_lshl_b64 s[30:31], s[24:25], 1
	v_add_u32_e32 v3, v3, v4
	v_mov_b32_e32 v5, s31
	v_mov_b32_e32 v4, v2
.LBB10_3:                               ; =>This Inner Loop Header: Depth=1
	v_sub_u32_e32 v8, 0, v4
	v_max_i32_e32 v8, v4, v8
	v_mul_hi_u32 v9, v8, v3
	v_mul_lo_u32 v10, v9, s36
	v_sub_u32_e32 v8, v8, v10
	v_add_u32_e32 v11, 1, v9
	v_cmp_le_u32_e32 vcc, s36, v8
	v_subrev_u32_e32 v10, s36, v8
	v_cndmask_b32_e32 v9, v9, v11, vcc
	v_cndmask_b32_e32 v8, v8, v10, vcc
	v_ashrrev_i32_e32 v7, 31, v4
	v_add_u32_e32 v10, 1, v9
	v_cmp_le_u32_e32 vcc, s36, v8
	v_xor_b32_e32 v7, s25, v7
	v_cndmask_b32_e32 v8, v9, v10, vcc
	v_xor_b32_e32 v8, v8, v7
	v_sub_u32_e32 v7, v8, v7
	v_mad_u64_u32 v[8:9], s[40:41], s38, v7, v[4:5]
	v_ashrrev_i32_e32 v9, 31, v8
	v_ashrrev_i32_e32 v12, 31, v7
	v_lshlrev_b64 v[8:9], 1, v[8:9]
	v_mul_lo_u32 v13, v7, s15
	v_mad_u64_u32 v[10:11], s[40:41], v7, s14, 0
	v_mul_lo_u32 v7, v12, s14
	v_add_co_u32_e32 v12, vcc, s9, v8
	v_add3_u32 v11, v11, v13, v7
	v_addc_co_u32_e32 v13, vcc, v1, v9, vcc
	v_add_co_u32_e32 v14, vcc, s30, v12
	v_lshlrev_b64 v[10:11], 1, v[10:11]
	v_addc_co_u32_e32 v15, vcc, v13, v5, vcc
	v_add_co_u32_e32 v7, vcc, s35, v10
	global_load_ushort v16, v[12:13], off
	global_load_ushort v17, v[14:15], off
	v_addc_co_u32_e32 v10, vcc, v6, v11, vcc
	v_add_co_u32_e32 v8, vcc, v7, v8
	v_addc_co_u32_e32 v9, vcc, v10, v9, vcc
	v_add_co_u32_e32 v10, vcc, s30, v8
	v_addc_co_u32_e32 v11, vcc, v9, v5, vcc
	global_load_ushort v7, v[8:9], off
	global_load_ushort v12, v[10:11], off
	v_add_u32_e32 v4, s37, v4
	v_cmp_le_i32_e32 vcc, s34, v4
	s_or_b64 s[12:13], vcc, s[12:13]
	s_waitcnt vmcnt(3)
	v_lshlrev_b32_e32 v13, 16, v16
	s_waitcnt vmcnt(2)
	v_lshlrev_b32_e32 v14, 16, v17
	v_cvt_f16_f32_e32 v14, v14
	v_cvt_f16_f32_e32 v13, v13
	s_waitcnt vmcnt(0)
	v_mul_f16_e32 v15, v12, v14
	v_mul_f16_e32 v14, v7, v14
	v_fma_f16 v7, v7, v13, -v15
	v_fma_f16 v12, v12, v13, v14
	global_store_short v[8:9], v7, off
	global_store_short v[10:11], v12, off
	s_andn2_b64 exec, exec, s[12:13]
	s_cbranch_execnz .LBB10_3
.LBB10_4:
	s_or_b64 exec, exec, s[0:1]
	s_load_dwordx4 s[12:15], s[6:7], 0x68
	s_waitcnt lgkmcnt(0)
	s_ashr_i32 s35, s15, 31
	s_mov_b32 s34, s15
	s_or_b64 s[0:1], s[28:29], s[34:35]
	s_mov_b32 s0, 0
	s_cmp_lg_u64 s[0:1], 0
	s_cbranch_scc0 .LBB10_14
; %bb.5:
	s_add_u32 s0, s34, s35
	s_mov_b32 s30, s35
	s_mov_b32 s31, s35
	s_addc_u32 s1, s35, s35
	s_xor_b64 s[38:39], s[0:1], s[30:31]
	v_cvt_f32_u32_e32 v1, s38
	v_cvt_f32_u32_e32 v3, s39
	s_sub_u32 s0, 0, s38
	s_subb_u32 s1, 0, s39
	v_madmk_f32 v1, v3, 0x4f800000, v1
	v_rcp_f32_e32 v1, v1
	v_mul_f32_e32 v1, 0x5f7ffffc, v1
	v_mul_f32_e32 v3, 0x2f800000, v1
	v_trunc_f32_e32 v3, v3
	v_madmk_f32 v1, v3, 0xcf800000, v1
	v_cvt_u32_f32_e32 v3, v3
	v_cvt_u32_f32_e32 v1, v1
	v_readfirstlane_b32 s15, v3
	v_readfirstlane_b32 s25, v1
	s_mul_i32 s40, s0, s15
	s_mul_hi_u32 s42, s0, s25
	s_mul_i32 s41, s1, s25
	s_add_i32 s40, s42, s40
	s_add_i32 s40, s40, s41
	s_mul_i32 s43, s0, s25
	s_mul_hi_u32 s41, s25, s40
	s_mul_i32 s42, s25, s40
	s_mul_hi_u32 s25, s25, s43
	s_add_u32 s25, s25, s42
	s_addc_u32 s41, 0, s41
	s_mul_hi_u32 s44, s15, s43
	s_mul_i32 s43, s15, s43
	s_add_u32 s25, s25, s43
	s_mul_hi_u32 s42, s15, s40
	s_addc_u32 s25, s41, s44
	s_addc_u32 s41, s42, 0
	s_mul_i32 s40, s15, s40
	s_add_u32 s25, s25, s40
	s_addc_u32 s40, 0, s41
	v_add_co_u32_e32 v1, vcc, s25, v1
	s_cmp_lg_u64 vcc, 0
	s_addc_u32 s15, s15, s40
	v_readfirstlane_b32 s40, v1
	s_mul_i32 s25, s0, s15
	s_mul_hi_u32 s41, s0, s40
	s_add_i32 s25, s41, s25
	s_mul_i32 s1, s1, s40
	s_add_i32 s25, s25, s1
	s_mul_i32 s0, s0, s40
	s_mul_hi_u32 s41, s15, s0
	s_mul_i32 s42, s15, s0
	s_mul_i32 s44, s40, s25
	s_mul_hi_u32 s0, s40, s0
	s_mul_hi_u32 s43, s40, s25
	s_add_u32 s0, s0, s44
	s_addc_u32 s40, 0, s43
	s_add_u32 s0, s0, s42
	s_mul_hi_u32 s1, s15, s25
	s_addc_u32 s0, s40, s41
	s_addc_u32 s1, s1, 0
	s_mul_i32 s25, s15, s25
	s_add_u32 s0, s0, s25
	s_addc_u32 s1, 0, s1
	v_add_co_u32_e32 v1, vcc, s0, v1
	s_cmp_lg_u64 vcc, 0
	s_addc_u32 s15, s15, s1
	s_ashr_i32 s40, s29, 31
	s_add_u32 s0, s28, s40
	s_mov_b32 s41, s40
	s_addc_u32 s1, s29, s40
	s_xor_b64 s[42:43], s[0:1], s[40:41]
	v_readfirstlane_b32 s25, v1
	s_mul_i32 s1, s42, s15
	s_mul_hi_u32 s44, s42, s25
	s_mul_hi_u32 s0, s42, s15
	s_add_u32 s1, s44, s1
	s_addc_u32 s0, 0, s0
	s_mul_hi_u32 s45, s43, s25
	s_mul_i32 s25, s43, s25
	s_add_u32 s1, s1, s25
	s_mul_hi_u32 s44, s43, s15
	s_addc_u32 s0, s0, s45
	s_addc_u32 s1, s44, 0
	s_mul_i32 s15, s43, s15
	s_add_u32 s15, s0, s15
	s_addc_u32 s25, 0, s1
	s_mul_i32 s0, s38, s25
	s_mul_hi_u32 s1, s38, s15
	s_add_i32 s0, s1, s0
	s_mul_i32 s1, s39, s15
	s_add_i32 s44, s0, s1
	s_mul_i32 s1, s38, s15
	v_mov_b32_e32 v1, s1
	s_sub_i32 s0, s43, s44
	v_sub_co_u32_e32 v1, vcc, s42, v1
	s_cmp_lg_u64 vcc, 0
	s_subb_u32 s42, s0, s39
	v_subrev_co_u32_e64 v3, s[0:1], s38, v1
	s_cmp_lg_u64 s[0:1], 0
	s_subb_u32 s0, s42, 0
	s_cmp_ge_u32 s0, s39
	v_readfirstlane_b32 s42, v3
	s_cselect_b32 s1, -1, 0
	s_cmp_ge_u32 s42, s38
	s_cselect_b32 s42, -1, 0
	s_cmp_eq_u32 s0, s39
	s_cselect_b32 s0, s42, s1
	s_add_u32 s1, s15, 1
	s_addc_u32 s42, s25, 0
	s_add_u32 s45, s15, 2
	s_addc_u32 s46, s25, 0
	s_cmp_lg_u32 s0, 0
	s_cselect_b32 s0, s45, s1
	s_cselect_b32 s1, s46, s42
	s_cmp_lg_u64 vcc, 0
	s_subb_u32 s42, s43, s44
	s_cmp_ge_u32 s42, s39
	v_readfirstlane_b32 s44, v1
	s_cselect_b32 s43, -1, 0
	s_cmp_ge_u32 s44, s38
	s_cselect_b32 s38, -1, 0
	s_cmp_eq_u32 s42, s39
	s_cselect_b32 s38, s38, s43
	s_cmp_lg_u32 s38, 0
	s_cselect_b32 s1, s1, s25
	s_cselect_b32 s0, s0, s15
	s_xor_b64 s[30:31], s[40:41], s[30:31]
	s_xor_b64 s[0:1], s[0:1], s[30:31]
	s_sub_u32 s30, s0, s30
	s_subb_u32 s31, s1, s31
	s_cbranch_execnz .LBB10_7
.LBB10_6:
	v_cvt_f32_u32_e32 v1, s34
	s_sub_i32 s0, 0, s34
	s_mov_b32 s31, 0
	v_rcp_iflag_f32_e32 v1, v1
	v_mul_f32_e32 v1, 0x4f7ffffe, v1
	v_cvt_u32_f32_e32 v1, v1
	v_readfirstlane_b32 s1, v1
	s_mul_i32 s0, s0, s1
	s_mul_hi_u32 s0, s1, s0
	s_add_i32 s1, s1, s0
	s_mul_hi_u32 s0, s28, s1
	s_mul_i32 s15, s0, s34
	s_sub_i32 s15, s28, s15
	s_add_i32 s1, s0, 1
	s_sub_i32 s25, s15, s34
	s_cmp_ge_u32 s15, s34
	s_cselect_b32 s0, s1, s0
	s_cselect_b32 s15, s25, s15
	s_add_i32 s1, s0, 1
	s_cmp_ge_u32 s15, s34
	s_cselect_b32 s30, s1, s0
.LBB10_7:
	s_mul_i32 s0, s30, s35
	s_mul_hi_u32 s1, s30, s34
	s_add_i32 s0, s1, s0
	s_mul_i32 s1, s31, s34
	s_add_i32 s0, s0, s1
	s_mul_i32 s1, s30, s34
	s_sub_u32 s38, s28, s1
	s_subb_u32 s0, s29, s0
	v_cmp_gt_i32_e32 vcc, s24, v2
	s_mul_hi_u32 s40, s30, s12
	s_mul_i32 s41, s31, s12
	s_mul_i32 s34, s30, s12
	s_mul_hi_u32 s39, s38, s13
	s_mul_i32 s31, s0, s13
	s_mul_i32 s28, s38, s13
	s_and_saveexec_b64 s[36:37], vcc
	s_cbranch_execz .LBB10_10
; %bb.8:
	s_load_dwordx2 s[0:1], s[4:5], 0x4
	v_bfe_u32 v1, v0, 10, 10
	s_mul_i32 s4, s8, s17
	s_ashr_i32 s25, s24, 31
	v_bfe_u32 v0, v0, 20, 10
	s_waitcnt lgkmcnt(0)
	s_lshr_b32 s0, s0, 16
	s_mul_i32 s0, s0, s1
	v_mul_lo_u32 v3, s0, v2
	s_mul_hi_u32 s0, s8, s16
	v_mad_u32_u24 v1, v1, s1, v3
	s_add_i32 s1, s0, s4
	s_load_dword s4, s[6:7], 0x8c
	s_mul_i32 s0, s8, s16
	s_lshl_b64 s[0:1], s[0:1], 1
	s_add_u32 s42, s20, s0
	s_addc_u32 s43, s21, s1
	s_waitcnt lgkmcnt(0)
	s_and_b32 s44, s4, 0xffff
	s_ashr_i32 s29, s12, 31
	s_ashr_i32 s48, s13, 31
	;; [unrolled: 1-line block ×3, first 2 shown]
	s_lshl_b32 s45, s44, 1
	s_lshl_b64 s[4:5], s[24:25], 1
	s_add_u32 s16, s26, s4
	s_addc_u32 s17, s27, s5
	s_add_u32 s26, s2, s16
	s_addc_u32 s27, s3, s17
	;; [unrolled: 2-line block ×3, first 2 shown]
	s_add_u32 s46, s20, s0
	s_mul_i32 s0, s30, s29
	s_mul_i32 s2, s38, s48
	s_addc_u32 s47, s21, s1
	s_add_i32 s0, s40, s0
	s_add_i32 s2, s39, s2
	;; [unrolled: 1-line block ×4, first 2 shown]
	s_lshl_b64 s[16:17], s[24:25], 2
	s_lshl_b64 s[0:1], s[34:35], 2
	;; [unrolled: 1-line block ×3, first 2 shown]
	s_add_u32 s2, s0, s2
	s_addc_u32 s3, s1, s3
	s_lshl_b64 s[0:1], s[14:15], 2
	s_add_u32 s0, s2, s0
	s_addc_u32 s1, s3, s1
	s_add_u32 s0, s10, s0
	v_lshlrev_b32_e32 v4, 2, v2
	s_addc_u32 s1, s11, s1
	v_add_lshl_u32 v1, v1, v0, 1
	s_mov_b32 s49, 0
	v_mov_b32_e32 v5, s1
	v_add_co_u32_e32 v4, vcc, s0, v4
	v_add_u32_e32 v3, 0x800, v1
	v_lshlrev_b32_e32 v0, 1, v2
	v_addc_co_u32_e32 v5, vcc, 0, v5, vcc
	s_lshl_b32 s15, s44, 2
	s_mov_b64 s[20:21], 0
	v_mov_b32_e32 v6, s17
	v_mov_b32_e32 v7, s49
	;; [unrolled: 1-line block ×3, first 2 shown]
.LBB10_9:                               ; =>This Inner Loop Header: Depth=1
	v_mov_b32_e32 v9, s33
	v_add_co_u32_e64 v16, s[4:5], s9, v0
	v_mov_b32_e32 v11, s27
	v_add_co_u32_e32 v10, vcc, s26, v0
	v_mov_b32_e32 v13, s43
	v_add_co_u32_e64 v12, s[0:1], s42, v0
	v_mov_b32_e32 v15, s47
	v_add_co_u32_e64 v14, s[2:3], s46, v0
	v_addc_co_u32_e64 v17, s[4:5], 0, v9, s[4:5]
	v_addc_co_u32_e32 v11, vcc, 0, v11, vcc
	v_addc_co_u32_e64 v13, vcc, 0, v13, s[0:1]
	v_addc_co_u32_e64 v15, vcc, 0, v15, s[2:3]
	global_load_ushort v9, v[16:17], off
	global_load_ushort v18, v[10:11], off
	;; [unrolled: 1-line block ×4, first 2 shown]
	s_add_u32 s9, s9, s45
	s_addc_u32 s33, s33, 0
	s_add_u32 s26, s26, s45
	s_addc_u32 s27, s27, 0
	s_add_u32 s46, s46, s45
	v_add_co_u32_e32 v10, vcc, s16, v4
	s_addc_u32 s47, s47, 0
	v_addc_co_u32_e32 v11, vcc, v5, v6, vcc
	v_add_u32_e32 v8, s44, v8
	s_add_u32 s42, s42, s45
	v_cmp_le_i32_e32 vcc, s24, v8
	s_addc_u32 s43, s43, 0
	s_or_b64 s[20:21], vcc, s[20:21]
	s_waitcnt vmcnt(3)
	v_lshlrev_b32_e32 v9, 16, v9
	s_waitcnt vmcnt(2)
	v_lshlrev_b32_e32 v16, 16, v18
	v_cvt_f16_f32_e32 v16, v16
	v_cvt_f16_f32_e32 v9, v9
	s_waitcnt vmcnt(1)
	v_mul_f16_e32 v17, v19, v16
	s_waitcnt vmcnt(0)
	v_mul_f16_e32 v16, v20, v16
	v_fma_f16 v17, v20, v9, -v17
	v_fma_f16 v9, v19, v9, v16
	ds_write_b16 v3, v17
	ds_write_b16 v1, v9
	global_store_short v[12:13], v17, off
	global_store_short v[14:15], v9, off
	ds_read_b32 v9, v3
	ds_read_b32 v12, v1
	s_waitcnt lgkmcnt(1)
	global_store_dword v[4:5], v9, off
	s_waitcnt lgkmcnt(0)
	global_store_dword v[10:11], v12, off
	v_add_co_u32_e32 v4, vcc, s15, v4
	v_addc_co_u32_e32 v5, vcc, v5, v7, vcc
	s_andn2_b64 exec, exec, s[20:21]
	s_cbranch_execnz .LBB10_9
.LBB10_10:
	s_or_b64 exec, exec, s[36:37]
	v_cmp_gt_i32_e32 vcc, s14, v2
	s_and_saveexec_b64 s[0:1], vcc
	s_cbranch_execz .LBB10_13
; %bb.11:
	s_mul_i32 s0, s8, s19
	s_mul_hi_u32 s1, s8, s18
	s_add_i32 s1, s1, s0
	s_mul_i32 s0, s8, s18
	s_lshl_b64 s[0:1], s[0:1], 1
	s_add_u32 s2, s22, s0
	s_addc_u32 s5, s23, s1
	s_ashr_i32 s0, s12, 31
	s_mul_i32 s0, s30, s0
	s_add_i32 s0, s40, s0
	s_add_i32 s35, s0, s41
	s_lshl_b64 s[0:1], s[34:35], 2
	s_add_u32 s3, s10, s0
	s_addc_u32 s4, s11, s1
	s_ashr_i32 s0, s13, 31
	s_mul_i32 s38, s38, s0
	s_add_i32 s0, s39, s38
	s_load_dword s6, s[6:7], 0x8c
	s_add_i32 s29, s0, s31
	s_lshl_b64 s[0:1], s[28:29], 2
	s_add_u32 s3, s3, s0
	s_addc_u32 s7, s4, s1
	s_waitcnt lgkmcnt(0)
	s_and_b32 s4, s6, 0xffff
	s_mov_b64 s[0:1], 0
	v_mov_b32_e32 v0, s5
	v_mov_b32_e32 v1, s7
.LBB10_12:                              ; =>This Inner Loop Header: Depth=1
	v_ashrrev_i32_e32 v3, 31, v2
	v_lshlrev_b64 v[4:5], 1, v[2:3]
	v_add_co_u32_e32 v4, vcc, s2, v4
	v_addc_co_u32_e32 v5, vcc, v0, v5, vcc
	global_load_dword v6, v[4:5], off
	v_lshlrev_b64 v[4:5], 2, v[2:3]
	v_add_co_u32_e32 v4, vcc, s3, v4
	v_addc_co_u32_e32 v5, vcc, v1, v5, vcc
	v_add_u32_e32 v2, s4, v2
	v_cmp_le_i32_e32 vcc, s14, v2
	s_or_b64 s[0:1], vcc, s[0:1]
	s_waitcnt vmcnt(0)
	global_store_dword v[4:5], v6, off
	s_andn2_b64 exec, exec, s[0:1]
	s_cbranch_execnz .LBB10_12
.LBB10_13:
	s_endpgm
.LBB10_14:
                                        ; implicit-def: $sgpr30_sgpr31
	s_branch .LBB10_6
	.section	.rodata,"a",@progbits
	.p2align	6, 0x0
	.amdhsa_kernel _ZN4vllm38concat_and_cache_mla_rope_fused_kernelIN3c104HalfENS1_8BFloat16ELb1EffLNS_18Fp8KVCacheDataTypeE0EEEvPKlPT_S8_PKS7_PKT0_illlliPT3_S6_iiiiPKf
		.amdhsa_group_segment_fixed_size 4096
		.amdhsa_private_segment_fixed_size 0
		.amdhsa_kernarg_size 384
		.amdhsa_user_sgpr_count 8
		.amdhsa_user_sgpr_private_segment_buffer 1
		.amdhsa_user_sgpr_dispatch_ptr 1
		.amdhsa_user_sgpr_queue_ptr 0
		.amdhsa_user_sgpr_kernarg_segment_ptr 1
		.amdhsa_user_sgpr_dispatch_id 0
		.amdhsa_user_sgpr_flat_scratch_init 0
		.amdhsa_user_sgpr_kernarg_preload_length 0
		.amdhsa_user_sgpr_kernarg_preload_offset 0
		.amdhsa_user_sgpr_private_segment_size 0
		.amdhsa_uses_dynamic_stack 0
		.amdhsa_system_sgpr_private_segment_wavefront_offset 0
		.amdhsa_system_sgpr_workgroup_id_x 1
		.amdhsa_system_sgpr_workgroup_id_y 0
		.amdhsa_system_sgpr_workgroup_id_z 0
		.amdhsa_system_sgpr_workgroup_info 0
		.amdhsa_system_vgpr_workitem_id 2
		.amdhsa_next_free_vgpr 21
		.amdhsa_next_free_sgpr 50
		.amdhsa_accum_offset 24
		.amdhsa_reserve_vcc 1
		.amdhsa_reserve_flat_scratch 0
		.amdhsa_float_round_mode_32 0
		.amdhsa_float_round_mode_16_64 0
		.amdhsa_float_denorm_mode_32 3
		.amdhsa_float_denorm_mode_16_64 3
		.amdhsa_dx10_clamp 1
		.amdhsa_ieee_mode 1
		.amdhsa_fp16_overflow 0
		.amdhsa_tg_split 0
		.amdhsa_exception_fp_ieee_invalid_op 0
		.amdhsa_exception_fp_denorm_src 0
		.amdhsa_exception_fp_ieee_div_zero 0
		.amdhsa_exception_fp_ieee_overflow 0
		.amdhsa_exception_fp_ieee_underflow 0
		.amdhsa_exception_fp_ieee_inexact 0
		.amdhsa_exception_int_div_zero 0
	.end_amdhsa_kernel
	.section	.text._ZN4vllm38concat_and_cache_mla_rope_fused_kernelIN3c104HalfENS1_8BFloat16ELb1EffLNS_18Fp8KVCacheDataTypeE0EEEvPKlPT_S8_PKS7_PKT0_illlliPT3_S6_iiiiPKf,"axG",@progbits,_ZN4vllm38concat_and_cache_mla_rope_fused_kernelIN3c104HalfENS1_8BFloat16ELb1EffLNS_18Fp8KVCacheDataTypeE0EEEvPKlPT_S8_PKS7_PKT0_illlliPT3_S6_iiiiPKf,comdat
.Lfunc_end10:
	.size	_ZN4vllm38concat_and_cache_mla_rope_fused_kernelIN3c104HalfENS1_8BFloat16ELb1EffLNS_18Fp8KVCacheDataTypeE0EEEvPKlPT_S8_PKS7_PKT0_illlliPT3_S6_iiiiPKf, .Lfunc_end10-_ZN4vllm38concat_and_cache_mla_rope_fused_kernelIN3c104HalfENS1_8BFloat16ELb1EffLNS_18Fp8KVCacheDataTypeE0EEEvPKlPT_S8_PKS7_PKT0_illlliPT3_S6_iiiiPKf
                                        ; -- End function
	.section	.AMDGPU.csdata,"",@progbits
; Kernel info:
; codeLenInByte = 2192
; NumSgprs: 54
; NumVgprs: 21
; NumAgprs: 0
; TotalNumVgprs: 21
; ScratchSize: 0
; MemoryBound: 0
; FloatMode: 240
; IeeeMode: 1
; LDSByteSize: 4096 bytes/workgroup (compile time only)
; SGPRBlocks: 6
; VGPRBlocks: 2
; NumSGPRsForWavesPerEU: 54
; NumVGPRsForWavesPerEU: 21
; AccumOffset: 24
; Occupancy: 8
; WaveLimiterHint : 1
; COMPUTE_PGM_RSRC2:SCRATCH_EN: 0
; COMPUTE_PGM_RSRC2:USER_SGPR: 8
; COMPUTE_PGM_RSRC2:TRAP_HANDLER: 0
; COMPUTE_PGM_RSRC2:TGID_X_EN: 1
; COMPUTE_PGM_RSRC2:TGID_Y_EN: 0
; COMPUTE_PGM_RSRC2:TGID_Z_EN: 0
; COMPUTE_PGM_RSRC2:TIDIG_COMP_CNT: 2
; COMPUTE_PGM_RSRC3_GFX90A:ACCUM_OFFSET: 5
; COMPUTE_PGM_RSRC3_GFX90A:TG_SPLIT: 0
	.section	.text._ZN4vllm38concat_and_cache_mla_rope_fused_kernelIN3c104HalfENS1_8BFloat16ELb0EffLNS_18Fp8KVCacheDataTypeE0EEEvPKlPT_S8_PKS7_PKT0_illlliPT3_S6_iiiiPKf,"axG",@progbits,_ZN4vllm38concat_and_cache_mla_rope_fused_kernelIN3c104HalfENS1_8BFloat16ELb0EffLNS_18Fp8KVCacheDataTypeE0EEEvPKlPT_S8_PKS7_PKT0_illlliPT3_S6_iiiiPKf,comdat
	.protected	_ZN4vllm38concat_and_cache_mla_rope_fused_kernelIN3c104HalfENS1_8BFloat16ELb0EffLNS_18Fp8KVCacheDataTypeE0EEEvPKlPT_S8_PKS7_PKT0_illlliPT3_S6_iiiiPKf ; -- Begin function _ZN4vllm38concat_and_cache_mla_rope_fused_kernelIN3c104HalfENS1_8BFloat16ELb0EffLNS_18Fp8KVCacheDataTypeE0EEEvPKlPT_S8_PKS7_PKT0_illlliPT3_S6_iiiiPKf
	.globl	_ZN4vllm38concat_and_cache_mla_rope_fused_kernelIN3c104HalfENS1_8BFloat16ELb0EffLNS_18Fp8KVCacheDataTypeE0EEEvPKlPT_S8_PKS7_PKT0_illlliPT3_S6_iiiiPKf
	.p2align	8
	.type	_ZN4vllm38concat_and_cache_mla_rope_fused_kernelIN3c104HalfENS1_8BFloat16ELb0EffLNS_18Fp8KVCacheDataTypeE0EEEvPKlPT_S8_PKS7_PKT0_illlliPT3_S6_iiiiPKf,@function
_ZN4vllm38concat_and_cache_mla_rope_fused_kernelIN3c104HalfENS1_8BFloat16ELb0EffLNS_18Fp8KVCacheDataTypeE0EEEvPKlPT_S8_PKS7_PKT0_illlliPT3_S6_iiiiPKf: ; @_ZN4vllm38concat_and_cache_mla_rope_fused_kernelIN3c104HalfENS1_8BFloat16ELb0EffLNS_18Fp8KVCacheDataTypeE0EEEvPKlPT_S8_PKS7_PKT0_illlliPT3_S6_iiiiPKf
; %bb.0:
	s_load_dwordx2 s[2:3], s[6:7], 0x60
	s_mov_b32 s9, 0
	s_lshl_b64 s[0:1], s[8:9], 3
	s_waitcnt lgkmcnt(0)
	s_add_u32 s2, s2, s0
	s_addc_u32 s3, s3, s1
	s_load_dwordx2 s[28:29], s[2:3], 0x0
	s_waitcnt lgkmcnt(0)
	v_cmp_lt_i64_e64 s[2:3], s[28:29], 0
	s_and_b64 vcc, exec, s[2:3]
	s_cbranch_vccnz .LBB11_13
; %bb.1:
	s_load_dword s9, s[6:7], 0x28
	s_load_dwordx2 s[2:3], s[6:7], 0x0
	s_load_dwordx2 s[24:25], s[6:7], 0x20
	s_load_dwordx4 s[20:23], s[6:7], 0x10
	v_and_b32_e32 v2, 0x3ff, v0
	s_waitcnt lgkmcnt(0)
	s_ashr_i32 s26, s9, 31
	s_add_u32 s0, s2, s0
	s_addc_u32 s1, s3, s1
	s_load_dwordx2 s[10:11], s[0:1], 0x0
	s_load_dwordx8 s[12:19], s[6:7], 0x30
	s_load_dwordx2 s[2:3], s[6:7], 0x58
	s_load_dword s30, s[6:7], 0x50
	v_lshlrev_b32_e32 v1, 1, v2
	s_waitcnt lgkmcnt(0)
	s_mul_i32 s0, s10, s26
	s_mul_hi_u32 s1, s10, s9
	s_add_i32 s0, s1, s0
	s_mul_i32 s1, s11, s9
	s_add_i32 s27, s0, s1
	s_lshr_b32 s0, s9, 31
	s_mul_i32 s26, s10, s9
	s_add_i32 s9, s9, s0
	s_ashr_i32 s10, s9, 1
	s_mul_i32 s9, s10, s30
	v_cmp_gt_i32_e32 vcc, s9, v2
	s_and_saveexec_b64 s[0:1], vcc
	s_cbranch_execz .LBB11_4
; %bb.2:
	s_lshl_b64 s[30:31], s[26:27], 1
	s_add_u32 s33, s24, s30
	s_addc_u32 s40, s25, s31
	s_load_dwordx2 s[30:31], s[6:7], 0x8
	s_load_dword s36, s[6:7], 0x8c
	s_mul_i32 s13, s8, s13
	s_mul_hi_u32 s34, s8, s12
	s_add_i32 s13, s34, s13
	s_mul_i32 s12, s8, s12
	s_ashr_i32 s11, s10, 31
	s_lshl_b64 s[12:13], s[12:13], 1
	s_waitcnt lgkmcnt(0)
	s_add_u32 s34, s30, s12
	s_addc_u32 s41, s31, s13
	s_abs_i32 s35, s10
	v_cvt_f32_u32_e32 v3, s35
	s_sub_i32 s12, 0, s35
	s_and_b32 s36, s36, 0xffff
	s_lshl_b64 s[30:31], s[10:11], 1
	v_rcp_iflag_f32_e32 v3, v3
	s_sub_i32 s37, 0, s10
	s_lshl_b32 s39, s36, 1
	v_mov_b32_e32 v5, s40
	v_mul_f32_e32 v3, 0x4f7ffffe, v3
	v_cvt_u32_f32_e32 v3, v3
	v_mov_b32_e32 v7, s31
	v_mov_b32_e32 v8, s41
	;; [unrolled: 1-line block ×3, first 2 shown]
	v_mul_lo_u32 v4, s12, v3
	v_mul_hi_u32 v4, v3, v4
	s_lshl_b32 s12, s10, 1
	v_add_u32_e32 v3, v3, v4
	s_sub_i32 s38, 0, s12
	s_mov_b64 s[12:13], 0
	v_mov_b32_e32 v4, v1
.LBB11_3:                               ; =>This Inner Loop Header: Depth=1
	v_sub_u32_e32 v10, 0, v6
	v_max_i32_e32 v10, v6, v10
	v_mul_hi_u32 v11, v10, v3
	v_mul_lo_u32 v12, v11, s35
	v_sub_u32_e32 v10, v10, v12
	v_add_u32_e32 v13, 1, v11
	v_cmp_le_u32_e32 vcc, s35, v10
	v_subrev_u32_e32 v12, s35, v10
	v_cndmask_b32_e32 v11, v11, v13, vcc
	v_cndmask_b32_e32 v10, v10, v12, vcc
	v_ashrrev_i32_e32 v9, 31, v6
	v_add_u32_e32 v12, 1, v11
	v_cmp_le_u32_e32 vcc, s35, v10
	v_xor_b32_e32 v9, s11, v9
	v_cndmask_b32_e32 v10, v11, v12, vcc
	v_xor_b32_e32 v10, v10, v9
	v_sub_u32_e32 v9, v10, v9
	v_mad_u64_u32 v[10:11], s[40:41], s37, v9, v[6:7]
	v_ashrrev_i32_e32 v11, 31, v10
	v_lshlrev_b64 v[10:11], 1, v[10:11]
	v_ashrrev_i32_e32 v16, 31, v9
	v_add_co_u32_e32 v10, vcc, s33, v10
	v_mul_lo_u32 v17, v9, s15
	v_mad_u64_u32 v[12:13], s[40:41], v9, s14, 0
	v_mad_u64_u32 v[14:15], s[40:41], s38, v9, v[4:5]
	v_mul_lo_u32 v9, v16, s14
	v_addc_co_u32_e32 v11, vcc, v5, v11, vcc
	v_add3_u32 v13, v13, v17, v9
	v_add_co_u32_e32 v16, vcc, s30, v10
	v_lshlrev_b64 v[12:13], 1, v[12:13]
	v_addc_co_u32_e32 v17, vcc, v11, v7, vcc
	v_add_co_u32_e32 v9, vcc, s34, v12
	v_ashrrev_i32_e32 v15, 31, v14
	v_addc_co_u32_e32 v12, vcc, v8, v13, vcc
	global_load_ushort v13, v[10:11], off
	global_load_ushort v18, v[16:17], off
	v_lshlrev_b64 v[14:15], 1, v[14:15]
	v_add_co_u32_e32 v10, vcc, v9, v14
	v_addc_co_u32_e32 v11, vcc, v12, v15, vcc
	global_load_dword v9, v[10:11], off
	v_add_u32_e32 v6, s36, v6
	v_cmp_le_i32_e32 vcc, s9, v6
	v_add_u32_e32 v4, s39, v4
	s_or_b64 s[12:13], vcc, s[12:13]
	s_waitcnt vmcnt(2)
	v_lshlrev_b32_e32 v12, 16, v13
	s_waitcnt vmcnt(1)
	v_lshlrev_b32_e32 v13, 16, v18
	v_cvt_f16_f32_e32 v13, v13
	v_cvt_f16_f32_e32 v12, v12
	s_waitcnt vmcnt(0)
	v_lshrrev_b32_e32 v14, 16, v9
	v_mul_f16_e32 v15, v14, v13
	v_mul_f16_e32 v13, v9, v13
	v_fma_f16 v9, v9, v12, -v15
	v_fma_f16 v12, v14, v12, v13
	v_pack_b32_f16 v9, v9, v12
	global_store_dword v[10:11], v9, off
	s_andn2_b64 exec, exec, s[12:13]
	s_cbranch_execnz .LBB11_3
.LBB11_4:
	s_or_b64 exec, exec, s[0:1]
	s_load_dwordx4 s[12:15], s[6:7], 0x68
	s_waitcnt lgkmcnt(0)
	s_ashr_i32 s31, s15, 31
	s_mov_b32 s30, s15
	s_or_b64 s[0:1], s[28:29], s[30:31]
	s_mov_b32 s0, 0
	s_cmp_lg_u64 s[0:1], 0
	s_cbranch_scc0 .LBB11_14
; %bb.5:
	s_add_u32 s0, s30, s31
	s_mov_b32 s36, s31
	s_mov_b32 s37, s31
	s_addc_u32 s1, s31, s31
	s_xor_b64 s[38:39], s[0:1], s[36:37]
	v_cvt_f32_u32_e32 v3, s38
	v_cvt_f32_u32_e32 v4, s39
	s_sub_u32 s0, 0, s38
	s_subb_u32 s1, 0, s39
	v_madmk_f32 v3, v4, 0x4f800000, v3
	v_rcp_f32_e32 v3, v3
	v_mul_f32_e32 v3, 0x5f7ffffc, v3
	v_mul_f32_e32 v4, 0x2f800000, v3
	v_trunc_f32_e32 v4, v4
	v_madmk_f32 v3, v4, 0xcf800000, v3
	v_cvt_u32_f32_e32 v4, v4
	v_cvt_u32_f32_e32 v3, v3
	v_readfirstlane_b32 s9, v4
	v_readfirstlane_b32 s11, v3
	s_mul_i32 s15, s0, s9
	s_mul_hi_u32 s40, s0, s11
	s_mul_i32 s33, s1, s11
	s_add_i32 s15, s40, s15
	s_add_i32 s15, s15, s33
	s_mul_i32 s41, s0, s11
	s_mul_hi_u32 s33, s11, s15
	s_mul_i32 s40, s11, s15
	s_mul_hi_u32 s11, s11, s41
	s_add_u32 s11, s11, s40
	s_addc_u32 s33, 0, s33
	s_mul_hi_u32 s42, s9, s41
	s_mul_i32 s41, s9, s41
	s_add_u32 s11, s11, s41
	s_mul_hi_u32 s40, s9, s15
	s_addc_u32 s11, s33, s42
	s_addc_u32 s33, s40, 0
	s_mul_i32 s15, s9, s15
	s_add_u32 s11, s11, s15
	s_addc_u32 s15, 0, s33
	v_add_co_u32_e32 v3, vcc, s11, v3
	s_cmp_lg_u64 vcc, 0
	s_addc_u32 s9, s9, s15
	v_readfirstlane_b32 s15, v3
	s_mul_i32 s11, s0, s9
	s_mul_hi_u32 s33, s0, s15
	s_add_i32 s11, s33, s11
	s_mul_i32 s1, s1, s15
	s_add_i32 s11, s11, s1
	s_mul_i32 s0, s0, s15
	s_mul_hi_u32 s33, s9, s0
	s_mul_i32 s40, s9, s0
	s_mul_i32 s42, s15, s11
	s_mul_hi_u32 s0, s15, s0
	s_mul_hi_u32 s41, s15, s11
	s_add_u32 s0, s0, s42
	s_addc_u32 s15, 0, s41
	s_add_u32 s0, s0, s40
	s_mul_hi_u32 s1, s9, s11
	s_addc_u32 s0, s15, s33
	s_addc_u32 s1, s1, 0
	s_mul_i32 s11, s9, s11
	s_add_u32 s0, s0, s11
	s_addc_u32 s1, 0, s1
	v_add_co_u32_e32 v3, vcc, s0, v3
	s_cmp_lg_u64 vcc, 0
	s_addc_u32 s9, s9, s1
	s_ashr_i32 s40, s29, 31
	s_add_u32 s0, s28, s40
	s_mov_b32 s41, s40
	s_addc_u32 s1, s29, s40
	s_xor_b64 s[42:43], s[0:1], s[40:41]
	v_readfirstlane_b32 s11, v3
	s_mul_i32 s1, s42, s9
	s_mul_hi_u32 s15, s42, s11
	s_mul_hi_u32 s0, s42, s9
	s_add_u32 s1, s15, s1
	s_addc_u32 s0, 0, s0
	s_mul_hi_u32 s33, s43, s11
	s_mul_i32 s11, s43, s11
	s_add_u32 s1, s1, s11
	s_mul_hi_u32 s15, s43, s9
	s_addc_u32 s0, s0, s33
	s_addc_u32 s1, s15, 0
	s_mul_i32 s9, s43, s9
	s_add_u32 s9, s0, s9
	s_addc_u32 s11, 0, s1
	s_mul_i32 s0, s38, s11
	s_mul_hi_u32 s1, s38, s9
	s_add_i32 s0, s1, s0
	s_mul_i32 s1, s39, s9
	s_add_i32 s15, s0, s1
	s_mul_i32 s1, s38, s9
	v_mov_b32_e32 v3, s1
	s_sub_i32 s0, s43, s15
	v_sub_co_u32_e32 v3, vcc, s42, v3
	s_cmp_lg_u64 vcc, 0
	s_subb_u32 s33, s0, s39
	v_subrev_co_u32_e64 v4, s[0:1], s38, v3
	s_cmp_lg_u64 s[0:1], 0
	s_subb_u32 s0, s33, 0
	s_cmp_ge_u32 s0, s39
	v_readfirstlane_b32 s33, v4
	s_cselect_b32 s1, -1, 0
	s_cmp_ge_u32 s33, s38
	s_cselect_b32 s33, -1, 0
	s_cmp_eq_u32 s0, s39
	s_cselect_b32 s0, s33, s1
	s_add_u32 s1, s9, 1
	s_addc_u32 s33, s11, 0
	s_add_u32 s42, s9, 2
	s_addc_u32 s44, s11, 0
	s_cmp_lg_u32 s0, 0
	s_cselect_b32 s0, s42, s1
	s_cselect_b32 s1, s44, s33
	s_cmp_lg_u64 vcc, 0
	s_subb_u32 s15, s43, s15
	s_cmp_ge_u32 s15, s39
	v_readfirstlane_b32 s42, v3
	s_cselect_b32 s33, -1, 0
	s_cmp_ge_u32 s42, s38
	s_cselect_b32 s38, -1, 0
	s_cmp_eq_u32 s15, s39
	s_cselect_b32 s15, s38, s33
	s_cmp_lg_u32 s15, 0
	s_cselect_b32 s1, s1, s11
	s_cselect_b32 s0, s0, s9
	s_xor_b64 s[36:37], s[40:41], s[36:37]
	s_xor_b64 s[0:1], s[0:1], s[36:37]
	s_sub_u32 s0, s0, s36
	s_subb_u32 s1, s1, s37
	s_cbranch_execnz .LBB11_7
.LBB11_6:
	v_cvt_f32_u32_e32 v3, s30
	s_sub_i32 s0, 0, s30
	s_mov_b32 s1, 0
	v_rcp_iflag_f32_e32 v3, v3
	v_mul_f32_e32 v3, 0x4f7ffffe, v3
	v_cvt_u32_f32_e32 v3, v3
	v_readfirstlane_b32 s9, v3
	s_mul_i32 s0, s0, s9
	s_mul_hi_u32 s0, s9, s0
	s_add_i32 s9, s9, s0
	s_mul_hi_u32 s0, s28, s9
	s_mul_i32 s11, s0, s30
	s_sub_i32 s11, s28, s11
	s_add_i32 s9, s0, 1
	s_sub_i32 s15, s11, s30
	s_cmp_ge_u32 s11, s30
	s_cselect_b32 s0, s9, s0
	s_cselect_b32 s11, s15, s11
	s_add_i32 s9, s0, 1
	s_cmp_ge_u32 s11, s30
	s_cselect_b32 s0, s9, s0
.LBB11_7:
	s_mul_i32 s9, s0, s31
	s_mul_hi_u32 s11, s0, s30
	s_add_i32 s9, s11, s9
	s_mul_i32 s11, s1, s30
	s_add_i32 s11, s9, s11
	s_mul_i32 s9, s0, s30
	s_sub_u32 s9, s28, s9
	s_subb_u32 s11, s29, s11
	v_cmp_gt_i32_e32 vcc, s10, v2
	s_mul_hi_u32 s36, s0, s12
	s_mul_i32 s37, s1, s12
	s_mul_i32 s30, s0, s12
	s_mul_hi_u32 s33, s9, s13
	s_mul_i32 s1, s11, s13
	s_mul_i32 s28, s9, s13
	s_and_saveexec_b64 s[34:35], vcc
	s_cbranch_execz .LBB11_10
; %bb.8:
	s_load_dwordx2 s[4:5], s[4:5], 0x4
	v_bfe_u32 v3, v0, 10, 10
	s_load_dword s29, s[6:7], 0x8c
	s_ashr_i32 s11, s10, 31
	s_ashr_i32 s31, s12, 31
	s_waitcnt lgkmcnt(0)
	s_lshr_b32 s4, s4, 16
	s_mul_i32 s4, s4, s5
	v_mul_lo_u32 v4, s4, v2
	v_mad_u32_u24 v3, v3, s5, v4
	s_ashr_i32 s39, s13, 31
	s_ashr_i32 s15, s14, 31
	s_and_b32 s38, s29, 0xffff
	s_lshl_b64 s[4:5], s[26:27], 1
	s_add_u32 s4, s24, s4
	v_bfe_u32 v0, v0, 20, 10
	s_addc_u32 s5, s25, s5
	v_add_lshl_u32 v3, v3, v0, 1
	v_mov_b32_e32 v4, s5
	v_add_co_u32_e32 v0, vcc, s4, v1
	s_lshl_b64 s[4:5], s[10:11], 1
	s_mul_i32 s11, s0, s31
	s_add_i32 s11, s36, s11
	s_add_i32 s31, s11, s37
	s_mul_i32 s11, s9, s39
	s_add_i32 s11, s33, s11
	s_add_i32 s29, s11, s1
	s_lshl_b32 s24, s38, 1
	s_lshl_b64 s[26:27], s[30:31], 2
	s_lshl_b64 s[40:41], s[28:29], 2
	s_add_u32 s11, s26, s40
	s_addc_u32 s25, s27, s41
	s_lshl_b64 s[26:27], s[14:15], 2
	s_add_u32 s15, s2, s26
	s_addc_u32 s26, s3, s27
	s_add_u32 s11, s15, s11
	s_addc_u32 s15, s26, s25
	v_mov_b32_e32 v5, s15
	s_mul_i32 s15, s17, s8
	s_mul_hi_u32 s17, s16, s8
	v_addc_co_u32_e32 v1, vcc, 0, v4, vcc
	v_lshlrev_b32_e32 v4, 3, v2
	s_add_i32 s17, s17, s15
	s_mul_i32 s16, s16, s8
	v_add_co_u32_e32 v4, vcc, s11, v4
	s_lshl_b32 s11, s38, 3
	s_lshl_b64 s[16:17], s[16:17], 1
	s_add_u32 s15, s20, s16
	v_addc_co_u32_e32 v5, vcc, 0, v5, vcc
	v_lshlrev_b32_e32 v6, 2, v2
	s_addc_u32 s16, s21, s17
	v_mov_b32_e32 v7, s16
	v_add_co_u32_e32 v6, vcc, s15, v6
	v_addc_co_u32_e32 v7, vcc, 0, v7, vcc
	s_mov_b32 s42, 0
	v_add_co_u32_e32 v6, vcc, 2, v6
	v_add_u32_e32 v8, 0x800, v3
	v_addc_co_u32_e32 v7, vcc, 0, v7, vcc
	s_lshl_b32 s15, s38, 2
	s_mov_b64 s[16:17], 0
	v_mov_b32_e32 v9, s5
	v_mov_b32_e32 v10, s42
	;; [unrolled: 1-line block ×5, first 2 shown]
	s_mov_b32 s20, s42
.LBB11_9:                               ; =>This Inner Loop Header: Depth=1
	v_add_co_u32_e32 v14, vcc, s4, v0
	global_load_ushort v16, v[0:1], off
	v_addc_co_u32_e32 v15, vcc, v1, v9, vcc
	global_load_ushort v17, v[14:15], off
	global_load_dword v18, v[6:7], off offset:-2
	v_add_co_u32_e32 v0, vcc, s24, v0
	v_add_u32_e32 v13, s38, v13
	v_addc_co_u32_e32 v1, vcc, v1, v10, vcc
	v_cmp_le_i32_e32 vcc, s10, v13
	s_or_b64 s[16:17], vcc, s[16:17]
	s_waitcnt vmcnt(2)
	v_lshlrev_b32_e32 v14, 16, v16
	v_cvt_f16_f32_e32 v14, v14
	s_waitcnt vmcnt(1)
	v_lshlrev_b32_e32 v16, 16, v17
	v_cvt_f16_f32_e32 v16, v16
	s_waitcnt vmcnt(0)
	v_lshrrev_b32_e32 v15, 16, v18
	v_mul_f16_e32 v17, v15, v16
	v_mul_f16_e32 v16, v18, v16
	v_fma_f16 v17, v18, v14, -v17
	v_fma_f16 v14, v15, v14, v16
	ds_write_b16 v8, v17
	ds_write_b16 v3, v14
	v_pack_b32_f16 v14, v17, v14
	global_store_dword v[6:7], v14, off offset:-2
	ds_read_b32 v14, v8
	ds_read_b32 v15, v3
	v_add_co_u32_e32 v6, vcc, s15, v6
	v_addc_co_u32_e32 v7, vcc, v7, v12, vcc
	s_waitcnt lgkmcnt(0)
	global_store_dwordx2 v[4:5], v[14:15], off
	v_add_co_u32_e32 v4, vcc, s11, v4
	v_addc_co_u32_e32 v5, vcc, v5, v11, vcc
	s_andn2_b64 exec, exec, s[16:17]
	s_cbranch_execnz .LBB11_9
.LBB11_10:
	s_or_b64 exec, exec, s[34:35]
	v_cmp_gt_i32_e32 vcc, s14, v2
	s_and_saveexec_b64 s[4:5], vcc
	s_cbranch_execz .LBB11_13
; %bb.11:
	s_mul_i32 s4, s8, s19
	s_mul_hi_u32 s5, s8, s18
	s_add_i32 s5, s5, s4
	s_mul_i32 s4, s8, s18
	s_lshl_b64 s[4:5], s[4:5], 1
	s_add_u32 s4, s22, s4
	s_addc_u32 s5, s23, s5
	s_ashr_i32 s8, s12, 31
	s_mul_i32 s0, s0, s8
	s_add_i32 s0, s36, s0
	s_add_i32 s31, s0, s37
	s_lshl_b64 s[10:11], s[30:31], 2
	s_add_u32 s2, s2, s10
	s_addc_u32 s3, s3, s11
	s_ashr_i32 s0, s13, 31
	s_mul_i32 s9, s9, s0
	s_add_i32 s0, s33, s9
	s_load_dword s6, s[6:7], 0x8c
	s_add_i32 s29, s0, s1
	s_lshl_b64 s[0:1], s[28:29], 2
	s_add_u32 s2, s2, s0
	s_addc_u32 s7, s3, s1
	s_waitcnt lgkmcnt(0)
	s_and_b32 s3, s6, 0xffff
	s_mov_b64 s[0:1], 0
	v_mov_b32_e32 v0, s5
	v_mov_b32_e32 v1, s7
.LBB11_12:                              ; =>This Inner Loop Header: Depth=1
	v_ashrrev_i32_e32 v3, 31, v2
	v_lshlrev_b64 v[4:5], 1, v[2:3]
	v_add_co_u32_e32 v4, vcc, s4, v4
	v_addc_co_u32_e32 v5, vcc, v0, v5, vcc
	global_load_dword v6, v[4:5], off
	v_lshlrev_b64 v[4:5], 2, v[2:3]
	v_add_co_u32_e32 v4, vcc, s2, v4
	v_addc_co_u32_e32 v5, vcc, v1, v5, vcc
	v_add_u32_e32 v2, s3, v2
	v_cmp_le_i32_e32 vcc, s14, v2
	s_or_b64 s[0:1], vcc, s[0:1]
	s_waitcnt vmcnt(0)
	global_store_dword v[4:5], v6, off
	s_andn2_b64 exec, exec, s[0:1]
	s_cbranch_execnz .LBB11_12
.LBB11_13:
	s_endpgm
.LBB11_14:
                                        ; implicit-def: $sgpr0_sgpr1
	s_branch .LBB11_6
	.section	.rodata,"a",@progbits
	.p2align	6, 0x0
	.amdhsa_kernel _ZN4vllm38concat_and_cache_mla_rope_fused_kernelIN3c104HalfENS1_8BFloat16ELb0EffLNS_18Fp8KVCacheDataTypeE0EEEvPKlPT_S8_PKS7_PKT0_illlliPT3_S6_iiiiPKf
		.amdhsa_group_segment_fixed_size 4096
		.amdhsa_private_segment_fixed_size 0
		.amdhsa_kernarg_size 384
		.amdhsa_user_sgpr_count 8
		.amdhsa_user_sgpr_private_segment_buffer 1
		.amdhsa_user_sgpr_dispatch_ptr 1
		.amdhsa_user_sgpr_queue_ptr 0
		.amdhsa_user_sgpr_kernarg_segment_ptr 1
		.amdhsa_user_sgpr_dispatch_id 0
		.amdhsa_user_sgpr_flat_scratch_init 0
		.amdhsa_user_sgpr_kernarg_preload_length 0
		.amdhsa_user_sgpr_kernarg_preload_offset 0
		.amdhsa_user_sgpr_private_segment_size 0
		.amdhsa_uses_dynamic_stack 0
		.amdhsa_system_sgpr_private_segment_wavefront_offset 0
		.amdhsa_system_sgpr_workgroup_id_x 1
		.amdhsa_system_sgpr_workgroup_id_y 0
		.amdhsa_system_sgpr_workgroup_id_z 0
		.amdhsa_system_sgpr_workgroup_info 0
		.amdhsa_system_vgpr_workitem_id 2
		.amdhsa_next_free_vgpr 19
		.amdhsa_next_free_sgpr 45
		.amdhsa_accum_offset 20
		.amdhsa_reserve_vcc 1
		.amdhsa_reserve_flat_scratch 0
		.amdhsa_float_round_mode_32 0
		.amdhsa_float_round_mode_16_64 0
		.amdhsa_float_denorm_mode_32 3
		.amdhsa_float_denorm_mode_16_64 3
		.amdhsa_dx10_clamp 1
		.amdhsa_ieee_mode 1
		.amdhsa_fp16_overflow 0
		.amdhsa_tg_split 0
		.amdhsa_exception_fp_ieee_invalid_op 0
		.amdhsa_exception_fp_denorm_src 0
		.amdhsa_exception_fp_ieee_div_zero 0
		.amdhsa_exception_fp_ieee_overflow 0
		.amdhsa_exception_fp_ieee_underflow 0
		.amdhsa_exception_fp_ieee_inexact 0
		.amdhsa_exception_int_div_zero 0
	.end_amdhsa_kernel
	.section	.text._ZN4vllm38concat_and_cache_mla_rope_fused_kernelIN3c104HalfENS1_8BFloat16ELb0EffLNS_18Fp8KVCacheDataTypeE0EEEvPKlPT_S8_PKS7_PKT0_illlliPT3_S6_iiiiPKf,"axG",@progbits,_ZN4vllm38concat_and_cache_mla_rope_fused_kernelIN3c104HalfENS1_8BFloat16ELb0EffLNS_18Fp8KVCacheDataTypeE0EEEvPKlPT_S8_PKS7_PKT0_illlliPT3_S6_iiiiPKf,comdat
.Lfunc_end11:
	.size	_ZN4vllm38concat_and_cache_mla_rope_fused_kernelIN3c104HalfENS1_8BFloat16ELb0EffLNS_18Fp8KVCacheDataTypeE0EEEvPKlPT_S8_PKS7_PKT0_illlliPT3_S6_iiiiPKf, .Lfunc_end11-_ZN4vllm38concat_and_cache_mla_rope_fused_kernelIN3c104HalfENS1_8BFloat16ELb0EffLNS_18Fp8KVCacheDataTypeE0EEEvPKlPT_S8_PKS7_PKT0_illlliPT3_S6_iiiiPKf
                                        ; -- End function
	.section	.AMDGPU.csdata,"",@progbits
; Kernel info:
; codeLenInByte = 2136
; NumSgprs: 49
; NumVgprs: 19
; NumAgprs: 0
; TotalNumVgprs: 19
; ScratchSize: 0
; MemoryBound: 0
; FloatMode: 240
; IeeeMode: 1
; LDSByteSize: 4096 bytes/workgroup (compile time only)
; SGPRBlocks: 6
; VGPRBlocks: 2
; NumSGPRsForWavesPerEU: 49
; NumVGPRsForWavesPerEU: 19
; AccumOffset: 20
; Occupancy: 8
; WaveLimiterHint : 1
; COMPUTE_PGM_RSRC2:SCRATCH_EN: 0
; COMPUTE_PGM_RSRC2:USER_SGPR: 8
; COMPUTE_PGM_RSRC2:TRAP_HANDLER: 0
; COMPUTE_PGM_RSRC2:TGID_X_EN: 1
; COMPUTE_PGM_RSRC2:TGID_Y_EN: 0
; COMPUTE_PGM_RSRC2:TGID_Z_EN: 0
; COMPUTE_PGM_RSRC2:TIDIG_COMP_CNT: 2
; COMPUTE_PGM_RSRC3_GFX90A:ACCUM_OFFSET: 4
; COMPUTE_PGM_RSRC3_GFX90A:TG_SPLIT: 0
	.section	.text._ZN4vllm38concat_and_cache_mla_rope_fused_kernelIN3c108BFloat16EfLb1EffLNS_18Fp8KVCacheDataTypeE0EEEvPKlPT_S7_PKS6_PKT0_illlliPT3_S5_iiiiPKf,"axG",@progbits,_ZN4vllm38concat_and_cache_mla_rope_fused_kernelIN3c108BFloat16EfLb1EffLNS_18Fp8KVCacheDataTypeE0EEEvPKlPT_S7_PKS6_PKT0_illlliPT3_S5_iiiiPKf,comdat
	.protected	_ZN4vllm38concat_and_cache_mla_rope_fused_kernelIN3c108BFloat16EfLb1EffLNS_18Fp8KVCacheDataTypeE0EEEvPKlPT_S7_PKS6_PKT0_illlliPT3_S5_iiiiPKf ; -- Begin function _ZN4vllm38concat_and_cache_mla_rope_fused_kernelIN3c108BFloat16EfLb1EffLNS_18Fp8KVCacheDataTypeE0EEEvPKlPT_S7_PKS6_PKT0_illlliPT3_S5_iiiiPKf
	.globl	_ZN4vllm38concat_and_cache_mla_rope_fused_kernelIN3c108BFloat16EfLb1EffLNS_18Fp8KVCacheDataTypeE0EEEvPKlPT_S7_PKS6_PKT0_illlliPT3_S5_iiiiPKf
	.p2align	8
	.type	_ZN4vllm38concat_and_cache_mla_rope_fused_kernelIN3c108BFloat16EfLb1EffLNS_18Fp8KVCacheDataTypeE0EEEvPKlPT_S7_PKS6_PKT0_illlliPT3_S5_iiiiPKf,@function
_ZN4vllm38concat_and_cache_mla_rope_fused_kernelIN3c108BFloat16EfLb1EffLNS_18Fp8KVCacheDataTypeE0EEEvPKlPT_S7_PKS6_PKT0_illlliPT3_S5_iiiiPKf: ; @_ZN4vllm38concat_and_cache_mla_rope_fused_kernelIN3c108BFloat16EfLb1EffLNS_18Fp8KVCacheDataTypeE0EEEvPKlPT_S7_PKS6_PKT0_illlliPT3_S5_iiiiPKf
; %bb.0:
	s_load_dwordx2 s[2:3], s[6:7], 0x60
	s_mov_b32 s9, 0
	s_lshl_b64 s[0:1], s[8:9], 3
	s_waitcnt lgkmcnt(0)
	s_add_u32 s2, s2, s0
	s_addc_u32 s3, s3, s1
	s_load_dwordx2 s[34:35], s[2:3], 0x0
	s_waitcnt lgkmcnt(0)
	v_cmp_lt_i64_e64 s[2:3], s[34:35], 0
	s_and_b64 vcc, exec, s[2:3]
	s_cbranch_vccnz .LBB12_13
; %bb.1:
	s_load_dword s10, s[6:7], 0x28
	s_load_dwordx2 s[2:3], s[6:7], 0x0
	s_load_dwordx2 s[28:29], s[6:7], 0x20
	s_load_dwordx4 s[20:23], s[6:7], 0x10
	v_and_b32_e32 v2, 0x3ff, v0
	s_waitcnt lgkmcnt(0)
	s_ashr_i32 s9, s10, 31
	s_add_u32 s0, s2, s0
	s_addc_u32 s1, s3, s1
	s_load_dwordx2 s[2:3], s[0:1], 0x0
	s_load_dwordx8 s[12:19], s[6:7], 0x30
	s_load_dwordx2 s[24:25], s[6:7], 0x58
	s_load_dword s11, s[6:7], 0x50
	s_waitcnt lgkmcnt(0)
	s_mul_i32 s0, s2, s9
	s_mul_hi_u32 s1, s2, s10
	s_add_i32 s0, s1, s0
	s_mul_i32 s1, s3, s10
	s_add_i32 s1, s0, s1
	s_mul_i32 s0, s2, s10
	s_lshl_b64 s[30:31], s[0:1], 2
	s_add_u32 s9, s28, s30
	s_addc_u32 s33, s29, s31
	s_lshr_b32 s0, s10, 31
	s_add_i32 s10, s10, s0
	s_ashr_i32 s26, s10, 1
	s_mul_i32 s42, s26, s11
	v_cmp_gt_i32_e32 vcc, s42, v2
	s_and_saveexec_b64 s[36:37], vcc
	s_cbranch_execz .LBB12_4
; %bb.2:
	s_load_dwordx2 s[0:1], s[6:7], 0x8
	s_load_dword s10, s[6:7], 0x8c
	s_mul_i32 s2, s8, s13
	s_mul_hi_u32 s3, s8, s12
	s_add_i32 s3, s3, s2
	s_mul_i32 s2, s8, s12
	s_ashr_i32 s27, s26, 31
	s_lshl_b64 s[2:3], s[2:3], 1
	s_waitcnt lgkmcnt(0)
	s_add_u32 s43, s0, s2
	s_addc_u32 s0, s1, s3
	s_abs_i32 s44, s26
	v_cvt_f32_u32_e32 v1, s44
	s_sub_i32 s1, 0, s44
	s_lshl_b64 s[38:39], s[26:27], 2
	s_lshl_b64 s[40:41], s[26:27], 1
	v_rcp_iflag_f32_e32 v3, v1
	s_mov_b64 s[12:13], 0
	v_mov_b32_e32 v1, s33
	s_and_b32 s45, s10, 0xffff
	v_mul_f32_e32 v3, 0x4f7ffffe, v3
	v_cvt_u32_f32_e32 v3, v3
	s_sub_i32 s46, 0, s26
	v_mov_b32_e32 v5, s39
	v_mov_b32_e32 v6, s0
	v_mul_lo_u32 v4, s1, v3
	v_mul_hi_u32 v4, v3, v4
	v_add_u32_e32 v3, v3, v4
	v_mov_b32_e32 v7, s41
	s_movk_i32 s39, 0x7fff
	v_mov_b32_e32 v8, 0x7fc00000
	v_mov_b32_e32 v9, 0x7fc0
	;; [unrolled: 1-line block ×3, first 2 shown]
.LBB12_3:                               ; =>This Inner Loop Header: Depth=1
	v_sub_u32_e32 v11, 0, v4
	v_max_i32_e32 v11, v4, v11
	v_mul_hi_u32 v12, v11, v3
	v_mul_lo_u32 v13, v12, s44
	v_sub_u32_e32 v11, v11, v13
	v_add_u32_e32 v14, 1, v12
	v_cmp_le_u32_e32 vcc, s44, v11
	v_subrev_u32_e32 v13, s44, v11
	v_cndmask_b32_e32 v12, v12, v14, vcc
	v_cndmask_b32_e32 v11, v11, v13, vcc
	v_ashrrev_i32_e32 v10, 31, v4
	v_add_u32_e32 v13, 1, v12
	v_cmp_le_u32_e32 vcc, s44, v11
	v_xor_b32_e32 v10, s27, v10
	v_cndmask_b32_e32 v11, v12, v13, vcc
	v_xor_b32_e32 v11, v11, v10
	v_sub_u32_e32 v12, v11, v10
	v_mad_u64_u32 v[10:11], s[0:1], s46, v12, v[4:5]
	v_ashrrev_i32_e32 v14, 31, v12
	v_ashrrev_i32_e32 v11, 31, v10
	v_mul_lo_u32 v17, v14, s14
	v_lshlrev_b64 v[14:15], 2, v[10:11]
	v_add_co_u32_e32 v14, vcc, s9, v14
	v_mul_lo_u32 v16, v12, s15
	v_mad_u64_u32 v[12:13], s[0:1], v12, s14, 0
	v_addc_co_u32_e32 v15, vcc, v1, v15, vcc
	v_add3_u32 v13, v13, v16, v17
	v_add_co_u32_e32 v16, vcc, s38, v14
	v_lshlrev_b64 v[12:13], 1, v[12:13]
	v_addc_co_u32_e32 v17, vcc, v15, v5, vcc
	v_add_co_u32_e32 v12, vcc, s43, v12
	v_lshlrev_b64 v[10:11], 1, v[10:11]
	v_addc_co_u32_e32 v13, vcc, v6, v13, vcc
	v_add_co_u32_e32 v10, vcc, v12, v10
	global_load_dword v18, v[14:15], off
	global_load_dword v19, v[16:17], off
	v_addc_co_u32_e32 v11, vcc, v13, v11, vcc
	v_add_co_u32_e32 v12, vcc, s40, v10
	v_addc_co_u32_e32 v13, vcc, v11, v7, vcc
	global_load_ushort v14, v[10:11], off
	global_load_ushort v16, v[12:13], off
	v_add_u32_e32 v4, s45, v4
	v_cmp_le_i32_e32 vcc, s42, v4
	s_or_b64 s[12:13], vcc, s[12:13]
	s_waitcnt vmcnt(3)
	v_bfe_u32 v15, v18, 16, 1
	s_waitcnt vmcnt(2)
	v_bfe_u32 v17, v19, 16, 1
	v_add3_u32 v15, v18, v15, s39
	v_add3_u32 v17, v19, v17, s39
	v_and_b32_e32 v20, 0xffff0000, v15
	v_cmp_o_f32_e32 vcc, v18, v18
	v_and_b32_e32 v17, 0xffff0000, v17
	s_waitcnt vmcnt(1)
	v_lshlrev_b32_e32 v15, 16, v14
	s_waitcnt vmcnt(0)
	v_lshlrev_b32_e32 v14, 16, v16
	v_cndmask_b32_e32 v16, v8, v20, vcc
	v_cmp_o_f32_e32 vcc, v19, v19
	v_cndmask_b32_e32 v17, v8, v17, vcc
	v_mov_b32_e32 v18, v15
	v_mov_b32_e32 v19, v14
	v_pk_mul_f32 v[18:19], v[16:17], v[18:19]
	v_pk_mul_f32 v[14:15], v[16:17], v[14:15]
	v_bfe_u32 v16, v18, 16, 1
	v_bfe_u32 v17, v19, 16, 1
	;; [unrolled: 1-line block ×4, first 2 shown]
	v_add3_u32 v17, v19, v17, s39
	v_add3_u32 v16, v18, v16, s39
	;; [unrolled: 1-line block ×4, first 2 shown]
	v_and_b32_e32 v16, 0xffff0000, v16
	v_and_b32_e32 v17, 0xffff0000, v17
	v_cmp_o_f32_e32 vcc, v18, v18
	v_cmp_o_f32_e64 s[10:11], v19, v19
	v_and_b32_e32 v18, 0xffff0000, v20
	v_and_b32_e32 v20, 0xffff0000, v21
	v_cmp_o_f32_e64 s[0:1], v15, v15
	v_cmp_o_f32_e64 s[2:3], v14, v14
	v_cndmask_b32_e64 v14, v8, v17, s[10:11]
	v_cndmask_b32_e32 v15, v8, v16, vcc
	v_cndmask_b32_e64 v16, v8, v20, s[0:1]
	v_cndmask_b32_e64 v17, v8, v18, s[2:3]
	v_sub_f32_e32 v14, v15, v14
	v_add_f32_e32 v15, v17, v16
	v_bfe_u32 v16, v14, 16, 1
	v_bfe_u32 v17, v15, 16, 1
	v_add3_u32 v16, v14, v16, s39
	v_add3_u32 v17, v15, v17, s39
	v_lshrrev_b32_e32 v16, 16, v16
	v_cmp_o_f32_e64 s[0:1], v14, v14
	v_lshrrev_b32_e32 v17, 16, v17
	v_cmp_o_f32_e32 vcc, v15, v15
	v_cndmask_b32_e64 v14, v9, v16, s[0:1]
	v_cndmask_b32_e32 v15, v9, v17, vcc
	global_store_short v[10:11], v14, off
	global_store_short v[12:13], v15, off
	s_andn2_b64 exec, exec, s[12:13]
	s_cbranch_execnz .LBB12_3
.LBB12_4:
	s_or_b64 exec, exec, s[36:37]
	s_load_dwordx4 s[12:15], s[6:7], 0x68
	s_waitcnt lgkmcnt(0)
	s_ashr_i32 s3, s15, 31
	s_mov_b32 s2, s15
	s_or_b64 s[0:1], s[34:35], s[2:3]
	s_mov_b32 s0, 0
	s_cmp_lg_u64 s[0:1], 0
	s_cbranch_scc0 .LBB12_14
; %bb.5:
	s_add_u32 s0, s2, s3
	s_mov_b32 s10, s3
	s_mov_b32 s11, s3
	s_addc_u32 s1, s3, s3
	s_xor_b64 s[38:39], s[0:1], s[10:11]
	v_cvt_f32_u32_e32 v1, s38
	v_cvt_f32_u32_e32 v3, s39
	s_sub_u32 s0, 0, s38
	s_subb_u32 s1, 0, s39
	v_madmk_f32 v1, v3, 0x4f800000, v1
	v_rcp_f32_e32 v1, v1
	v_mul_f32_e32 v1, 0x5f7ffffc, v1
	v_mul_f32_e32 v3, 0x2f800000, v1
	v_trunc_f32_e32 v3, v3
	v_madmk_f32 v1, v3, 0xcf800000, v1
	v_cvt_u32_f32_e32 v3, v3
	v_cvt_u32_f32_e32 v1, v1
	v_readfirstlane_b32 s15, v3
	v_readfirstlane_b32 s27, v1
	s_mul_i32 s40, s0, s15
	s_mul_hi_u32 s42, s0, s27
	s_mul_i32 s41, s1, s27
	s_add_i32 s40, s42, s40
	s_add_i32 s40, s40, s41
	s_mul_i32 s43, s0, s27
	s_mul_hi_u32 s41, s27, s40
	s_mul_i32 s42, s27, s40
	s_mul_hi_u32 s27, s27, s43
	s_add_u32 s27, s27, s42
	s_addc_u32 s41, 0, s41
	s_mul_hi_u32 s44, s15, s43
	s_mul_i32 s43, s15, s43
	s_add_u32 s27, s27, s43
	s_mul_hi_u32 s42, s15, s40
	s_addc_u32 s27, s41, s44
	s_addc_u32 s41, s42, 0
	s_mul_i32 s40, s15, s40
	s_add_u32 s27, s27, s40
	s_addc_u32 s40, 0, s41
	v_add_co_u32_e32 v1, vcc, s27, v1
	s_cmp_lg_u64 vcc, 0
	s_addc_u32 s15, s15, s40
	v_readfirstlane_b32 s40, v1
	s_mul_i32 s27, s0, s15
	s_mul_hi_u32 s41, s0, s40
	s_add_i32 s27, s41, s27
	s_mul_i32 s1, s1, s40
	s_add_i32 s27, s27, s1
	s_mul_i32 s0, s0, s40
	s_mul_hi_u32 s41, s15, s0
	s_mul_i32 s42, s15, s0
	s_mul_i32 s44, s40, s27
	s_mul_hi_u32 s0, s40, s0
	s_mul_hi_u32 s43, s40, s27
	s_add_u32 s0, s0, s44
	s_addc_u32 s40, 0, s43
	s_add_u32 s0, s0, s42
	s_mul_hi_u32 s1, s15, s27
	s_addc_u32 s0, s40, s41
	s_addc_u32 s1, s1, 0
	s_mul_i32 s27, s15, s27
	s_add_u32 s0, s0, s27
	s_addc_u32 s1, 0, s1
	v_add_co_u32_e32 v1, vcc, s0, v1
	s_cmp_lg_u64 vcc, 0
	s_addc_u32 s15, s15, s1
	s_ashr_i32 s40, s35, 31
	s_add_u32 s0, s34, s40
	s_mov_b32 s41, s40
	s_addc_u32 s1, s35, s40
	s_xor_b64 s[42:43], s[0:1], s[40:41]
	v_readfirstlane_b32 s27, v1
	s_mul_i32 s1, s42, s15
	s_mul_hi_u32 s44, s42, s27
	s_mul_hi_u32 s0, s42, s15
	s_add_u32 s1, s44, s1
	s_addc_u32 s0, 0, s0
	s_mul_hi_u32 s45, s43, s27
	s_mul_i32 s27, s43, s27
	s_add_u32 s1, s1, s27
	s_mul_hi_u32 s44, s43, s15
	s_addc_u32 s0, s0, s45
	s_addc_u32 s1, s44, 0
	s_mul_i32 s15, s43, s15
	s_add_u32 s15, s0, s15
	s_addc_u32 s27, 0, s1
	s_mul_i32 s0, s38, s27
	s_mul_hi_u32 s1, s38, s15
	s_add_i32 s0, s1, s0
	s_mul_i32 s1, s39, s15
	s_add_i32 s44, s0, s1
	s_mul_i32 s1, s38, s15
	v_mov_b32_e32 v1, s1
	s_sub_i32 s0, s43, s44
	v_sub_co_u32_e32 v1, vcc, s42, v1
	s_cmp_lg_u64 vcc, 0
	s_subb_u32 s42, s0, s39
	v_subrev_co_u32_e64 v3, s[0:1], s38, v1
	s_cmp_lg_u64 s[0:1], 0
	s_subb_u32 s0, s42, 0
	s_cmp_ge_u32 s0, s39
	v_readfirstlane_b32 s42, v3
	s_cselect_b32 s1, -1, 0
	s_cmp_ge_u32 s42, s38
	s_cselect_b32 s42, -1, 0
	s_cmp_eq_u32 s0, s39
	s_cselect_b32 s0, s42, s1
	s_add_u32 s1, s15, 1
	s_addc_u32 s42, s27, 0
	s_add_u32 s45, s15, 2
	s_addc_u32 s46, s27, 0
	s_cmp_lg_u32 s0, 0
	s_cselect_b32 s0, s45, s1
	s_cselect_b32 s1, s46, s42
	s_cmp_lg_u64 vcc, 0
	s_subb_u32 s42, s43, s44
	s_cmp_ge_u32 s42, s39
	v_readfirstlane_b32 s44, v1
	s_cselect_b32 s43, -1, 0
	s_cmp_ge_u32 s44, s38
	s_cselect_b32 s38, -1, 0
	s_cmp_eq_u32 s42, s39
	s_cselect_b32 s38, s38, s43
	s_cmp_lg_u32 s38, 0
	s_cselect_b32 s1, s1, s27
	s_cselect_b32 s0, s0, s15
	s_xor_b64 s[10:11], s[40:41], s[10:11]
	s_xor_b64 s[0:1], s[0:1], s[10:11]
	s_sub_u32 s10, s0, s10
	s_subb_u32 s11, s1, s11
	s_cbranch_execnz .LBB12_7
.LBB12_6:
	v_cvt_f32_u32_e32 v1, s2
	s_sub_i32 s0, 0, s2
	s_mov_b32 s11, 0
	v_rcp_iflag_f32_e32 v1, v1
	v_mul_f32_e32 v1, 0x4f7ffffe, v1
	v_cvt_u32_f32_e32 v1, v1
	v_readfirstlane_b32 s1, v1
	s_mul_i32 s0, s0, s1
	s_mul_hi_u32 s0, s1, s0
	s_add_i32 s1, s1, s0
	s_mul_hi_u32 s0, s34, s1
	s_mul_i32 s10, s0, s2
	s_sub_i32 s10, s34, s10
	s_add_i32 s1, s0, 1
	s_sub_i32 s15, s10, s2
	s_cmp_ge_u32 s10, s2
	s_cselect_b32 s0, s1, s0
	s_cselect_b32 s10, s15, s10
	s_add_i32 s1, s0, 1
	s_cmp_ge_u32 s10, s2
	s_cselect_b32 s10, s1, s0
.LBB12_7:
	s_mul_i32 s0, s10, s3
	s_mul_hi_u32 s1, s10, s2
	s_add_i32 s0, s1, s0
	s_mul_i32 s1, s11, s2
	s_add_i32 s0, s0, s1
	s_mul_i32 s1, s10, s2
	s_sub_u32 s40, s34, s1
	s_subb_u32 s0, s35, s0
	v_cmp_gt_i32_e32 vcc, s26, v2
	s_mul_hi_u32 s42, s10, s12
	s_mul_i32 s43, s11, s12
	s_mul_i32 s36, s10, s12
	s_mul_hi_u32 s41, s40, s13
	s_mul_i32 s11, s0, s13
	s_mul_i32 s34, s40, s13
	s_and_saveexec_b64 s[38:39], vcc
	s_cbranch_execz .LBB12_10
; %bb.8:
	s_load_dwordx2 s[0:1], s[4:5], 0x4
	s_ashr_i32 s2, s12, 31
	v_bfe_u32 v1, v0, 10, 10
	s_ashr_i32 s27, s26, 31
	s_load_dword s4, s[6:7], 0x8c
	s_waitcnt lgkmcnt(0)
	s_lshr_b32 s0, s0, 16
	s_mul_i32 s0, s0, s1
	v_mul_lo_u32 v3, s0, v2
	s_mul_i32 s0, s10, s2
	s_add_i32 s0, s42, s0
	s_add_i32 s37, s0, s43
	s_ashr_i32 s0, s13, 31
	s_mul_i32 s0, s40, s0
	s_add_i32 s0, s41, s0
	s_add_i32 s35, s0, s11
	v_mad_u32_u24 v1, v1, s1, v3
	s_lshl_b64 s[0:1], s[36:37], 2
	s_lshl_b64 s[2:3], s[34:35], 2
	s_add_u32 s45, s0, s2
	s_addc_u32 s46, s1, s3
	s_add_u32 s2, s45, s24
	s_addc_u32 s3, s46, s25
	s_ashr_i32 s15, s14, 31
	s_lshl_b64 s[0:1], s[14:15], 2
	s_add_u32 s15, s2, s0
	s_addc_u32 s35, s3, s1
	s_and_b32 s37, s4, 0xffff
	s_lshl_b32 s44, s37, 2
	s_lshl_b64 s[2:3], s[26:27], 2
	s_add_u32 s4, s30, s2
	s_addc_u32 s5, s31, s3
	s_add_u32 s30, s28, s4
	s_addc_u32 s31, s29, s5
	s_mul_i32 s4, s17, s8
	s_mul_hi_u32 s5, s16, s8
	s_add_i32 s5, s5, s4
	s_mul_i32 s4, s16, s8
	s_lshl_b64 s[28:29], s[26:27], 1
	s_lshl_b64 s[4:5], s[4:5], 1
	s_add_u32 s4, s20, s4
	s_addc_u32 s5, s21, s5
	s_lshl_b32 s20, s37, 1
	s_add_u32 s2, s45, s2
	s_addc_u32 s3, s46, s3
	s_add_u32 s0, s2, s0
	v_bfe_u32 v0, v0, 20, 10
	v_lshlrev_b32_e32 v4, 1, v2
	s_addc_u32 s1, s3, s1
	v_add_lshl_u32 v1, v1, v0, 1
	s_mov_b32 s47, 0
	v_mov_b32_e32 v5, s5
	v_add_co_u32_e32 v4, vcc, s4, v4
	s_add_u32 s21, s24, s0
	v_add_u32_e32 v3, 0x800, v1
	v_lshlrev_b32_e32 v0, 2, v2
	v_addc_co_u32_e32 v5, vcc, 0, v5, vcc
	s_addc_u32 s27, s25, s1
	s_mov_b64 s[16:17], 0
	v_mov_b32_e32 v8, s29
	s_movk_i32 s29, 0x7fff
	v_mov_b32_e32 v9, 0x7fc00000
	v_mov_b32_e32 v10, 0x7fc0
	v_mov_b32_e32 v11, s47
	v_mov_b32_e32 v12, v2
.LBB12_9:                               ; =>This Inner Loop Header: Depth=1
	v_add_co_u32_e64 v6, s[0:1], s28, v4
	v_addc_co_u32_e64 v7, s[0:1], v5, v8, s[0:1]
	v_mov_b32_e32 v13, s33
	v_mov_b32_e32 v15, s31
	v_add_co_u32_e32 v14, vcc, s30, v0
	v_add_co_u32_e64 v16, s[0:1], s9, v0
	v_addc_co_u32_e64 v17, s[0:1], 0, v13, s[0:1]
	v_addc_co_u32_e32 v15, vcc, 0, v15, vcc
	global_load_ushort v13, v[4:5], off
	global_load_dword v22, v[16:17], off
	global_load_dword v23, v[14:15], off
	global_load_ushort v18, v[6:7], off
	s_add_u32 s9, s9, s44
	s_addc_u32 s33, s33, 0
	s_add_u32 s30, s30, s44
	s_addc_u32 s31, s31, 0
	v_add_co_u32_e32 v14, vcc, s21, v0
	s_add_u32 s21, s21, s44
	v_mov_b32_e32 v15, s35
	v_mov_b32_e32 v19, s27
	v_add_co_u32_e64 v16, s[0:1], s15, v0
	s_addc_u32 s27, s27, 0
	v_add_u32_e32 v12, s37, v12
	v_addc_co_u32_e64 v17, s[0:1], 0, v15, s[0:1]
	v_addc_co_u32_e32 v15, vcc, 0, v19, vcc
	s_add_u32 s15, s15, s44
	v_cmp_le_i32_e32 vcc, s26, v12
	s_addc_u32 s35, s35, 0
	s_or_b64 s[16:17], vcc, s[16:17]
	s_waitcnt vmcnt(3)
	v_lshlrev_b32_e32 v19, 16, v13
	s_waitcnt vmcnt(2)
	v_bfe_u32 v13, v22, 16, 1
	s_waitcnt vmcnt(1)
	v_bfe_u32 v24, v23, 16, 1
	v_add3_u32 v24, v23, v24, s29
	v_add3_u32 v13, v22, v13, s29
	s_waitcnt vmcnt(0)
	v_lshlrev_b32_e32 v18, 16, v18
	v_and_b32_e32 v13, 0xffff0000, v13
	v_and_b32_e32 v24, 0xffff0000, v24
	v_cmp_o_f32_e32 vcc, v22, v22
	v_cmp_o_f32_e64 s[0:1], v23, v23
	v_mov_b32_e32 v20, v19
	v_mov_b32_e32 v21, v18
	v_cndmask_b32_e64 v23, v9, v24, s[0:1]
	v_cndmask_b32_e32 v22, v9, v13, vcc
	v_pk_mul_f32 v[20:21], v[22:23], v[20:21]
	v_pk_mul_f32 v[18:19], v[22:23], v[18:19]
	v_bfe_u32 v13, v20, 16, 1
	v_bfe_u32 v22, v21, 16, 1
	;; [unrolled: 1-line block ×4, first 2 shown]
	v_add3_u32 v22, v21, v22, s29
	v_add3_u32 v13, v20, v13, s29
	;; [unrolled: 1-line block ×4, first 2 shown]
	v_and_b32_e32 v13, 0xffff0000, v13
	v_and_b32_e32 v22, 0xffff0000, v22
	v_cmp_o_f32_e32 vcc, v20, v20
	v_cmp_o_f32_e64 s[4:5], v21, v21
	v_and_b32_e32 v20, 0xffff0000, v23
	v_and_b32_e32 v23, 0xffff0000, v24
	v_cmp_o_f32_e64 s[0:1], v19, v19
	v_cmp_o_f32_e64 s[2:3], v18, v18
	v_cndmask_b32_e64 v18, v9, v22, s[4:5]
	v_cndmask_b32_e32 v13, v9, v13, vcc
	v_cndmask_b32_e64 v19, v9, v23, s[0:1]
	v_cndmask_b32_e64 v20, v9, v20, s[2:3]
	v_sub_f32_e32 v13, v13, v18
	v_add_f32_e32 v18, v20, v19
	v_bfe_u32 v19, v13, 16, 1
	v_bfe_u32 v20, v18, 16, 1
	v_add3_u32 v19, v13, v19, s29
	v_add3_u32 v20, v18, v20, s29
	v_lshrrev_b32_e32 v19, 16, v19
	v_cmp_o_f32_e64 s[0:1], v13, v13
	v_lshrrev_b32_e32 v20, 16, v20
	v_cmp_o_f32_e32 vcc, v18, v18
	v_cndmask_b32_e64 v13, v10, v19, s[0:1]
	v_cndmask_b32_e32 v18, v10, v20, vcc
	ds_write_b16 v3, v13
	ds_write_b16 v1, v18
	global_store_short v[4:5], v13, off
	global_store_short v[6:7], v18, off
	ds_read_b32 v6, v3
	ds_read_b32 v7, v1
	v_add_co_u32_e32 v4, vcc, s20, v4
	v_addc_co_u32_e32 v5, vcc, v5, v11, vcc
	s_waitcnt lgkmcnt(1)
	global_store_dword v[16:17], v6, off
	s_waitcnt lgkmcnt(0)
	global_store_dword v[14:15], v7, off
	s_andn2_b64 exec, exec, s[16:17]
	s_cbranch_execnz .LBB12_9
.LBB12_10:
	s_or_b64 exec, exec, s[38:39]
	v_cmp_gt_i32_e32 vcc, s14, v2
	s_and_saveexec_b64 s[0:1], vcc
	s_cbranch_execz .LBB12_13
; %bb.11:
	s_mul_i32 s0, s8, s19
	s_mul_hi_u32 s1, s8, s18
	s_add_i32 s1, s1, s0
	s_mul_i32 s0, s8, s18
	s_lshl_b64 s[0:1], s[0:1], 1
	s_add_u32 s2, s22, s0
	s_addc_u32 s5, s23, s1
	s_ashr_i32 s0, s12, 31
	s_mul_i32 s0, s10, s0
	s_add_i32 s0, s42, s0
	s_add_i32 s37, s0, s43
	s_lshl_b64 s[0:1], s[36:37], 2
	s_add_u32 s3, s24, s0
	s_addc_u32 s4, s25, s1
	s_ashr_i32 s0, s13, 31
	s_mul_i32 s40, s40, s0
	s_add_i32 s0, s41, s40
	s_load_dword s6, s[6:7], 0x8c
	s_add_i32 s35, s0, s11
	s_lshl_b64 s[0:1], s[34:35], 2
	s_add_u32 s3, s3, s0
	s_addc_u32 s7, s4, s1
	s_waitcnt lgkmcnt(0)
	s_and_b32 s4, s6, 0xffff
	s_mov_b64 s[0:1], 0
	v_mov_b32_e32 v0, s5
	v_mov_b32_e32 v1, s7
.LBB12_12:                              ; =>This Inner Loop Header: Depth=1
	v_ashrrev_i32_e32 v3, 31, v2
	v_lshlrev_b64 v[4:5], 1, v[2:3]
	v_add_co_u32_e32 v4, vcc, s2, v4
	v_addc_co_u32_e32 v5, vcc, v0, v5, vcc
	global_load_dword v6, v[4:5], off
	v_lshlrev_b64 v[4:5], 2, v[2:3]
	v_add_co_u32_e32 v4, vcc, s3, v4
	v_addc_co_u32_e32 v5, vcc, v1, v5, vcc
	v_add_u32_e32 v2, s4, v2
	v_cmp_le_i32_e32 vcc, s14, v2
	s_or_b64 s[0:1], vcc, s[0:1]
	s_waitcnt vmcnt(0)
	global_store_dword v[4:5], v6, off
	s_andn2_b64 exec, exec, s[0:1]
	s_cbranch_execnz .LBB12_12
.LBB12_13:
	s_endpgm
.LBB12_14:
                                        ; implicit-def: $sgpr10_sgpr11
	s_branch .LBB12_6
	.section	.rodata,"a",@progbits
	.p2align	6, 0x0
	.amdhsa_kernel _ZN4vllm38concat_and_cache_mla_rope_fused_kernelIN3c108BFloat16EfLb1EffLNS_18Fp8KVCacheDataTypeE0EEEvPKlPT_S7_PKS6_PKT0_illlliPT3_S5_iiiiPKf
		.amdhsa_group_segment_fixed_size 4096
		.amdhsa_private_segment_fixed_size 0
		.amdhsa_kernarg_size 384
		.amdhsa_user_sgpr_count 8
		.amdhsa_user_sgpr_private_segment_buffer 1
		.amdhsa_user_sgpr_dispatch_ptr 1
		.amdhsa_user_sgpr_queue_ptr 0
		.amdhsa_user_sgpr_kernarg_segment_ptr 1
		.amdhsa_user_sgpr_dispatch_id 0
		.amdhsa_user_sgpr_flat_scratch_init 0
		.amdhsa_user_sgpr_kernarg_preload_length 0
		.amdhsa_user_sgpr_kernarg_preload_offset 0
		.amdhsa_user_sgpr_private_segment_size 0
		.amdhsa_uses_dynamic_stack 0
		.amdhsa_system_sgpr_private_segment_wavefront_offset 0
		.amdhsa_system_sgpr_workgroup_id_x 1
		.amdhsa_system_sgpr_workgroup_id_y 0
		.amdhsa_system_sgpr_workgroup_id_z 0
		.amdhsa_system_sgpr_workgroup_info 0
		.amdhsa_system_vgpr_workitem_id 2
		.amdhsa_next_free_vgpr 25
		.amdhsa_next_free_sgpr 48
		.amdhsa_accum_offset 28
		.amdhsa_reserve_vcc 1
		.amdhsa_reserve_flat_scratch 0
		.amdhsa_float_round_mode_32 0
		.amdhsa_float_round_mode_16_64 0
		.amdhsa_float_denorm_mode_32 3
		.amdhsa_float_denorm_mode_16_64 3
		.amdhsa_dx10_clamp 1
		.amdhsa_ieee_mode 1
		.amdhsa_fp16_overflow 0
		.amdhsa_tg_split 0
		.amdhsa_exception_fp_ieee_invalid_op 0
		.amdhsa_exception_fp_denorm_src 0
		.amdhsa_exception_fp_ieee_div_zero 0
		.amdhsa_exception_fp_ieee_overflow 0
		.amdhsa_exception_fp_ieee_underflow 0
		.amdhsa_exception_fp_ieee_inexact 0
		.amdhsa_exception_int_div_zero 0
	.end_amdhsa_kernel
	.section	.text._ZN4vllm38concat_and_cache_mla_rope_fused_kernelIN3c108BFloat16EfLb1EffLNS_18Fp8KVCacheDataTypeE0EEEvPKlPT_S7_PKS6_PKT0_illlliPT3_S5_iiiiPKf,"axG",@progbits,_ZN4vllm38concat_and_cache_mla_rope_fused_kernelIN3c108BFloat16EfLb1EffLNS_18Fp8KVCacheDataTypeE0EEEvPKlPT_S7_PKS6_PKT0_illlliPT3_S5_iiiiPKf,comdat
.Lfunc_end12:
	.size	_ZN4vllm38concat_and_cache_mla_rope_fused_kernelIN3c108BFloat16EfLb1EffLNS_18Fp8KVCacheDataTypeE0EEEvPKlPT_S7_PKS6_PKT0_illlliPT3_S5_iiiiPKf, .Lfunc_end12-_ZN4vllm38concat_and_cache_mla_rope_fused_kernelIN3c108BFloat16EfLb1EffLNS_18Fp8KVCacheDataTypeE0EEEvPKlPT_S7_PKS6_PKT0_illlliPT3_S5_iiiiPKf
                                        ; -- End function
	.section	.AMDGPU.csdata,"",@progbits
; Kernel info:
; codeLenInByte = 2824
; NumSgprs: 52
; NumVgprs: 25
; NumAgprs: 0
; TotalNumVgprs: 25
; ScratchSize: 0
; MemoryBound: 0
; FloatMode: 240
; IeeeMode: 1
; LDSByteSize: 4096 bytes/workgroup (compile time only)
; SGPRBlocks: 6
; VGPRBlocks: 3
; NumSGPRsForWavesPerEU: 52
; NumVGPRsForWavesPerEU: 25
; AccumOffset: 28
; Occupancy: 8
; WaveLimiterHint : 1
; COMPUTE_PGM_RSRC2:SCRATCH_EN: 0
; COMPUTE_PGM_RSRC2:USER_SGPR: 8
; COMPUTE_PGM_RSRC2:TRAP_HANDLER: 0
; COMPUTE_PGM_RSRC2:TGID_X_EN: 1
; COMPUTE_PGM_RSRC2:TGID_Y_EN: 0
; COMPUTE_PGM_RSRC2:TGID_Z_EN: 0
; COMPUTE_PGM_RSRC2:TIDIG_COMP_CNT: 2
; COMPUTE_PGM_RSRC3_GFX90A:ACCUM_OFFSET: 6
; COMPUTE_PGM_RSRC3_GFX90A:TG_SPLIT: 0
	.section	.text._ZN4vllm38concat_and_cache_mla_rope_fused_kernelIN3c108BFloat16EfLb0EffLNS_18Fp8KVCacheDataTypeE0EEEvPKlPT_S7_PKS6_PKT0_illlliPT3_S5_iiiiPKf,"axG",@progbits,_ZN4vllm38concat_and_cache_mla_rope_fused_kernelIN3c108BFloat16EfLb0EffLNS_18Fp8KVCacheDataTypeE0EEEvPKlPT_S7_PKS6_PKT0_illlliPT3_S5_iiiiPKf,comdat
	.protected	_ZN4vllm38concat_and_cache_mla_rope_fused_kernelIN3c108BFloat16EfLb0EffLNS_18Fp8KVCacheDataTypeE0EEEvPKlPT_S7_PKS6_PKT0_illlliPT3_S5_iiiiPKf ; -- Begin function _ZN4vllm38concat_and_cache_mla_rope_fused_kernelIN3c108BFloat16EfLb0EffLNS_18Fp8KVCacheDataTypeE0EEEvPKlPT_S7_PKS6_PKT0_illlliPT3_S5_iiiiPKf
	.globl	_ZN4vllm38concat_and_cache_mla_rope_fused_kernelIN3c108BFloat16EfLb0EffLNS_18Fp8KVCacheDataTypeE0EEEvPKlPT_S7_PKS6_PKT0_illlliPT3_S5_iiiiPKf
	.p2align	8
	.type	_ZN4vllm38concat_and_cache_mla_rope_fused_kernelIN3c108BFloat16EfLb0EffLNS_18Fp8KVCacheDataTypeE0EEEvPKlPT_S7_PKS6_PKT0_illlliPT3_S5_iiiiPKf,@function
_ZN4vllm38concat_and_cache_mla_rope_fused_kernelIN3c108BFloat16EfLb0EffLNS_18Fp8KVCacheDataTypeE0EEEvPKlPT_S7_PKS6_PKT0_illlliPT3_S5_iiiiPKf: ; @_ZN4vllm38concat_and_cache_mla_rope_fused_kernelIN3c108BFloat16EfLb0EffLNS_18Fp8KVCacheDataTypeE0EEEvPKlPT_S7_PKS6_PKT0_illlliPT3_S5_iiiiPKf
; %bb.0:
	s_load_dwordx2 s[2:3], s[6:7], 0x60
	s_mov_b32 s9, 0
	s_lshl_b64 s[0:1], s[8:9], 3
	s_waitcnt lgkmcnt(0)
	s_add_u32 s2, s2, s0
	s_addc_u32 s3, s3, s1
	s_load_dwordx2 s[28:29], s[2:3], 0x0
	s_waitcnt lgkmcnt(0)
	v_cmp_lt_i64_e64 s[2:3], s[28:29], 0
	s_and_b64 vcc, exec, s[2:3]
	s_cbranch_vccnz .LBB13_13
; %bb.1:
	s_load_dword s9, s[6:7], 0x28
	s_load_dwordx2 s[10:11], s[6:7], 0x0
	s_load_dwordx2 s[2:3], s[6:7], 0x20
	s_load_dwordx4 s[20:23], s[6:7], 0x10
	v_and_b32_e32 v2, 0x3ff, v0
	s_waitcnt lgkmcnt(0)
	s_ashr_i32 s26, s9, 31
	s_add_u32 s0, s10, s0
	s_addc_u32 s1, s11, s1
	s_load_dwordx2 s[24:25], s[0:1], 0x0
	s_load_dwordx8 s[12:19], s[6:7], 0x30
	s_load_dwordx2 s[10:11], s[6:7], 0x58
	s_load_dword s30, s[6:7], 0x50
	s_waitcnt lgkmcnt(0)
	s_mul_i32 s0, s24, s26
	s_mul_hi_u32 s1, s24, s9
	s_add_i32 s0, s1, s0
	s_mul_i32 s1, s25, s9
	s_add_i32 s27, s0, s1
	s_lshr_b32 s0, s9, 31
	s_mul_i32 s26, s24, s9
	s_add_i32 s9, s9, s0
	s_ashr_i32 s24, s9, 1
	s_mul_i32 s9, s24, s30
	v_cmp_gt_i32_e32 vcc, s9, v2
	s_and_saveexec_b64 s[30:31], vcc
	s_cbranch_execz .LBB13_4
; %bb.2:
	s_lshl_b64 s[0:1], s[26:27], 2
	s_add_u32 s33, s2, s0
	s_addc_u32 s34, s3, s1
	s_load_dwordx2 s[0:1], s[6:7], 0x8
	s_mul_i32 s13, s8, s13
	s_mul_hi_u32 s35, s8, s12
	s_add_i32 s13, s35, s13
	s_load_dword s35, s[6:7], 0x8c
	s_mul_i32 s12, s8, s12
	s_ashr_i32 s25, s24, 31
	s_lshl_b64 s[12:13], s[12:13], 1
	s_waitcnt lgkmcnt(0)
	s_add_u32 s36, s0, s12
	s_addc_u32 s0, s1, s13
	s_abs_i32 s37, s24
	v_cvt_f32_u32_e32 v1, s37
	s_sub_i32 s1, 0, s37
	s_and_b32 s38, s35, 0xffff
	s_sub_i32 s39, 0, s24
	v_rcp_iflag_f32_e32 v1, v1
	v_lshlrev_b32_e32 v4, 1, v2
	s_lshl_b32 s41, s38, 1
	s_mov_b64 s[12:13], 0
	v_mul_f32_e32 v1, 0x4f7ffffe, v1
	v_cvt_u32_f32_e32 v1, v1
	s_movk_i32 s42, 0x7fff
	v_mov_b32_e32 v7, s0
	v_mov_b32_e32 v8, 0x7fc00000
	v_mul_lo_u32 v3, s1, v1
	v_mul_hi_u32 v3, v1, v3
	v_add_u32_e32 v1, v1, v3
	s_lshl_b32 s1, s24, 1
	v_mov_b32_e32 v3, s34
	s_lshl_b64 s[34:35], s[24:25], 2
	s_sub_i32 s40, 0, s1
	v_mov_b32_e32 v5, s35
	v_mov_b32_e32 v9, 0x7fc0
	s_mov_b32 s35, 0x5040100
	v_mov_b32_e32 v6, v2
.LBB13_3:                               ; =>This Inner Loop Header: Depth=1
	v_sub_u32_e32 v11, 0, v6
	v_max_i32_e32 v11, v6, v11
	v_mul_hi_u32 v12, v11, v1
	v_mul_lo_u32 v13, v12, s37
	v_sub_u32_e32 v11, v11, v13
	v_add_u32_e32 v14, 1, v12
	v_cmp_le_u32_e32 vcc, s37, v11
	v_subrev_u32_e32 v13, s37, v11
	v_cndmask_b32_e32 v12, v12, v14, vcc
	v_cndmask_b32_e32 v11, v11, v13, vcc
	v_ashrrev_i32_e32 v10, 31, v6
	v_add_u32_e32 v13, 1, v12
	v_cmp_le_u32_e32 vcc, s37, v11
	v_xor_b32_e32 v10, s25, v10
	v_cndmask_b32_e32 v11, v12, v13, vcc
	v_xor_b32_e32 v11, v11, v10
	v_sub_u32_e32 v14, v11, v10
	v_mad_u64_u32 v[10:11], s[0:1], s39, v14, v[6:7]
	v_ashrrev_i32_e32 v11, 31, v10
	v_lshlrev_b64 v[10:11], 2, v[10:11]
	v_ashrrev_i32_e32 v16, 31, v14
	v_add_co_u32_e32 v10, vcc, s33, v10
	v_mul_lo_u32 v17, v14, s15
	v_mad_u64_u32 v[12:13], s[0:1], v14, s14, 0
	v_mul_lo_u32 v16, v16, s14
	v_addc_co_u32_e32 v11, vcc, v3, v11, vcc
	v_add3_u32 v13, v13, v17, v16
	v_add_co_u32_e32 v16, vcc, s34, v10
	v_mad_u64_u32 v[14:15], s[0:1], s40, v14, v[4:5]
	v_lshlrev_b64 v[12:13], 1, v[12:13]
	v_addc_co_u32_e32 v17, vcc, v11, v5, vcc
	v_ashrrev_i32_e32 v15, 31, v14
	v_add_co_u32_e32 v12, vcc, s36, v12
	v_lshlrev_b64 v[14:15], 1, v[14:15]
	v_addc_co_u32_e32 v13, vcc, v7, v13, vcc
	global_load_dword v18, v[10:11], off
	global_load_dword v19, v[16:17], off
	v_add_co_u32_e32 v10, vcc, v12, v14
	v_addc_co_u32_e32 v11, vcc, v13, v15, vcc
	global_load_dword v12, v[10:11], off
	v_add_u32_e32 v6, s38, v6
	v_cmp_le_i32_e32 vcc, s9, v6
	s_or_b64 s[12:13], vcc, s[12:13]
	v_add_u32_e32 v4, s41, v4
	s_waitcnt vmcnt(2)
	v_bfe_u32 v13, v18, 16, 1
	v_add3_u32 v13, v18, v13, s42
	s_waitcnt vmcnt(1)
	v_bfe_u32 v14, v19, 16, 1
	v_and_b32_e32 v15, 0xffff0000, v13
	v_add3_u32 v14, v19, v14, s42
	v_cmp_o_f32_e32 vcc, v18, v18
	s_waitcnt vmcnt(0)
	v_and_b32_e32 v13, 0xffff0000, v12
	v_lshlrev_b32_e32 v12, 16, v12
	v_and_b32_e32 v16, 0xffff0000, v14
	v_cndmask_b32_e32 v14, v8, v15, vcc
	v_cmp_o_f32_e32 vcc, v19, v19
	v_pk_mul_f32 v[14:15], v[14:15], v[12:13] op_sel_hi:[0,1]
	v_cndmask_b32_e32 v16, v8, v16, vcc
	v_bfe_u32 v17, v14, 16, 1
	v_bfe_u32 v18, v15, 16, 1
	v_pk_mul_f32 v[12:13], v[16:17], v[12:13] op_sel_hi:[0,1]
	v_add3_u32 v16, v15, v18, s42
	v_add3_u32 v17, v14, v17, s42
	v_bfe_u32 v18, v13, 16, 1
	v_bfe_u32 v19, v12, 16, 1
	v_and_b32_e32 v17, 0xffff0000, v17
	v_and_b32_e32 v16, 0xffff0000, v16
	v_add3_u32 v19, v12, v19, s42
	v_add3_u32 v18, v13, v18, s42
	v_cmp_o_f32_e32 vcc, v14, v14
	v_cmp_o_f32_e64 s[0:1], v15, v15
	v_and_b32_e32 v18, 0xffff0000, v18
	v_and_b32_e32 v19, 0xffff0000, v19
	v_cndmask_b32_e64 v15, v8, v16, s[0:1]
	v_cndmask_b32_e32 v14, v8, v17, vcc
	v_cmp_o_f32_e32 vcc, v13, v13
	v_cmp_o_f32_e64 s[0:1], v12, v12
	v_cndmask_b32_e64 v13, v8, v19, s[0:1]
	v_cndmask_b32_e32 v12, v8, v18, vcc
	v_pk_add_f32 v[16:17], v[14:15], v[12:13] neg_lo:[0,1] neg_hi:[0,1]
	v_pk_add_f32 v[12:13], v[14:15], v[12:13]
	v_bfe_u32 v12, v16, 16, 1
	v_bfe_u32 v14, v13, 16, 1
	v_add3_u32 v14, v13, v14, s42
	v_add3_u32 v12, v16, v12, s42
	v_lshrrev_b32_e32 v12, 16, v12
	v_lshrrev_b32_e32 v14, 16, v14
	v_cmp_o_f32_e32 vcc, v13, v13
	v_cmp_o_f32_e64 s[0:1], v16, v16
	v_cndmask_b32_e64 v12, v9, v12, s[0:1]
	v_cndmask_b32_e32 v13, v9, v14, vcc
	v_perm_b32 v12, v13, v12, s35
	global_store_dword v[10:11], v12, off
	s_andn2_b64 exec, exec, s[12:13]
	s_cbranch_execnz .LBB13_3
.LBB13_4:
	s_or_b64 exec, exec, s[30:31]
	s_load_dwordx4 s[12:15], s[6:7], 0x68
	s_waitcnt lgkmcnt(0)
	s_ashr_i32 s35, s15, 31
	s_mov_b32 s34, s15
	s_or_b64 s[0:1], s[28:29], s[34:35]
	s_mov_b32 s0, 0
	s_cmp_lg_u64 s[0:1], 0
	s_cbranch_scc0 .LBB13_14
; %bb.5:
	s_add_u32 s0, s34, s35
	s_mov_b32 s30, s35
	s_mov_b32 s31, s35
	s_addc_u32 s1, s35, s35
	s_xor_b64 s[38:39], s[0:1], s[30:31]
	v_cvt_f32_u32_e32 v1, s38
	v_cvt_f32_u32_e32 v3, s39
	s_sub_u32 s0, 0, s38
	s_subb_u32 s1, 0, s39
	v_madmk_f32 v1, v3, 0x4f800000, v1
	v_rcp_f32_e32 v1, v1
	v_mul_f32_e32 v1, 0x5f7ffffc, v1
	v_mul_f32_e32 v3, 0x2f800000, v1
	v_trunc_f32_e32 v3, v3
	v_madmk_f32 v1, v3, 0xcf800000, v1
	v_cvt_u32_f32_e32 v3, v3
	v_cvt_u32_f32_e32 v1, v1
	v_readfirstlane_b32 s9, v3
	v_readfirstlane_b32 s15, v1
	s_mul_i32 s25, s0, s9
	s_mul_hi_u32 s40, s0, s15
	s_mul_i32 s33, s1, s15
	s_add_i32 s25, s40, s25
	s_add_i32 s25, s25, s33
	s_mul_i32 s41, s0, s15
	s_mul_hi_u32 s33, s15, s25
	s_mul_i32 s40, s15, s25
	s_mul_hi_u32 s15, s15, s41
	s_add_u32 s15, s15, s40
	s_addc_u32 s33, 0, s33
	s_mul_hi_u32 s42, s9, s41
	s_mul_i32 s41, s9, s41
	s_add_u32 s15, s15, s41
	s_mul_hi_u32 s40, s9, s25
	s_addc_u32 s15, s33, s42
	s_addc_u32 s33, s40, 0
	s_mul_i32 s25, s9, s25
	s_add_u32 s15, s15, s25
	s_addc_u32 s25, 0, s33
	v_add_co_u32_e32 v1, vcc, s15, v1
	s_cmp_lg_u64 vcc, 0
	s_addc_u32 s9, s9, s25
	v_readfirstlane_b32 s25, v1
	s_mul_i32 s15, s0, s9
	s_mul_hi_u32 s33, s0, s25
	s_add_i32 s15, s33, s15
	s_mul_i32 s1, s1, s25
	s_add_i32 s15, s15, s1
	s_mul_i32 s0, s0, s25
	s_mul_hi_u32 s33, s9, s0
	s_mul_i32 s40, s9, s0
	s_mul_i32 s42, s25, s15
	s_mul_hi_u32 s0, s25, s0
	s_mul_hi_u32 s41, s25, s15
	s_add_u32 s0, s0, s42
	s_addc_u32 s25, 0, s41
	s_add_u32 s0, s0, s40
	s_mul_hi_u32 s1, s9, s15
	s_addc_u32 s0, s25, s33
	s_addc_u32 s1, s1, 0
	s_mul_i32 s15, s9, s15
	s_add_u32 s0, s0, s15
	s_addc_u32 s1, 0, s1
	v_add_co_u32_e32 v1, vcc, s0, v1
	s_cmp_lg_u64 vcc, 0
	s_addc_u32 s9, s9, s1
	s_ashr_i32 s40, s29, 31
	s_add_u32 s0, s28, s40
	s_mov_b32 s41, s40
	s_addc_u32 s1, s29, s40
	s_xor_b64 s[42:43], s[0:1], s[40:41]
	v_readfirstlane_b32 s15, v1
	s_mul_i32 s1, s42, s9
	s_mul_hi_u32 s25, s42, s15
	s_mul_hi_u32 s0, s42, s9
	s_add_u32 s1, s25, s1
	s_addc_u32 s0, 0, s0
	s_mul_hi_u32 s33, s43, s15
	s_mul_i32 s15, s43, s15
	s_add_u32 s1, s1, s15
	s_mul_hi_u32 s25, s43, s9
	s_addc_u32 s0, s0, s33
	s_addc_u32 s1, s25, 0
	s_mul_i32 s9, s43, s9
	s_add_u32 s9, s0, s9
	s_addc_u32 s15, 0, s1
	s_mul_i32 s0, s38, s15
	s_mul_hi_u32 s1, s38, s9
	s_add_i32 s0, s1, s0
	s_mul_i32 s1, s39, s9
	s_add_i32 s25, s0, s1
	s_mul_i32 s1, s38, s9
	v_mov_b32_e32 v1, s1
	s_sub_i32 s0, s43, s25
	v_sub_co_u32_e32 v1, vcc, s42, v1
	s_cmp_lg_u64 vcc, 0
	s_subb_u32 s33, s0, s39
	v_subrev_co_u32_e64 v3, s[0:1], s38, v1
	s_cmp_lg_u64 s[0:1], 0
	s_subb_u32 s0, s33, 0
	s_cmp_ge_u32 s0, s39
	v_readfirstlane_b32 s33, v3
	s_cselect_b32 s1, -1, 0
	s_cmp_ge_u32 s33, s38
	s_cselect_b32 s33, -1, 0
	s_cmp_eq_u32 s0, s39
	s_cselect_b32 s0, s33, s1
	s_add_u32 s1, s9, 1
	s_addc_u32 s33, s15, 0
	s_add_u32 s42, s9, 2
	s_addc_u32 s44, s15, 0
	s_cmp_lg_u32 s0, 0
	s_cselect_b32 s0, s42, s1
	s_cselect_b32 s1, s44, s33
	s_cmp_lg_u64 vcc, 0
	s_subb_u32 s25, s43, s25
	s_cmp_ge_u32 s25, s39
	v_readfirstlane_b32 s42, v1
	s_cselect_b32 s33, -1, 0
	s_cmp_ge_u32 s42, s38
	s_cselect_b32 s38, -1, 0
	s_cmp_eq_u32 s25, s39
	s_cselect_b32 s25, s38, s33
	s_cmp_lg_u32 s25, 0
	s_cselect_b32 s1, s1, s15
	s_cselect_b32 s0, s0, s9
	s_xor_b64 s[30:31], s[40:41], s[30:31]
	s_xor_b64 s[0:1], s[0:1], s[30:31]
	s_sub_u32 s30, s0, s30
	s_subb_u32 s31, s1, s31
	s_cbranch_execnz .LBB13_7
.LBB13_6:
	v_cvt_f32_u32_e32 v1, s34
	s_sub_i32 s0, 0, s34
	s_mov_b32 s31, 0
	v_rcp_iflag_f32_e32 v1, v1
	v_mul_f32_e32 v1, 0x4f7ffffe, v1
	v_cvt_u32_f32_e32 v1, v1
	v_readfirstlane_b32 s1, v1
	s_mul_i32 s0, s0, s1
	s_mul_hi_u32 s0, s1, s0
	s_add_i32 s1, s1, s0
	s_mul_hi_u32 s0, s28, s1
	s_mul_i32 s9, s0, s34
	s_sub_i32 s9, s28, s9
	s_add_i32 s1, s0, 1
	s_sub_i32 s15, s9, s34
	s_cmp_ge_u32 s9, s34
	s_cselect_b32 s0, s1, s0
	s_cselect_b32 s9, s15, s9
	s_add_i32 s1, s0, 1
	s_cmp_ge_u32 s9, s34
	s_cselect_b32 s30, s1, s0
.LBB13_7:
	s_mul_i32 s0, s30, s35
	s_mul_hi_u32 s1, s30, s34
	s_add_i32 s0, s1, s0
	s_mul_i32 s1, s31, s34
	s_add_i32 s0, s0, s1
	s_mul_i32 s1, s30, s34
	s_sub_u32 s33, s28, s1
	s_subb_u32 s9, s29, s0
	v_cmp_gt_i32_e32 vcc, s24, v2
	s_mul_hi_u32 s38, s30, s12
	s_mul_i32 s39, s31, s12
	s_mul_i32 s34, s30, s12
	s_mul_hi_u32 s31, s33, s13
	s_mul_i32 s9, s9, s13
	s_mul_i32 s28, s33, s13
	s_and_saveexec_b64 s[36:37], vcc
	s_cbranch_execz .LBB13_10
; %bb.8:
	s_load_dwordx2 s[0:1], s[4:5], 0x4
	v_bfe_u32 v1, v0, 10, 10
	s_load_dword s4, s[6:7], 0x8c
	s_ashr_i32 s25, s24, 31
	s_ashr_i32 s5, s12, 31
	s_waitcnt lgkmcnt(0)
	s_lshr_b32 s0, s0, 16
	s_mul_i32 s0, s0, s1
	v_mul_lo_u32 v3, s0, v2
	v_mad_u32_u24 v1, v1, s1, v3
	s_ashr_i32 s29, s13, 31
	s_ashr_i32 s15, s14, 31
	s_and_b32 s40, s4, 0xffff
	s_lshl_b64 s[0:1], s[26:27], 2
	v_bfe_u32 v0, v0, 20, 10
	s_add_u32 s0, s2, s0
	v_add_lshl_u32 v3, v1, v0, 1
	v_lshlrev_b32_e32 v0, 2, v2
	s_addc_u32 s1, s3, s1
	v_mov_b32_e32 v1, s1
	v_add_co_u32_e32 v7, vcc, s0, v0
	v_addc_co_u32_e32 v8, vcc, 0, v1, vcc
	s_lshl_b64 s[0:1], s[24:25], 2
	v_mov_b32_e32 v1, s1
	v_add_co_u32_e32 v9, vcc, s0, v7
	s_mul_i32 s0, s17, s8
	s_mul_hi_u32 s1, s16, s8
	s_add_i32 s1, s1, s0
	s_mul_i32 s0, s16, s8
	s_lshl_b32 s26, s40, 2
	s_lshl_b64 s[0:1], s[0:1], 1
	v_addc_co_u32_e32 v10, vcc, v8, v1, vcc
	s_add_u32 s0, s20, s0
	v_add_co_u32_e32 v11, vcc, s0, v0
	s_mul_i32 s0, s30, s5
	s_mul_i32 s2, s33, s29
	s_addc_u32 s1, s21, s1
	s_add_i32 s0, s38, s0
	s_add_i32 s2, s31, s2
	;; [unrolled: 1-line block ×4, first 2 shown]
	v_mov_b32_e32 v1, s1
	s_lshl_b64 s[0:1], s[34:35], 2
	s_lshl_b64 s[2:3], s[28:29], 2
	s_add_u32 s2, s0, s2
	s_addc_u32 s3, s1, s3
	s_lshl_b64 s[0:1], s[14:15], 2
	s_add_u32 s0, s10, s0
	s_addc_u32 s1, s11, s1
	s_add_u32 s0, s0, s2
	v_addc_co_u32_e32 v12, vcc, 0, v1, vcc
	v_lshlrev_b32_e32 v0, 3, v2
	s_addc_u32 s1, s1, s3
	s_mov_b32 s4, 0
	v_mov_b32_e32 v1, s1
	v_add_co_u32_e32 v0, vcc, s0, v0
	v_add_u32_e32 v6, 0x800, v3
	v_addc_co_u32_e32 v1, vcc, 0, v1, vcc
	s_lshl_b32 s15, s40, 3
	s_mov_b64 s[16:17], 0
	s_movk_i32 s25, 0x7fff
	v_mov_b32_e32 v13, 0x7fc00000
	v_mov_b32_e32 v14, 0x7fc0
	s_mov_b32 s27, 0x5040100
	v_mov_b32_e32 v15, s4
	s_mov_b64 s[20:21], 0
	v_mov_b32_e32 v16, v2
.LBB13_9:                               ; =>This Inner Loop Header: Depth=1
	v_mov_b32_e32 v5, s21
	v_add_co_u32_e64 v20, s[2:3], s20, v7
	v_add_co_u32_e32 v18, vcc, s20, v9
	v_add_co_u32_e64 v4, s[0:1], s20, v11
	v_addc_co_u32_e64 v21, s[2:3], v8, v5, s[2:3]
	v_addc_co_u32_e32 v19, vcc, v10, v5, vcc
	v_addc_co_u32_e64 v5, vcc, v12, v5, s[0:1]
	global_load_dword v17, v[20:21], off
	global_load_dword v22, v[18:19], off
	;; [unrolled: 1-line block ×3, first 2 shown]
	v_add_u32_e32 v16, s40, v16
	s_add_u32 s20, s20, s26
	s_addc_u32 s21, s21, 0
	v_cmp_le_i32_e32 vcc, s24, v16
	s_or_b64 s[16:17], vcc, s[16:17]
	s_waitcnt vmcnt(2)
	v_bfe_u32 v20, v17, 16, 1
	s_waitcnt vmcnt(1)
	v_bfe_u32 v21, v22, 16, 1
	v_add3_u32 v20, v17, v20, s25
	v_add3_u32 v21, v22, v21, s25
	v_and_b32_e32 v20, 0xffff0000, v20
	v_and_b32_e32 v21, 0xffff0000, v21
	v_cmp_o_f32_e32 vcc, v22, v22
	v_cmp_o_f32_e64 s[0:1], v17, v17
	s_waitcnt vmcnt(0)
	v_and_b32_e32 v19, 0xffff0000, v23
	v_lshlrev_b32_e32 v18, 16, v23
	v_cndmask_b32_e64 v20, v13, v20, s[0:1]
	v_cndmask_b32_e32 v22, v13, v21, vcc
	v_pk_mul_f32 v[20:21], v[20:21], v[18:19] op_sel_hi:[0,1]
	v_pk_mul_f32 v[18:19], v[22:23], v[18:19] op_sel_hi:[0,1]
	v_bfe_u32 v17, v20, 16, 1
	v_bfe_u32 v22, v21, 16, 1
	v_bfe_u32 v23, v19, 16, 1
	v_bfe_u32 v24, v18, 16, 1
	v_add3_u32 v22, v21, v22, s25
	v_add3_u32 v17, v20, v17, s25
	;; [unrolled: 1-line block ×4, first 2 shown]
	v_and_b32_e32 v17, 0xffff0000, v17
	v_and_b32_e32 v22, 0xffff0000, v22
	;; [unrolled: 1-line block ×4, first 2 shown]
	v_cmp_o_f32_e32 vcc, v20, v20
	v_cmp_o_f32_e64 s[0:1], v18, v18
	v_cmp_o_f32_e64 s[2:3], v19, v19
	;; [unrolled: 1-line block ×3, first 2 shown]
	v_cndmask_b32_e64 v19, v13, v22, s[4:5]
	v_cndmask_b32_e32 v18, v13, v17, vcc
	v_cndmask_b32_e64 v21, v13, v24, s[0:1]
	v_cndmask_b32_e64 v20, v13, v23, s[2:3]
	v_pk_add_f32 v[22:23], v[18:19], v[20:21] neg_lo:[0,1] neg_hi:[0,1]
	v_pk_add_f32 v[18:19], v[18:19], v[20:21]
	v_bfe_u32 v17, v22, 16, 1
	v_bfe_u32 v18, v19, 16, 1
	v_add3_u32 v17, v22, v17, s25
	v_add3_u32 v18, v19, v18, s25
	v_lshrrev_b32_e32 v17, 16, v17
	v_cmp_o_f32_e64 s[0:1], v22, v22
	v_lshrrev_b32_e32 v18, 16, v18
	v_cmp_o_f32_e32 vcc, v19, v19
	v_cndmask_b32_e64 v17, v14, v17, s[0:1]
	v_cndmask_b32_e32 v18, v14, v18, vcc
	ds_write_b16 v6, v17
	ds_write_b16 v3, v18
	v_perm_b32 v20, v18, v17, s27
	ds_read_b32 v18, v6
	ds_read_b32 v19, v3
	global_store_dword v[4:5], v20, off
	s_waitcnt lgkmcnt(0)
	global_store_dwordx2 v[0:1], v[18:19], off
	v_add_co_u32_e32 v0, vcc, s15, v0
	v_addc_co_u32_e32 v1, vcc, v1, v15, vcc
	s_andn2_b64 exec, exec, s[16:17]
	s_cbranch_execnz .LBB13_9
.LBB13_10:
	s_or_b64 exec, exec, s[36:37]
	v_cmp_gt_i32_e32 vcc, s14, v2
	s_and_saveexec_b64 s[0:1], vcc
	s_cbranch_execz .LBB13_13
; %bb.11:
	s_mul_i32 s0, s8, s19
	s_mul_hi_u32 s1, s8, s18
	s_add_i32 s1, s1, s0
	s_mul_i32 s0, s8, s18
	s_lshl_b64 s[0:1], s[0:1], 1
	s_add_u32 s2, s22, s0
	s_addc_u32 s5, s23, s1
	s_ashr_i32 s0, s12, 31
	s_mul_i32 s0, s30, s0
	s_add_i32 s0, s38, s0
	s_add_i32 s35, s0, s39
	s_lshl_b64 s[0:1], s[34:35], 2
	s_add_u32 s3, s10, s0
	s_addc_u32 s4, s11, s1
	s_ashr_i32 s0, s13, 31
	s_mul_i32 s33, s33, s0
	s_add_i32 s0, s31, s33
	s_load_dword s6, s[6:7], 0x8c
	s_add_i32 s29, s0, s9
	s_lshl_b64 s[0:1], s[28:29], 2
	s_add_u32 s3, s3, s0
	s_addc_u32 s7, s4, s1
	s_waitcnt lgkmcnt(0)
	s_and_b32 s4, s6, 0xffff
	s_mov_b64 s[0:1], 0
	v_mov_b32_e32 v0, s5
	v_mov_b32_e32 v1, s7
.LBB13_12:                              ; =>This Inner Loop Header: Depth=1
	v_ashrrev_i32_e32 v3, 31, v2
	v_lshlrev_b64 v[4:5], 1, v[2:3]
	v_add_co_u32_e32 v4, vcc, s2, v4
	v_addc_co_u32_e32 v5, vcc, v0, v5, vcc
	global_load_dword v6, v[4:5], off
	v_lshlrev_b64 v[4:5], 2, v[2:3]
	v_add_co_u32_e32 v4, vcc, s3, v4
	v_addc_co_u32_e32 v5, vcc, v1, v5, vcc
	v_add_u32_e32 v2, s4, v2
	v_cmp_le_i32_e32 vcc, s14, v2
	s_or_b64 s[0:1], vcc, s[0:1]
	s_waitcnt vmcnt(0)
	global_store_dword v[4:5], v6, off
	s_andn2_b64 exec, exec, s[0:1]
	s_cbranch_execnz .LBB13_12
.LBB13_13:
	s_endpgm
.LBB13_14:
                                        ; implicit-def: $sgpr30_sgpr31
	s_branch .LBB13_6
	.section	.rodata,"a",@progbits
	.p2align	6, 0x0
	.amdhsa_kernel _ZN4vllm38concat_and_cache_mla_rope_fused_kernelIN3c108BFloat16EfLb0EffLNS_18Fp8KVCacheDataTypeE0EEEvPKlPT_S7_PKS6_PKT0_illlliPT3_S5_iiiiPKf
		.amdhsa_group_segment_fixed_size 4096
		.amdhsa_private_segment_fixed_size 0
		.amdhsa_kernarg_size 384
		.amdhsa_user_sgpr_count 8
		.amdhsa_user_sgpr_private_segment_buffer 1
		.amdhsa_user_sgpr_dispatch_ptr 1
		.amdhsa_user_sgpr_queue_ptr 0
		.amdhsa_user_sgpr_kernarg_segment_ptr 1
		.amdhsa_user_sgpr_dispatch_id 0
		.amdhsa_user_sgpr_flat_scratch_init 0
		.amdhsa_user_sgpr_kernarg_preload_length 0
		.amdhsa_user_sgpr_kernarg_preload_offset 0
		.amdhsa_user_sgpr_private_segment_size 0
		.amdhsa_uses_dynamic_stack 0
		.amdhsa_system_sgpr_private_segment_wavefront_offset 0
		.amdhsa_system_sgpr_workgroup_id_x 1
		.amdhsa_system_sgpr_workgroup_id_y 0
		.amdhsa_system_sgpr_workgroup_id_z 0
		.amdhsa_system_sgpr_workgroup_info 0
		.amdhsa_system_vgpr_workitem_id 2
		.amdhsa_next_free_vgpr 25
		.amdhsa_next_free_sgpr 45
		.amdhsa_accum_offset 28
		.amdhsa_reserve_vcc 1
		.amdhsa_reserve_flat_scratch 0
		.amdhsa_float_round_mode_32 0
		.amdhsa_float_round_mode_16_64 0
		.amdhsa_float_denorm_mode_32 3
		.amdhsa_float_denorm_mode_16_64 3
		.amdhsa_dx10_clamp 1
		.amdhsa_ieee_mode 1
		.amdhsa_fp16_overflow 0
		.amdhsa_tg_split 0
		.amdhsa_exception_fp_ieee_invalid_op 0
		.amdhsa_exception_fp_denorm_src 0
		.amdhsa_exception_fp_ieee_div_zero 0
		.amdhsa_exception_fp_ieee_overflow 0
		.amdhsa_exception_fp_ieee_underflow 0
		.amdhsa_exception_fp_ieee_inexact 0
		.amdhsa_exception_int_div_zero 0
	.end_amdhsa_kernel
	.section	.text._ZN4vllm38concat_and_cache_mla_rope_fused_kernelIN3c108BFloat16EfLb0EffLNS_18Fp8KVCacheDataTypeE0EEEvPKlPT_S7_PKS6_PKT0_illlliPT3_S5_iiiiPKf,"axG",@progbits,_ZN4vllm38concat_and_cache_mla_rope_fused_kernelIN3c108BFloat16EfLb0EffLNS_18Fp8KVCacheDataTypeE0EEEvPKlPT_S7_PKS6_PKT0_illlliPT3_S5_iiiiPKf,comdat
.Lfunc_end13:
	.size	_ZN4vllm38concat_and_cache_mla_rope_fused_kernelIN3c108BFloat16EfLb0EffLNS_18Fp8KVCacheDataTypeE0EEEvPKlPT_S7_PKS6_PKT0_illlliPT3_S5_iiiiPKf, .Lfunc_end13-_ZN4vllm38concat_and_cache_mla_rope_fused_kernelIN3c108BFloat16EfLb0EffLNS_18Fp8KVCacheDataTypeE0EEEvPKlPT_S7_PKS6_PKT0_illlliPT3_S5_iiiiPKf
                                        ; -- End function
	.section	.AMDGPU.csdata,"",@progbits
; Kernel info:
; codeLenInByte = 2764
; NumSgprs: 49
; NumVgprs: 25
; NumAgprs: 0
; TotalNumVgprs: 25
; ScratchSize: 0
; MemoryBound: 0
; FloatMode: 240
; IeeeMode: 1
; LDSByteSize: 4096 bytes/workgroup (compile time only)
; SGPRBlocks: 6
; VGPRBlocks: 3
; NumSGPRsForWavesPerEU: 49
; NumVGPRsForWavesPerEU: 25
; AccumOffset: 28
; Occupancy: 8
; WaveLimiterHint : 1
; COMPUTE_PGM_RSRC2:SCRATCH_EN: 0
; COMPUTE_PGM_RSRC2:USER_SGPR: 8
; COMPUTE_PGM_RSRC2:TRAP_HANDLER: 0
; COMPUTE_PGM_RSRC2:TGID_X_EN: 1
; COMPUTE_PGM_RSRC2:TGID_Y_EN: 0
; COMPUTE_PGM_RSRC2:TGID_Z_EN: 0
; COMPUTE_PGM_RSRC2:TIDIG_COMP_CNT: 2
; COMPUTE_PGM_RSRC3_GFX90A:ACCUM_OFFSET: 6
; COMPUTE_PGM_RSRC3_GFX90A:TG_SPLIT: 0
	.section	.text._ZN4vllm38concat_and_cache_mla_rope_fused_kernelIN3c108BFloat16ENS1_4HalfELb1EffLNS_18Fp8KVCacheDataTypeE0EEEvPKlPT_S8_PKS7_PKT0_illlliPT3_S6_iiiiPKf,"axG",@progbits,_ZN4vllm38concat_and_cache_mla_rope_fused_kernelIN3c108BFloat16ENS1_4HalfELb1EffLNS_18Fp8KVCacheDataTypeE0EEEvPKlPT_S8_PKS7_PKT0_illlliPT3_S6_iiiiPKf,comdat
	.protected	_ZN4vllm38concat_and_cache_mla_rope_fused_kernelIN3c108BFloat16ENS1_4HalfELb1EffLNS_18Fp8KVCacheDataTypeE0EEEvPKlPT_S8_PKS7_PKT0_illlliPT3_S6_iiiiPKf ; -- Begin function _ZN4vllm38concat_and_cache_mla_rope_fused_kernelIN3c108BFloat16ENS1_4HalfELb1EffLNS_18Fp8KVCacheDataTypeE0EEEvPKlPT_S8_PKS7_PKT0_illlliPT3_S6_iiiiPKf
	.globl	_ZN4vllm38concat_and_cache_mla_rope_fused_kernelIN3c108BFloat16ENS1_4HalfELb1EffLNS_18Fp8KVCacheDataTypeE0EEEvPKlPT_S8_PKS7_PKT0_illlliPT3_S6_iiiiPKf
	.p2align	8
	.type	_ZN4vllm38concat_and_cache_mla_rope_fused_kernelIN3c108BFloat16ENS1_4HalfELb1EffLNS_18Fp8KVCacheDataTypeE0EEEvPKlPT_S8_PKS7_PKT0_illlliPT3_S6_iiiiPKf,@function
_ZN4vllm38concat_and_cache_mla_rope_fused_kernelIN3c108BFloat16ENS1_4HalfELb1EffLNS_18Fp8KVCacheDataTypeE0EEEvPKlPT_S8_PKS7_PKT0_illlliPT3_S6_iiiiPKf: ; @_ZN4vllm38concat_and_cache_mla_rope_fused_kernelIN3c108BFloat16ENS1_4HalfELb1EffLNS_18Fp8KVCacheDataTypeE0EEEvPKlPT_S8_PKS7_PKT0_illlliPT3_S6_iiiiPKf
; %bb.0:
	s_load_dwordx2 s[2:3], s[6:7], 0x60
	s_mov_b32 s9, 0
	s_lshl_b64 s[0:1], s[8:9], 3
	s_waitcnt lgkmcnt(0)
	s_add_u32 s2, s2, s0
	s_addc_u32 s3, s3, s1
	s_load_dwordx2 s[34:35], s[2:3], 0x0
	s_waitcnt lgkmcnt(0)
	v_cmp_lt_i64_e64 s[2:3], s[34:35], 0
	s_and_b64 vcc, exec, s[2:3]
	s_cbranch_vccnz .LBB14_13
; %bb.1:
	s_load_dword s10, s[6:7], 0x28
	s_load_dwordx2 s[2:3], s[6:7], 0x0
	s_load_dwordx2 s[28:29], s[6:7], 0x20
	s_load_dwordx4 s[20:23], s[6:7], 0x10
	v_and_b32_e32 v2, 0x3ff, v0
	s_waitcnt lgkmcnt(0)
	s_ashr_i32 s9, s10, 31
	s_add_u32 s0, s2, s0
	s_addc_u32 s1, s3, s1
	s_load_dwordx2 s[2:3], s[0:1], 0x0
	s_load_dwordx8 s[12:19], s[6:7], 0x30
	s_load_dwordx2 s[24:25], s[6:7], 0x58
	s_load_dword s11, s[6:7], 0x50
	s_waitcnt lgkmcnt(0)
	s_mul_i32 s0, s2, s9
	s_mul_hi_u32 s1, s2, s10
	s_add_i32 s0, s1, s0
	s_mul_i32 s1, s3, s10
	s_add_i32 s1, s0, s1
	s_mul_i32 s0, s2, s10
	s_lshl_b64 s[30:31], s[0:1], 1
	s_add_u32 s9, s28, s30
	s_addc_u32 s33, s29, s31
	s_lshr_b32 s0, s10, 31
	s_add_i32 s10, s10, s0
	s_ashr_i32 s26, s10, 1
	s_mul_i32 s40, s26, s11
	v_cmp_gt_i32_e32 vcc, s40, v2
	s_and_saveexec_b64 s[36:37], vcc
	s_cbranch_execz .LBB14_4
; %bb.2:
	s_load_dwordx2 s[0:1], s[6:7], 0x8
	s_load_dword s10, s[6:7], 0x8c
	s_mul_i32 s2, s8, s13
	s_mul_hi_u32 s3, s8, s12
	s_add_i32 s3, s3, s2
	s_mul_i32 s2, s8, s12
	s_ashr_i32 s27, s26, 31
	s_lshl_b64 s[2:3], s[2:3], 1
	s_waitcnt lgkmcnt(0)
	s_add_u32 s41, s0, s2
	s_addc_u32 s0, s1, s3
	s_abs_i32 s42, s26
	v_cvt_f32_u32_e32 v1, s42
	s_sub_i32 s1, 0, s42
	s_lshl_b64 s[38:39], s[26:27], 1
	s_mov_b64 s[12:13], 0
	v_rcp_iflag_f32_e32 v3, v1
	v_mov_b32_e32 v1, s33
	s_and_b32 s43, s10, 0xffff
	s_sub_i32 s44, 0, s26
	v_mul_f32_e32 v3, 0x4f7ffffe, v3
	v_cvt_u32_f32_e32 v3, v3
	v_mov_b32_e32 v5, s39
	v_mov_b32_e32 v6, s0
	s_movk_i32 s39, 0x7fff
	v_mul_lo_u32 v4, s1, v3
	v_mul_hi_u32 v4, v3, v4
	v_add_u32_e32 v3, v3, v4
	v_mov_b32_e32 v7, 0x7fc00000
	v_mov_b32_e32 v8, 0x7fc0
	v_mov_b32_e32 v4, v2
.LBB14_3:                               ; =>This Inner Loop Header: Depth=1
	v_sub_u32_e32 v10, 0, v4
	v_max_i32_e32 v10, v4, v10
	v_mul_hi_u32 v11, v10, v3
	v_mul_lo_u32 v12, v11, s42
	v_sub_u32_e32 v10, v10, v12
	v_add_u32_e32 v13, 1, v11
	v_cmp_le_u32_e32 vcc, s42, v10
	v_subrev_u32_e32 v12, s42, v10
	v_cndmask_b32_e32 v11, v11, v13, vcc
	v_cndmask_b32_e32 v10, v10, v12, vcc
	v_ashrrev_i32_e32 v9, 31, v4
	v_add_u32_e32 v12, 1, v11
	v_cmp_le_u32_e32 vcc, s42, v10
	v_xor_b32_e32 v9, s27, v9
	v_cndmask_b32_e32 v10, v11, v12, vcc
	v_xor_b32_e32 v10, v10, v9
	v_sub_u32_e32 v9, v10, v9
	v_mad_u64_u32 v[10:11], s[0:1], s44, v9, v[4:5]
	v_ashrrev_i32_e32 v11, 31, v10
	v_ashrrev_i32_e32 v14, 31, v9
	v_lshlrev_b64 v[10:11], 1, v[10:11]
	v_mul_lo_u32 v15, v9, s15
	v_mad_u64_u32 v[12:13], s[0:1], v9, s14, 0
	v_mul_lo_u32 v9, v14, s14
	v_add_co_u32_e32 v14, vcc, s9, v10
	v_add3_u32 v13, v13, v15, v9
	v_addc_co_u32_e32 v15, vcc, v1, v11, vcc
	v_add_co_u32_e32 v16, vcc, s38, v14
	v_lshlrev_b64 v[12:13], 1, v[12:13]
	v_addc_co_u32_e32 v17, vcc, v15, v5, vcc
	v_add_co_u32_e32 v9, vcc, s41, v12
	v_addc_co_u32_e32 v12, vcc, v6, v13, vcc
	global_load_ushort v18, v[14:15], off
	global_load_ushort v19, v[16:17], off
	v_add_co_u32_e32 v10, vcc, v9, v10
	v_addc_co_u32_e32 v11, vcc, v12, v11, vcc
	v_add_co_u32_e32 v12, vcc, s38, v10
	v_addc_co_u32_e32 v13, vcc, v11, v5, vcc
	global_load_ushort v9, v[10:11], off
	global_load_ushort v14, v[12:13], off
	v_add_u32_e32 v4, s43, v4
	v_cmp_le_i32_e32 vcc, s40, v4
	s_or_b64 s[12:13], vcc, s[12:13]
	s_waitcnt vmcnt(3)
	v_cvt_f32_f16_e32 v20, v18
	s_waitcnt vmcnt(2)
	v_cvt_f32_f16_e32 v21, v19
	v_cmp_o_f16_e32 vcc, v18, v18
	v_bfe_u32 v22, v21, 16, 1
	s_waitcnt vmcnt(1)
	v_lshlrev_b32_e32 v15, 16, v9
	v_bfe_u32 v9, v20, 16, 1
	v_add3_u32 v9, v20, v9, s39
	v_add3_u32 v20, v21, v22, s39
	v_and_b32_e32 v9, 0xffff0000, v9
	s_waitcnt vmcnt(0)
	v_lshlrev_b32_e32 v14, 16, v14
	v_and_b32_e32 v20, 0xffff0000, v20
	v_cndmask_b32_e32 v18, v7, v9, vcc
	v_cmp_o_f16_e32 vcc, v19, v19
	v_mov_b32_e32 v16, v15
	v_mov_b32_e32 v17, v14
	v_cndmask_b32_e32 v19, v7, v20, vcc
	v_pk_mul_f32 v[16:17], v[18:19], v[16:17]
	v_pk_mul_f32 v[14:15], v[18:19], v[14:15]
	v_bfe_u32 v9, v16, 16, 1
	v_bfe_u32 v18, v17, 16, 1
	;; [unrolled: 1-line block ×4, first 2 shown]
	v_add3_u32 v18, v17, v18, s39
	v_add3_u32 v9, v16, v9, s39
	;; [unrolled: 1-line block ×4, first 2 shown]
	v_and_b32_e32 v9, 0xffff0000, v9
	v_and_b32_e32 v18, 0xffff0000, v18
	v_cmp_o_f32_e32 vcc, v16, v16
	v_cmp_o_f32_e64 s[10:11], v17, v17
	v_and_b32_e32 v16, 0xffff0000, v19
	v_and_b32_e32 v19, 0xffff0000, v20
	v_cmp_o_f32_e64 s[0:1], v15, v15
	v_cmp_o_f32_e64 s[2:3], v14, v14
	v_cndmask_b32_e64 v14, v7, v18, s[10:11]
	v_cndmask_b32_e32 v9, v7, v9, vcc
	v_cndmask_b32_e64 v15, v7, v19, s[0:1]
	v_cndmask_b32_e64 v16, v7, v16, s[2:3]
	v_sub_f32_e32 v9, v9, v14
	v_add_f32_e32 v14, v16, v15
	v_bfe_u32 v15, v9, 16, 1
	v_bfe_u32 v16, v14, 16, 1
	v_add3_u32 v15, v9, v15, s39
	v_add3_u32 v16, v14, v16, s39
	v_lshrrev_b32_e32 v15, 16, v15
	v_cmp_o_f32_e64 s[0:1], v9, v9
	v_lshrrev_b32_e32 v16, 16, v16
	v_cmp_o_f32_e32 vcc, v14, v14
	v_cndmask_b32_e64 v9, v8, v15, s[0:1]
	v_cndmask_b32_e32 v14, v8, v16, vcc
	global_store_short v[10:11], v9, off
	global_store_short v[12:13], v14, off
	s_andn2_b64 exec, exec, s[12:13]
	s_cbranch_execnz .LBB14_3
.LBB14_4:
	s_or_b64 exec, exec, s[36:37]
	s_load_dwordx4 s[12:15], s[6:7], 0x68
	s_waitcnt lgkmcnt(0)
	s_ashr_i32 s3, s15, 31
	s_mov_b32 s2, s15
	s_or_b64 s[0:1], s[34:35], s[2:3]
	s_mov_b32 s0, 0
	s_cmp_lg_u64 s[0:1], 0
	s_cbranch_scc0 .LBB14_14
; %bb.5:
	s_add_u32 s0, s2, s3
	s_mov_b32 s10, s3
	s_mov_b32 s11, s3
	s_addc_u32 s1, s3, s3
	s_xor_b64 s[38:39], s[0:1], s[10:11]
	v_cvt_f32_u32_e32 v1, s38
	v_cvt_f32_u32_e32 v3, s39
	s_sub_u32 s0, 0, s38
	s_subb_u32 s1, 0, s39
	v_madmk_f32 v1, v3, 0x4f800000, v1
	v_rcp_f32_e32 v1, v1
	v_mul_f32_e32 v1, 0x5f7ffffc, v1
	v_mul_f32_e32 v3, 0x2f800000, v1
	v_trunc_f32_e32 v3, v3
	v_madmk_f32 v1, v3, 0xcf800000, v1
	v_cvt_u32_f32_e32 v3, v3
	v_cvt_u32_f32_e32 v1, v1
	v_readfirstlane_b32 s15, v3
	v_readfirstlane_b32 s27, v1
	s_mul_i32 s40, s0, s15
	s_mul_hi_u32 s42, s0, s27
	s_mul_i32 s41, s1, s27
	s_add_i32 s40, s42, s40
	s_add_i32 s40, s40, s41
	s_mul_i32 s43, s0, s27
	s_mul_hi_u32 s41, s27, s40
	s_mul_i32 s42, s27, s40
	s_mul_hi_u32 s27, s27, s43
	s_add_u32 s27, s27, s42
	s_addc_u32 s41, 0, s41
	s_mul_hi_u32 s44, s15, s43
	s_mul_i32 s43, s15, s43
	s_add_u32 s27, s27, s43
	s_mul_hi_u32 s42, s15, s40
	s_addc_u32 s27, s41, s44
	s_addc_u32 s41, s42, 0
	s_mul_i32 s40, s15, s40
	s_add_u32 s27, s27, s40
	s_addc_u32 s40, 0, s41
	v_add_co_u32_e32 v1, vcc, s27, v1
	s_cmp_lg_u64 vcc, 0
	s_addc_u32 s15, s15, s40
	v_readfirstlane_b32 s40, v1
	s_mul_i32 s27, s0, s15
	s_mul_hi_u32 s41, s0, s40
	s_add_i32 s27, s41, s27
	s_mul_i32 s1, s1, s40
	s_add_i32 s27, s27, s1
	s_mul_i32 s0, s0, s40
	s_mul_hi_u32 s41, s15, s0
	s_mul_i32 s42, s15, s0
	s_mul_i32 s44, s40, s27
	s_mul_hi_u32 s0, s40, s0
	s_mul_hi_u32 s43, s40, s27
	s_add_u32 s0, s0, s44
	s_addc_u32 s40, 0, s43
	s_add_u32 s0, s0, s42
	s_mul_hi_u32 s1, s15, s27
	s_addc_u32 s0, s40, s41
	s_addc_u32 s1, s1, 0
	s_mul_i32 s27, s15, s27
	s_add_u32 s0, s0, s27
	s_addc_u32 s1, 0, s1
	v_add_co_u32_e32 v1, vcc, s0, v1
	s_cmp_lg_u64 vcc, 0
	s_addc_u32 s15, s15, s1
	s_ashr_i32 s40, s35, 31
	s_add_u32 s0, s34, s40
	s_mov_b32 s41, s40
	s_addc_u32 s1, s35, s40
	s_xor_b64 s[42:43], s[0:1], s[40:41]
	v_readfirstlane_b32 s27, v1
	s_mul_i32 s1, s42, s15
	s_mul_hi_u32 s44, s42, s27
	s_mul_hi_u32 s0, s42, s15
	s_add_u32 s1, s44, s1
	s_addc_u32 s0, 0, s0
	s_mul_hi_u32 s45, s43, s27
	s_mul_i32 s27, s43, s27
	s_add_u32 s1, s1, s27
	s_mul_hi_u32 s44, s43, s15
	s_addc_u32 s0, s0, s45
	s_addc_u32 s1, s44, 0
	s_mul_i32 s15, s43, s15
	s_add_u32 s15, s0, s15
	s_addc_u32 s27, 0, s1
	s_mul_i32 s0, s38, s27
	s_mul_hi_u32 s1, s38, s15
	s_add_i32 s0, s1, s0
	s_mul_i32 s1, s39, s15
	s_add_i32 s44, s0, s1
	s_mul_i32 s1, s38, s15
	v_mov_b32_e32 v1, s1
	s_sub_i32 s0, s43, s44
	v_sub_co_u32_e32 v1, vcc, s42, v1
	s_cmp_lg_u64 vcc, 0
	s_subb_u32 s42, s0, s39
	v_subrev_co_u32_e64 v3, s[0:1], s38, v1
	s_cmp_lg_u64 s[0:1], 0
	s_subb_u32 s0, s42, 0
	s_cmp_ge_u32 s0, s39
	v_readfirstlane_b32 s42, v3
	s_cselect_b32 s1, -1, 0
	s_cmp_ge_u32 s42, s38
	s_cselect_b32 s42, -1, 0
	s_cmp_eq_u32 s0, s39
	s_cselect_b32 s0, s42, s1
	s_add_u32 s1, s15, 1
	s_addc_u32 s42, s27, 0
	s_add_u32 s45, s15, 2
	s_addc_u32 s46, s27, 0
	s_cmp_lg_u32 s0, 0
	s_cselect_b32 s0, s45, s1
	s_cselect_b32 s1, s46, s42
	s_cmp_lg_u64 vcc, 0
	s_subb_u32 s42, s43, s44
	s_cmp_ge_u32 s42, s39
	v_readfirstlane_b32 s44, v1
	s_cselect_b32 s43, -1, 0
	s_cmp_ge_u32 s44, s38
	s_cselect_b32 s38, -1, 0
	s_cmp_eq_u32 s42, s39
	s_cselect_b32 s38, s38, s43
	s_cmp_lg_u32 s38, 0
	s_cselect_b32 s1, s1, s27
	s_cselect_b32 s0, s0, s15
	s_xor_b64 s[10:11], s[40:41], s[10:11]
	s_xor_b64 s[0:1], s[0:1], s[10:11]
	s_sub_u32 s10, s0, s10
	s_subb_u32 s11, s1, s11
	s_cbranch_execnz .LBB14_7
.LBB14_6:
	v_cvt_f32_u32_e32 v1, s2
	s_sub_i32 s0, 0, s2
	s_mov_b32 s11, 0
	v_rcp_iflag_f32_e32 v1, v1
	v_mul_f32_e32 v1, 0x4f7ffffe, v1
	v_cvt_u32_f32_e32 v1, v1
	v_readfirstlane_b32 s1, v1
	s_mul_i32 s0, s0, s1
	s_mul_hi_u32 s0, s1, s0
	s_add_i32 s1, s1, s0
	s_mul_hi_u32 s0, s34, s1
	s_mul_i32 s10, s0, s2
	s_sub_i32 s10, s34, s10
	s_add_i32 s1, s0, 1
	s_sub_i32 s15, s10, s2
	s_cmp_ge_u32 s10, s2
	s_cselect_b32 s0, s1, s0
	s_cselect_b32 s10, s15, s10
	s_add_i32 s1, s0, 1
	s_cmp_ge_u32 s10, s2
	s_cselect_b32 s10, s1, s0
.LBB14_7:
	s_mul_i32 s0, s10, s3
	s_mul_hi_u32 s1, s10, s2
	s_add_i32 s0, s1, s0
	s_mul_i32 s1, s11, s2
	s_add_i32 s0, s0, s1
	s_mul_i32 s1, s10, s2
	s_sub_u32 s40, s34, s1
	s_subb_u32 s0, s35, s0
	v_cmp_gt_i32_e32 vcc, s26, v2
	s_mul_hi_u32 s42, s10, s12
	s_mul_i32 s43, s11, s12
	s_mul_i32 s36, s10, s12
	s_mul_hi_u32 s41, s40, s13
	s_mul_i32 s11, s0, s13
	s_mul_i32 s34, s40, s13
	s_and_saveexec_b64 s[38:39], vcc
	s_cbranch_execz .LBB14_10
; %bb.8:
	s_load_dwordx2 s[0:1], s[4:5], 0x4
	v_bfe_u32 v1, v0, 10, 10
	s_mul_i32 s2, s8, s17
	s_ashr_i32 s27, s26, 31
	v_bfe_u32 v0, v0, 20, 10
	s_waitcnt lgkmcnt(0)
	s_lshr_b32 s0, s0, 16
	s_mul_i32 s0, s0, s1
	v_mul_lo_u32 v3, s0, v2
	s_mul_hi_u32 s0, s8, s16
	v_mad_u32_u24 v1, v1, s1, v3
	s_add_i32 s1, s0, s2
	s_load_dword s2, s[6:7], 0x8c
	s_mul_i32 s0, s8, s16
	s_lshl_b64 s[0:1], s[0:1], 1
	s_add_u32 s44, s20, s0
	s_addc_u32 s45, s21, s1
	s_waitcnt lgkmcnt(0)
	s_and_b32 s46, s2, 0xffff
	s_ashr_i32 s4, s12, 31
	s_ashr_i32 s5, s13, 31
	;; [unrolled: 1-line block ×3, first 2 shown]
	s_lshl_b32 s47, s46, 1
	s_lshl_b64 s[2:3], s[26:27], 1
	s_add_u32 s16, s30, s2
	s_addc_u32 s17, s31, s3
	s_add_u32 s28, s28, s16
	s_addc_u32 s29, s29, s17
	;; [unrolled: 2-line block ×3, first 2 shown]
	s_add_u32 s30, s20, s0
	s_mul_i32 s0, s10, s4
	s_mul_i32 s2, s40, s5
	s_addc_u32 s31, s21, s1
	s_add_i32 s0, s42, s0
	s_add_i32 s2, s41, s2
	;; [unrolled: 1-line block ×4, first 2 shown]
	s_lshl_b64 s[16:17], s[26:27], 2
	s_lshl_b64 s[0:1], s[36:37], 2
	s_lshl_b64 s[2:3], s[34:35], 2
	s_add_u32 s2, s0, s2
	s_addc_u32 s3, s1, s3
	s_lshl_b64 s[0:1], s[14:15], 2
	s_add_u32 s0, s2, s0
	s_addc_u32 s1, s3, s1
	s_add_u32 s0, s24, s0
	v_lshlrev_b32_e32 v4, 2, v2
	s_addc_u32 s1, s25, s1
	v_add_lshl_u32 v1, v1, v0, 1
	s_mov_b32 s48, 0
	v_mov_b32_e32 v5, s1
	v_add_co_u32_e32 v4, vcc, s0, v4
	v_add_u32_e32 v3, 0x800, v1
	v_lshlrev_b32_e32 v0, 1, v2
	v_addc_co_u32_e32 v5, vcc, 0, v5, vcc
	s_lshl_b32 s15, s46, 2
	s_mov_b64 s[20:21], 0
	s_movk_i32 s27, 0x7fff
	v_mov_b32_e32 v10, 0x7fc00000
	v_mov_b32_e32 v11, 0x7fc0
	;; [unrolled: 1-line block ×5, first 2 shown]
.LBB14_9:                               ; =>This Inner Loop Header: Depth=1
	v_mov_b32_e32 v9, s29
	v_add_co_u32_e32 v16, vcc, s28, v0
	v_mov_b32_e32 v7, s33
	v_mov_b32_e32 v15, s45
	v_add_co_u32_e64 v6, s[0:1], s44, v0
	v_mov_b32_e32 v20, s31
	v_add_co_u32_e64 v8, s[2:3], s30, v0
	v_add_co_u32_e64 v18, s[4:5], s9, v0
	v_addc_co_u32_e32 v17, vcc, 0, v9, vcc
	v_addc_co_u32_e64 v19, s[4:5], 0, v7, s[4:5]
	v_addc_co_u32_e64 v7, vcc, 0, v15, s[0:1]
	v_addc_co_u32_e64 v9, vcc, 0, v20, s[2:3]
	global_load_ushort v15, v[16:17], off
	global_load_ushort v22, v[18:19], off
	;; [unrolled: 1-line block ×4, first 2 shown]
	s_add_u32 s9, s9, s47
	s_addc_u32 s33, s33, 0
	s_add_u32 s28, s28, s47
	s_addc_u32 s29, s29, 0
	s_add_u32 s30, s30, s47
	v_add_co_u32_e32 v16, vcc, s16, v4
	s_addc_u32 s31, s31, 0
	v_addc_co_u32_e32 v17, vcc, v5, v12, vcc
	v_add_u32_e32 v14, s46, v14
	s_add_u32 s44, s44, s47
	v_cmp_le_i32_e32 vcc, s26, v14
	s_addc_u32 s45, s45, 0
	s_or_b64 s[20:21], vcc, s[20:21]
	s_waitcnt vmcnt(3)
	v_cvt_f32_f16_e32 v23, v15
	s_waitcnt vmcnt(2)
	v_cvt_f32_f16_e32 v24, v22
	s_waitcnt vmcnt(1)
	v_lshlrev_b32_e32 v19, 16, v20
	s_waitcnt vmcnt(0)
	v_lshlrev_b32_e32 v18, 16, v21
	v_bfe_u32 v26, v23, 16, 1
	v_bfe_u32 v25, v24, 16, 1
	v_add3_u32 v23, v23, v26, s27
	v_add3_u32 v24, v24, v25, s27
	v_and_b32_e32 v24, 0xffff0000, v24
	v_and_b32_e32 v23, 0xffff0000, v23
	v_cmp_o_f16_e32 vcc, v22, v22
	v_cmp_o_f16_e64 s[0:1], v15, v15
	v_mov_b32_e32 v20, v19
	v_mov_b32_e32 v21, v18
	v_cndmask_b32_e64 v23, v10, v23, s[0:1]
	v_cndmask_b32_e32 v22, v10, v24, vcc
	v_pk_mul_f32 v[20:21], v[22:23], v[20:21]
	v_pk_mul_f32 v[18:19], v[22:23], v[18:19]
	v_bfe_u32 v15, v20, 16, 1
	v_bfe_u32 v22, v21, 16, 1
	;; [unrolled: 1-line block ×4, first 2 shown]
	v_add3_u32 v22, v21, v22, s27
	v_add3_u32 v15, v20, v15, s27
	;; [unrolled: 1-line block ×4, first 2 shown]
	v_and_b32_e32 v15, 0xffff0000, v15
	v_and_b32_e32 v22, 0xffff0000, v22
	v_cmp_o_f32_e32 vcc, v20, v20
	v_cmp_o_f32_e64 s[4:5], v21, v21
	v_and_b32_e32 v20, 0xffff0000, v23
	v_and_b32_e32 v23, 0xffff0000, v24
	v_cmp_o_f32_e64 s[0:1], v19, v19
	v_cmp_o_f32_e64 s[2:3], v18, v18
	v_cndmask_b32_e64 v18, v10, v22, s[4:5]
	v_cndmask_b32_e32 v15, v10, v15, vcc
	v_cndmask_b32_e64 v19, v10, v23, s[0:1]
	v_cndmask_b32_e64 v20, v10, v20, s[2:3]
	v_sub_f32_e32 v15, v15, v18
	v_add_f32_e32 v18, v20, v19
	v_bfe_u32 v19, v15, 16, 1
	v_bfe_u32 v20, v18, 16, 1
	v_add3_u32 v19, v15, v19, s27
	v_add3_u32 v20, v18, v20, s27
	v_lshrrev_b32_e32 v19, 16, v19
	v_cmp_o_f32_e64 s[0:1], v15, v15
	v_lshrrev_b32_e32 v20, 16, v20
	v_cmp_o_f32_e32 vcc, v18, v18
	v_cndmask_b32_e64 v15, v11, v19, s[0:1]
	v_cndmask_b32_e32 v18, v11, v20, vcc
	ds_write_b16 v3, v15
	ds_write_b16 v1, v18
	global_store_short v[6:7], v15, off
	global_store_short v[8:9], v18, off
	ds_read_b32 v6, v3
	ds_read_b32 v7, v1
	s_waitcnt lgkmcnt(1)
	global_store_dword v[4:5], v6, off
	s_waitcnt lgkmcnt(0)
	global_store_dword v[16:17], v7, off
	v_add_co_u32_e32 v4, vcc, s15, v4
	v_addc_co_u32_e32 v5, vcc, v5, v13, vcc
	s_andn2_b64 exec, exec, s[20:21]
	s_cbranch_execnz .LBB14_9
.LBB14_10:
	s_or_b64 exec, exec, s[38:39]
	v_cmp_gt_i32_e32 vcc, s14, v2
	s_and_saveexec_b64 s[0:1], vcc
	s_cbranch_execz .LBB14_13
; %bb.11:
	s_mul_i32 s0, s8, s19
	s_mul_hi_u32 s1, s8, s18
	s_add_i32 s1, s1, s0
	s_mul_i32 s0, s8, s18
	s_lshl_b64 s[0:1], s[0:1], 1
	s_add_u32 s2, s22, s0
	s_addc_u32 s5, s23, s1
	s_ashr_i32 s0, s12, 31
	s_mul_i32 s0, s10, s0
	s_add_i32 s0, s42, s0
	s_add_i32 s37, s0, s43
	s_lshl_b64 s[0:1], s[36:37], 2
	s_add_u32 s3, s24, s0
	s_addc_u32 s4, s25, s1
	s_ashr_i32 s0, s13, 31
	s_mul_i32 s40, s40, s0
	s_add_i32 s0, s41, s40
	s_load_dword s6, s[6:7], 0x8c
	s_add_i32 s35, s0, s11
	s_lshl_b64 s[0:1], s[34:35], 2
	s_add_u32 s3, s3, s0
	s_addc_u32 s7, s4, s1
	s_waitcnt lgkmcnt(0)
	s_and_b32 s4, s6, 0xffff
	s_mov_b64 s[0:1], 0
	v_mov_b32_e32 v0, s5
	v_mov_b32_e32 v1, s7
.LBB14_12:                              ; =>This Inner Loop Header: Depth=1
	v_ashrrev_i32_e32 v3, 31, v2
	v_lshlrev_b64 v[4:5], 1, v[2:3]
	v_add_co_u32_e32 v4, vcc, s2, v4
	v_addc_co_u32_e32 v5, vcc, v0, v5, vcc
	global_load_dword v6, v[4:5], off
	v_lshlrev_b64 v[4:5], 2, v[2:3]
	v_add_co_u32_e32 v4, vcc, s3, v4
	v_addc_co_u32_e32 v5, vcc, v1, v5, vcc
	v_add_u32_e32 v2, s4, v2
	v_cmp_le_i32_e32 vcc, s14, v2
	s_or_b64 s[0:1], vcc, s[0:1]
	s_waitcnt vmcnt(0)
	global_store_dword v[4:5], v6, off
	s_andn2_b64 exec, exec, s[0:1]
	s_cbranch_execnz .LBB14_12
.LBB14_13:
	s_endpgm
.LBB14_14:
                                        ; implicit-def: $sgpr10_sgpr11
	s_branch .LBB14_6
	.section	.rodata,"a",@progbits
	.p2align	6, 0x0
	.amdhsa_kernel _ZN4vllm38concat_and_cache_mla_rope_fused_kernelIN3c108BFloat16ENS1_4HalfELb1EffLNS_18Fp8KVCacheDataTypeE0EEEvPKlPT_S8_PKS7_PKT0_illlliPT3_S6_iiiiPKf
		.amdhsa_group_segment_fixed_size 4096
		.amdhsa_private_segment_fixed_size 0
		.amdhsa_kernarg_size 384
		.amdhsa_user_sgpr_count 8
		.amdhsa_user_sgpr_private_segment_buffer 1
		.amdhsa_user_sgpr_dispatch_ptr 1
		.amdhsa_user_sgpr_queue_ptr 0
		.amdhsa_user_sgpr_kernarg_segment_ptr 1
		.amdhsa_user_sgpr_dispatch_id 0
		.amdhsa_user_sgpr_flat_scratch_init 0
		.amdhsa_user_sgpr_kernarg_preload_length 0
		.amdhsa_user_sgpr_kernarg_preload_offset 0
		.amdhsa_user_sgpr_private_segment_size 0
		.amdhsa_uses_dynamic_stack 0
		.amdhsa_system_sgpr_private_segment_wavefront_offset 0
		.amdhsa_system_sgpr_workgroup_id_x 1
		.amdhsa_system_sgpr_workgroup_id_y 0
		.amdhsa_system_sgpr_workgroup_id_z 0
		.amdhsa_system_sgpr_workgroup_info 0
		.amdhsa_system_vgpr_workitem_id 2
		.amdhsa_next_free_vgpr 27
		.amdhsa_next_free_sgpr 49
		.amdhsa_accum_offset 28
		.amdhsa_reserve_vcc 1
		.amdhsa_reserve_flat_scratch 0
		.amdhsa_float_round_mode_32 0
		.amdhsa_float_round_mode_16_64 0
		.amdhsa_float_denorm_mode_32 3
		.amdhsa_float_denorm_mode_16_64 3
		.amdhsa_dx10_clamp 1
		.amdhsa_ieee_mode 1
		.amdhsa_fp16_overflow 0
		.amdhsa_tg_split 0
		.amdhsa_exception_fp_ieee_invalid_op 0
		.amdhsa_exception_fp_denorm_src 0
		.amdhsa_exception_fp_ieee_div_zero 0
		.amdhsa_exception_fp_ieee_overflow 0
		.amdhsa_exception_fp_ieee_underflow 0
		.amdhsa_exception_fp_ieee_inexact 0
		.amdhsa_exception_int_div_zero 0
	.end_amdhsa_kernel
	.section	.text._ZN4vllm38concat_and_cache_mla_rope_fused_kernelIN3c108BFloat16ENS1_4HalfELb1EffLNS_18Fp8KVCacheDataTypeE0EEEvPKlPT_S8_PKS7_PKT0_illlliPT3_S6_iiiiPKf,"axG",@progbits,_ZN4vllm38concat_and_cache_mla_rope_fused_kernelIN3c108BFloat16ENS1_4HalfELb1EffLNS_18Fp8KVCacheDataTypeE0EEEvPKlPT_S8_PKS7_PKT0_illlliPT3_S6_iiiiPKf,comdat
.Lfunc_end14:
	.size	_ZN4vllm38concat_and_cache_mla_rope_fused_kernelIN3c108BFloat16ENS1_4HalfELb1EffLNS_18Fp8KVCacheDataTypeE0EEEvPKlPT_S8_PKS7_PKT0_illlliPT3_S6_iiiiPKf, .Lfunc_end14-_ZN4vllm38concat_and_cache_mla_rope_fused_kernelIN3c108BFloat16ENS1_4HalfELb1EffLNS_18Fp8KVCacheDataTypeE0EEEvPKlPT_S8_PKS7_PKT0_illlliPT3_S6_iiiiPKf
                                        ; -- End function
	.section	.AMDGPU.csdata,"",@progbits
; Kernel info:
; codeLenInByte = 2820
; NumSgprs: 53
; NumVgprs: 27
; NumAgprs: 0
; TotalNumVgprs: 27
; ScratchSize: 0
; MemoryBound: 0
; FloatMode: 240
; IeeeMode: 1
; LDSByteSize: 4096 bytes/workgroup (compile time only)
; SGPRBlocks: 6
; VGPRBlocks: 3
; NumSGPRsForWavesPerEU: 53
; NumVGPRsForWavesPerEU: 27
; AccumOffset: 28
; Occupancy: 8
; WaveLimiterHint : 1
; COMPUTE_PGM_RSRC2:SCRATCH_EN: 0
; COMPUTE_PGM_RSRC2:USER_SGPR: 8
; COMPUTE_PGM_RSRC2:TRAP_HANDLER: 0
; COMPUTE_PGM_RSRC2:TGID_X_EN: 1
; COMPUTE_PGM_RSRC2:TGID_Y_EN: 0
; COMPUTE_PGM_RSRC2:TGID_Z_EN: 0
; COMPUTE_PGM_RSRC2:TIDIG_COMP_CNT: 2
; COMPUTE_PGM_RSRC3_GFX90A:ACCUM_OFFSET: 6
; COMPUTE_PGM_RSRC3_GFX90A:TG_SPLIT: 0
	.section	.text._ZN4vllm38concat_and_cache_mla_rope_fused_kernelIN3c108BFloat16ENS1_4HalfELb0EffLNS_18Fp8KVCacheDataTypeE0EEEvPKlPT_S8_PKS7_PKT0_illlliPT3_S6_iiiiPKf,"axG",@progbits,_ZN4vllm38concat_and_cache_mla_rope_fused_kernelIN3c108BFloat16ENS1_4HalfELb0EffLNS_18Fp8KVCacheDataTypeE0EEEvPKlPT_S8_PKS7_PKT0_illlliPT3_S6_iiiiPKf,comdat
	.protected	_ZN4vllm38concat_and_cache_mla_rope_fused_kernelIN3c108BFloat16ENS1_4HalfELb0EffLNS_18Fp8KVCacheDataTypeE0EEEvPKlPT_S8_PKS7_PKT0_illlliPT3_S6_iiiiPKf ; -- Begin function _ZN4vllm38concat_and_cache_mla_rope_fused_kernelIN3c108BFloat16ENS1_4HalfELb0EffLNS_18Fp8KVCacheDataTypeE0EEEvPKlPT_S8_PKS7_PKT0_illlliPT3_S6_iiiiPKf
	.globl	_ZN4vllm38concat_and_cache_mla_rope_fused_kernelIN3c108BFloat16ENS1_4HalfELb0EffLNS_18Fp8KVCacheDataTypeE0EEEvPKlPT_S8_PKS7_PKT0_illlliPT3_S6_iiiiPKf
	.p2align	8
	.type	_ZN4vllm38concat_and_cache_mla_rope_fused_kernelIN3c108BFloat16ENS1_4HalfELb0EffLNS_18Fp8KVCacheDataTypeE0EEEvPKlPT_S8_PKS7_PKT0_illlliPT3_S6_iiiiPKf,@function
_ZN4vllm38concat_and_cache_mla_rope_fused_kernelIN3c108BFloat16ENS1_4HalfELb0EffLNS_18Fp8KVCacheDataTypeE0EEEvPKlPT_S8_PKS7_PKT0_illlliPT3_S6_iiiiPKf: ; @_ZN4vllm38concat_and_cache_mla_rope_fused_kernelIN3c108BFloat16ENS1_4HalfELb0EffLNS_18Fp8KVCacheDataTypeE0EEEvPKlPT_S8_PKS7_PKT0_illlliPT3_S6_iiiiPKf
; %bb.0:
	s_load_dwordx2 s[2:3], s[6:7], 0x60
	s_mov_b32 s9, 0
	s_lshl_b64 s[0:1], s[8:9], 3
	s_waitcnt lgkmcnt(0)
	s_add_u32 s2, s2, s0
	s_addc_u32 s3, s3, s1
	s_load_dwordx2 s[28:29], s[2:3], 0x0
	s_waitcnt lgkmcnt(0)
	v_cmp_lt_i64_e64 s[2:3], s[28:29], 0
	s_and_b64 vcc, exec, s[2:3]
	s_cbranch_vccnz .LBB15_13
; %bb.1:
	s_load_dword s9, s[6:7], 0x28
	s_load_dwordx2 s[2:3], s[6:7], 0x0
	s_load_dwordx2 s[24:25], s[6:7], 0x20
	s_load_dwordx4 s[20:23], s[6:7], 0x10
	v_and_b32_e32 v2, 0x3ff, v0
	s_waitcnt lgkmcnt(0)
	s_ashr_i32 s26, s9, 31
	s_add_u32 s0, s2, s0
	s_addc_u32 s1, s3, s1
	s_load_dwordx2 s[10:11], s[0:1], 0x0
	s_load_dwordx8 s[12:19], s[6:7], 0x30
	s_load_dwordx2 s[2:3], s[6:7], 0x58
	s_load_dword s30, s[6:7], 0x50
	v_lshlrev_b32_e32 v1, 1, v2
	s_waitcnt lgkmcnt(0)
	s_mul_i32 s0, s10, s26
	s_mul_hi_u32 s1, s10, s9
	s_add_i32 s0, s1, s0
	s_mul_i32 s1, s11, s9
	s_add_i32 s27, s0, s1
	s_lshr_b32 s0, s9, 31
	s_mul_i32 s26, s10, s9
	s_add_i32 s9, s9, s0
	s_ashr_i32 s10, s9, 1
	s_mul_i32 s9, s10, s30
	v_cmp_gt_i32_e32 vcc, s9, v2
	s_and_saveexec_b64 s[30:31], vcc
	s_cbranch_execz .LBB15_4
; %bb.2:
	s_lshl_b64 s[0:1], s[26:27], 1
	s_add_u32 s33, s24, s0
	s_addc_u32 s34, s25, s1
	s_load_dwordx2 s[0:1], s[6:7], 0x8
	s_mul_i32 s13, s8, s13
	s_mul_hi_u32 s35, s8, s12
	s_add_i32 s13, s35, s13
	s_load_dword s35, s[6:7], 0x8c
	s_mul_i32 s12, s8, s12
	s_ashr_i32 s11, s10, 31
	s_lshl_b64 s[12:13], s[12:13], 1
	s_waitcnt lgkmcnt(0)
	s_add_u32 s36, s0, s12
	s_addc_u32 s0, s1, s13
	s_abs_i32 s37, s10
	v_cvt_f32_u32_e32 v3, s37
	s_sub_i32 s1, 0, s37
	s_and_b32 s38, s35, 0xffff
	v_mov_b32_e32 v5, s34
	v_rcp_iflag_f32_e32 v3, v3
	s_lshl_b64 s[34:35], s[10:11], 1
	s_sub_i32 s39, 0, s10
	s_lshl_b32 s41, s38, 1
	v_mul_f32_e32 v3, 0x4f7ffffe, v3
	v_cvt_u32_f32_e32 v3, v3
	s_mov_b64 s[12:13], 0
	s_movk_i32 s42, 0x7fff
	v_mov_b32_e32 v7, s35
	v_mul_lo_u32 v4, s1, v3
	v_mul_hi_u32 v4, v3, v4
	s_lshl_b32 s1, s10, 1
	v_add_u32_e32 v3, v3, v4
	s_sub_i32 s40, 0, s1
	v_mov_b32_e32 v8, s0
	v_mov_b32_e32 v9, 0x7fc00000
	;; [unrolled: 1-line block ×3, first 2 shown]
	s_mov_b32 s35, 0x5040100
	v_mov_b32_e32 v4, v1
	v_mov_b32_e32 v6, v2
.LBB15_3:                               ; =>This Inner Loop Header: Depth=1
	v_sub_u32_e32 v12, 0, v6
	v_max_i32_e32 v12, v6, v12
	v_mul_hi_u32 v13, v12, v3
	v_mul_lo_u32 v14, v13, s37
	v_sub_u32_e32 v12, v12, v14
	v_add_u32_e32 v15, 1, v13
	v_cmp_le_u32_e32 vcc, s37, v12
	v_subrev_u32_e32 v14, s37, v12
	v_cndmask_b32_e32 v13, v13, v15, vcc
	v_cndmask_b32_e32 v12, v12, v14, vcc
	v_ashrrev_i32_e32 v11, 31, v6
	v_add_u32_e32 v14, 1, v13
	v_cmp_le_u32_e32 vcc, s37, v12
	v_xor_b32_e32 v11, s11, v11
	v_cndmask_b32_e32 v12, v13, v14, vcc
	v_xor_b32_e32 v12, v12, v11
	v_sub_u32_e32 v11, v12, v11
	v_mad_u64_u32 v[12:13], s[0:1], s39, v11, v[6:7]
	v_ashrrev_i32_e32 v13, 31, v12
	v_lshlrev_b64 v[12:13], 1, v[12:13]
	v_ashrrev_i32_e32 v18, 31, v11
	v_add_co_u32_e32 v12, vcc, s33, v12
	v_mul_lo_u32 v19, v11, s15
	v_mad_u64_u32 v[14:15], s[0:1], v11, s14, 0
	v_mad_u64_u32 v[16:17], s[0:1], s40, v11, v[4:5]
	v_mul_lo_u32 v11, v18, s14
	v_addc_co_u32_e32 v13, vcc, v5, v13, vcc
	v_add3_u32 v15, v15, v19, v11
	v_add_co_u32_e32 v18, vcc, s34, v12
	v_lshlrev_b64 v[14:15], 1, v[14:15]
	v_addc_co_u32_e32 v19, vcc, v13, v7, vcc
	v_ashrrev_i32_e32 v17, 31, v16
	v_add_co_u32_e32 v11, vcc, s36, v14
	v_lshlrev_b64 v[16:17], 1, v[16:17]
	v_addc_co_u32_e32 v14, vcc, v8, v15, vcc
	global_load_ushort v20, v[12:13], off
	global_load_ushort v21, v[18:19], off
	v_add_co_u32_e32 v12, vcc, v11, v16
	v_addc_co_u32_e32 v13, vcc, v14, v17, vcc
	global_load_dword v11, v[12:13], off
	v_add_u32_e32 v6, s38, v6
	v_cmp_le_i32_e32 vcc, s9, v6
	s_or_b64 s[12:13], vcc, s[12:13]
	v_add_u32_e32 v4, s41, v4
	s_waitcnt vmcnt(2)
	v_cvt_f32_f16_e32 v16, v20
	s_waitcnt vmcnt(1)
	v_cvt_f32_f16_e32 v17, v21
	v_cmp_o_f16_e32 vcc, v20, v20
	s_waitcnt vmcnt(0)
	v_and_b32_e32 v15, 0xffff0000, v11
	v_lshlrev_b32_e32 v14, 16, v11
	v_bfe_u32 v11, v16, 16, 1
	v_add3_u32 v11, v16, v11, s42
	v_bfe_u32 v16, v17, 16, 1
	v_and_b32_e32 v11, 0xffff0000, v11
	v_add3_u32 v16, v17, v16, s42
	v_and_b32_e32 v17, 0xffff0000, v16
	v_cndmask_b32_e32 v16, v9, v11, vcc
	v_cmp_o_f16_e32 vcc, v21, v21
	v_cndmask_b32_e32 v18, v9, v17, vcc
	v_pk_mul_f32 v[16:17], v[16:17], v[14:15] op_sel_hi:[0,1]
	v_bfe_u32 v19, v17, 16, 1
	v_bfe_u32 v11, v16, 16, 1
	v_pk_mul_f32 v[14:15], v[18:19], v[14:15] op_sel_hi:[0,1]
	v_add3_u32 v18, v17, v19, s42
	v_add3_u32 v11, v16, v11, s42
	v_bfe_u32 v19, v15, 16, 1
	v_bfe_u32 v20, v14, 16, 1
	v_and_b32_e32 v11, 0xffff0000, v11
	v_and_b32_e32 v18, 0xffff0000, v18
	v_add3_u32 v20, v14, v20, s42
	v_add3_u32 v19, v15, v19, s42
	v_cmp_o_f32_e32 vcc, v16, v16
	v_cmp_o_f32_e64 s[0:1], v17, v17
	v_and_b32_e32 v19, 0xffff0000, v19
	v_and_b32_e32 v20, 0xffff0000, v20
	v_cndmask_b32_e64 v17, v9, v18, s[0:1]
	v_cndmask_b32_e32 v16, v9, v11, vcc
	v_cmp_o_f32_e32 vcc, v15, v15
	v_cmp_o_f32_e64 s[0:1], v14, v14
	v_cndmask_b32_e64 v15, v9, v20, s[0:1]
	v_cndmask_b32_e32 v14, v9, v19, vcc
	v_pk_add_f32 v[18:19], v[16:17], v[14:15] neg_lo:[0,1] neg_hi:[0,1]
	v_pk_add_f32 v[14:15], v[16:17], v[14:15]
	v_bfe_u32 v11, v18, 16, 1
	v_bfe_u32 v14, v15, 16, 1
	v_add3_u32 v14, v15, v14, s42
	v_add3_u32 v11, v18, v11, s42
	v_lshrrev_b32_e32 v11, 16, v11
	v_lshrrev_b32_e32 v14, 16, v14
	v_cmp_o_f32_e32 vcc, v15, v15
	v_cmp_o_f32_e64 s[0:1], v18, v18
	v_cndmask_b32_e64 v11, v10, v11, s[0:1]
	v_cndmask_b32_e32 v14, v10, v14, vcc
	v_perm_b32 v11, v14, v11, s35
	global_store_dword v[12:13], v11, off
	s_andn2_b64 exec, exec, s[12:13]
	s_cbranch_execnz .LBB15_3
.LBB15_4:
	s_or_b64 exec, exec, s[30:31]
	s_load_dwordx4 s[12:15], s[6:7], 0x68
	s_waitcnt lgkmcnt(0)
	s_ashr_i32 s35, s15, 31
	s_mov_b32 s34, s15
	s_or_b64 s[0:1], s[28:29], s[34:35]
	s_mov_b32 s0, 0
	s_cmp_lg_u64 s[0:1], 0
	s_cbranch_scc0 .LBB15_14
; %bb.5:
	s_add_u32 s0, s34, s35
	s_mov_b32 s30, s35
	s_mov_b32 s31, s35
	s_addc_u32 s1, s35, s35
	s_xor_b64 s[38:39], s[0:1], s[30:31]
	v_cvt_f32_u32_e32 v3, s38
	v_cvt_f32_u32_e32 v4, s39
	s_sub_u32 s0, 0, s38
	s_subb_u32 s1, 0, s39
	v_madmk_f32 v3, v4, 0x4f800000, v3
	v_rcp_f32_e32 v3, v3
	v_mul_f32_e32 v3, 0x5f7ffffc, v3
	v_mul_f32_e32 v4, 0x2f800000, v3
	v_trunc_f32_e32 v4, v4
	v_madmk_f32 v3, v4, 0xcf800000, v3
	v_cvt_u32_f32_e32 v4, v4
	v_cvt_u32_f32_e32 v3, v3
	v_readfirstlane_b32 s9, v4
	v_readfirstlane_b32 s11, v3
	s_mul_i32 s15, s0, s9
	s_mul_hi_u32 s40, s0, s11
	s_mul_i32 s33, s1, s11
	s_add_i32 s15, s40, s15
	s_add_i32 s15, s15, s33
	s_mul_i32 s41, s0, s11
	s_mul_hi_u32 s33, s11, s15
	s_mul_i32 s40, s11, s15
	s_mul_hi_u32 s11, s11, s41
	s_add_u32 s11, s11, s40
	s_addc_u32 s33, 0, s33
	s_mul_hi_u32 s42, s9, s41
	s_mul_i32 s41, s9, s41
	s_add_u32 s11, s11, s41
	s_mul_hi_u32 s40, s9, s15
	s_addc_u32 s11, s33, s42
	s_addc_u32 s33, s40, 0
	s_mul_i32 s15, s9, s15
	s_add_u32 s11, s11, s15
	s_addc_u32 s15, 0, s33
	v_add_co_u32_e32 v3, vcc, s11, v3
	s_cmp_lg_u64 vcc, 0
	s_addc_u32 s9, s9, s15
	v_readfirstlane_b32 s15, v3
	s_mul_i32 s11, s0, s9
	s_mul_hi_u32 s33, s0, s15
	s_add_i32 s11, s33, s11
	s_mul_i32 s1, s1, s15
	s_add_i32 s11, s11, s1
	s_mul_i32 s0, s0, s15
	s_mul_hi_u32 s33, s9, s0
	s_mul_i32 s40, s9, s0
	s_mul_i32 s42, s15, s11
	s_mul_hi_u32 s0, s15, s0
	s_mul_hi_u32 s41, s15, s11
	s_add_u32 s0, s0, s42
	s_addc_u32 s15, 0, s41
	s_add_u32 s0, s0, s40
	s_mul_hi_u32 s1, s9, s11
	s_addc_u32 s0, s15, s33
	s_addc_u32 s1, s1, 0
	s_mul_i32 s11, s9, s11
	s_add_u32 s0, s0, s11
	s_addc_u32 s1, 0, s1
	v_add_co_u32_e32 v3, vcc, s0, v3
	s_cmp_lg_u64 vcc, 0
	s_addc_u32 s9, s9, s1
	s_ashr_i32 s40, s29, 31
	s_add_u32 s0, s28, s40
	s_mov_b32 s41, s40
	s_addc_u32 s1, s29, s40
	s_xor_b64 s[42:43], s[0:1], s[40:41]
	v_readfirstlane_b32 s11, v3
	s_mul_i32 s1, s42, s9
	s_mul_hi_u32 s15, s42, s11
	s_mul_hi_u32 s0, s42, s9
	s_add_u32 s1, s15, s1
	s_addc_u32 s0, 0, s0
	s_mul_hi_u32 s33, s43, s11
	s_mul_i32 s11, s43, s11
	s_add_u32 s1, s1, s11
	s_mul_hi_u32 s15, s43, s9
	s_addc_u32 s0, s0, s33
	s_addc_u32 s1, s15, 0
	s_mul_i32 s9, s43, s9
	s_add_u32 s9, s0, s9
	s_addc_u32 s11, 0, s1
	s_mul_i32 s0, s38, s11
	s_mul_hi_u32 s1, s38, s9
	s_add_i32 s0, s1, s0
	s_mul_i32 s1, s39, s9
	s_add_i32 s15, s0, s1
	s_mul_i32 s1, s38, s9
	v_mov_b32_e32 v3, s1
	s_sub_i32 s0, s43, s15
	v_sub_co_u32_e32 v3, vcc, s42, v3
	s_cmp_lg_u64 vcc, 0
	s_subb_u32 s33, s0, s39
	v_subrev_co_u32_e64 v4, s[0:1], s38, v3
	s_cmp_lg_u64 s[0:1], 0
	s_subb_u32 s0, s33, 0
	s_cmp_ge_u32 s0, s39
	v_readfirstlane_b32 s33, v4
	s_cselect_b32 s1, -1, 0
	s_cmp_ge_u32 s33, s38
	s_cselect_b32 s33, -1, 0
	s_cmp_eq_u32 s0, s39
	s_cselect_b32 s0, s33, s1
	s_add_u32 s1, s9, 1
	s_addc_u32 s33, s11, 0
	s_add_u32 s42, s9, 2
	s_addc_u32 s44, s11, 0
	s_cmp_lg_u32 s0, 0
	s_cselect_b32 s0, s42, s1
	s_cselect_b32 s1, s44, s33
	s_cmp_lg_u64 vcc, 0
	s_subb_u32 s15, s43, s15
	s_cmp_ge_u32 s15, s39
	v_readfirstlane_b32 s42, v3
	s_cselect_b32 s33, -1, 0
	s_cmp_ge_u32 s42, s38
	s_cselect_b32 s38, -1, 0
	s_cmp_eq_u32 s15, s39
	s_cselect_b32 s15, s38, s33
	s_cmp_lg_u32 s15, 0
	s_cselect_b32 s1, s1, s11
	s_cselect_b32 s0, s0, s9
	s_xor_b64 s[30:31], s[40:41], s[30:31]
	s_xor_b64 s[0:1], s[0:1], s[30:31]
	s_sub_u32 s30, s0, s30
	s_subb_u32 s31, s1, s31
	s_cbranch_execnz .LBB15_7
.LBB15_6:
	v_cvt_f32_u32_e32 v3, s34
	s_sub_i32 s0, 0, s34
	s_mov_b32 s31, 0
	v_rcp_iflag_f32_e32 v3, v3
	v_mul_f32_e32 v3, 0x4f7ffffe, v3
	v_cvt_u32_f32_e32 v3, v3
	v_readfirstlane_b32 s1, v3
	s_mul_i32 s0, s0, s1
	s_mul_hi_u32 s0, s1, s0
	s_add_i32 s1, s1, s0
	s_mul_hi_u32 s0, s28, s1
	s_mul_i32 s9, s0, s34
	s_sub_i32 s9, s28, s9
	s_add_i32 s1, s0, 1
	s_sub_i32 s11, s9, s34
	s_cmp_ge_u32 s9, s34
	s_cselect_b32 s0, s1, s0
	s_cselect_b32 s9, s11, s9
	s_add_i32 s1, s0, 1
	s_cmp_ge_u32 s9, s34
	s_cselect_b32 s30, s1, s0
.LBB15_7:
	s_mul_i32 s0, s30, s35
	s_mul_hi_u32 s1, s30, s34
	s_add_i32 s0, s1, s0
	s_mul_i32 s1, s31, s34
	s_add_i32 s0, s0, s1
	s_mul_i32 s1, s30, s34
	s_sub_u32 s33, s28, s1
	s_subb_u32 s9, s29, s0
	v_cmp_gt_i32_e32 vcc, s10, v2
	s_mul_hi_u32 s38, s30, s12
	s_mul_i32 s39, s31, s12
	s_mul_i32 s34, s30, s12
	s_mul_hi_u32 s31, s33, s13
	s_mul_i32 s9, s9, s13
	s_mul_i32 s28, s33, s13
	s_and_saveexec_b64 s[36:37], vcc
	s_cbranch_execz .LBB15_10
; %bb.8:
	s_load_dwordx2 s[0:1], s[4:5], 0x4
	v_bfe_u32 v3, v0, 10, 10
	s_load_dword s4, s[6:7], 0x8c
	s_ashr_i32 s11, s10, 31
	s_ashr_i32 s29, s12, 31
	s_waitcnt lgkmcnt(0)
	s_lshr_b32 s0, s0, 16
	s_mul_i32 s0, s0, s1
	v_mul_lo_u32 v4, s0, v2
	v_mad_u32_u24 v3, v3, s1, v4
	s_ashr_i32 s41, s13, 31
	s_ashr_i32 s15, s14, 31
	s_and_b32 s40, s4, 0xffff
	s_lshl_b64 s[0:1], s[26:27], 1
	s_add_u32 s0, s24, s0
	v_bfe_u32 v0, v0, 20, 10
	s_addc_u32 s1, s25, s1
	v_add_lshl_u32 v3, v3, v0, 1
	v_mov_b32_e32 v4, s1
	v_add_co_u32_e32 v0, vcc, s0, v1
	s_mul_i32 s0, s17, s8
	s_mul_hi_u32 s1, s16, s8
	s_add_i32 s1, s1, s0
	s_mul_i32 s0, s16, s8
	s_lshl_b32 s24, s40, 1
	s_lshl_b64 s[4:5], s[10:11], 1
	s_lshl_b64 s[0:1], s[0:1], 1
	v_addc_co_u32_e32 v1, vcc, 0, v4, vcc
	v_lshlrev_b32_e32 v4, 2, v2
	s_add_u32 s0, s20, s0
	v_add_co_u32_e32 v4, vcc, s0, v4
	s_mul_i32 s0, s30, s29
	s_mul_i32 s16, s33, s41
	s_addc_u32 s1, s21, s1
	s_add_i32 s0, s38, s0
	s_add_i32 s16, s31, s16
	s_add_i32 s35, s0, s39
	s_add_i32 s29, s16, s9
	v_mov_b32_e32 v5, s1
	s_lshl_b32 s11, s40, 2
	s_lshl_b64 s[0:1], s[34:35], 2
	s_lshl_b64 s[16:17], s[28:29], 2
	s_add_u32 s16, s0, s16
	s_addc_u32 s17, s1, s17
	s_lshl_b64 s[0:1], s[14:15], 2
	s_add_u32 s0, s2, s0
	s_addc_u32 s1, s3, s1
	s_add_u32 s0, s0, s16
	v_addc_co_u32_e32 v5, vcc, 0, v5, vcc
	v_lshlrev_b32_e32 v6, 3, v2
	s_addc_u32 s1, s1, s17
	s_mov_b32 s26, 0
	v_mov_b32_e32 v7, s1
	v_add_co_u32_e32 v6, vcc, s0, v6
	v_add_u32_e32 v8, 0x800, v3
	v_addc_co_u32_e32 v7, vcc, 0, v7, vcc
	s_lshl_b32 s15, s40, 3
	s_mov_b64 s[16:17], 0
	s_movk_i32 s20, 0x7fff
	v_mov_b32_e32 v9, s5
	v_mov_b32_e32 v10, 0x7fc00000
	;; [unrolled: 1-line block ×3, first 2 shown]
	s_mov_b32 s5, 0x5040100
	v_mov_b32_e32 v12, s26
	v_mov_b32_e32 v13, s26
	;; [unrolled: 1-line block ×4, first 2 shown]
	s_mov_b32 s21, s26
.LBB15_9:                               ; =>This Inner Loop Header: Depth=1
	global_load_ushort v18, v[0:1], off
	v_add_co_u32_e32 v16, vcc, s4, v0
	v_addc_co_u32_e32 v17, vcc, v1, v9, vcc
	global_load_ushort v19, v[16:17], off
	global_load_dword v20, v[4:5], off
	v_add_co_u32_e32 v0, vcc, s24, v0
	v_add_u32_e32 v15, s40, v15
	v_addc_co_u32_e32 v1, vcc, v1, v12, vcc
	v_cmp_le_i32_e32 vcc, s10, v15
	s_or_b64 s[16:17], vcc, s[16:17]
	s_waitcnt vmcnt(2)
	v_cvt_f32_f16_e32 v21, v18
	v_cmp_o_f16_e32 vcc, v18, v18
	v_bfe_u32 v22, v21, 16, 1
	s_waitcnt vmcnt(0)
	v_and_b32_e32 v17, 0xffff0000, v20
	v_lshlrev_b32_e32 v16, 16, v20
	v_cvt_f32_f16_e32 v20, v19
	v_add3_u32 v21, v21, v22, s20
	v_and_b32_e32 v21, 0xffff0000, v21
	v_cndmask_b32_e32 v18, v10, v21, vcc
	v_bfe_u32 v22, v20, 16, 1
	v_add3_u32 v20, v20, v22, s20
	v_and_b32_e32 v20, 0xffff0000, v20
	v_cmp_o_f16_e32 vcc, v19, v19
	v_pk_mul_f32 v[18:19], v[18:19], v[16:17] op_sel_hi:[0,1]
	v_cndmask_b32_e32 v20, v10, v20, vcc
	v_bfe_u32 v21, v18, 16, 1
	v_bfe_u32 v22, v19, 16, 1
	v_pk_mul_f32 v[16:17], v[20:21], v[16:17] op_sel_hi:[0,1]
	v_add3_u32 v20, v19, v22, s20
	v_add3_u32 v21, v18, v21, s20
	v_bfe_u32 v22, v17, 16, 1
	v_bfe_u32 v23, v16, 16, 1
	v_and_b32_e32 v21, 0xffff0000, v21
	v_and_b32_e32 v20, 0xffff0000, v20
	v_add3_u32 v23, v16, v23, s20
	v_add3_u32 v22, v17, v22, s20
	v_cmp_o_f32_e32 vcc, v18, v18
	v_cmp_o_f32_e64 s[0:1], v19, v19
	v_and_b32_e32 v22, 0xffff0000, v22
	v_and_b32_e32 v23, 0xffff0000, v23
	v_cndmask_b32_e64 v19, v10, v20, s[0:1]
	v_cndmask_b32_e32 v18, v10, v21, vcc
	v_cmp_o_f32_e32 vcc, v17, v17
	v_cmp_o_f32_e64 s[0:1], v16, v16
	v_cndmask_b32_e64 v17, v10, v23, s[0:1]
	v_cndmask_b32_e32 v16, v10, v22, vcc
	v_pk_add_f32 v[20:21], v[18:19], v[16:17] neg_lo:[0,1] neg_hi:[0,1]
	v_pk_add_f32 v[16:17], v[18:19], v[16:17]
	v_bfe_u32 v16, v20, 16, 1
	v_bfe_u32 v18, v17, 16, 1
	v_add3_u32 v18, v17, v18, s20
	v_add3_u32 v16, v20, v16, s20
	v_lshrrev_b32_e32 v16, 16, v16
	v_lshrrev_b32_e32 v18, 16, v18
	v_cmp_o_f32_e32 vcc, v17, v17
	v_cmp_o_f32_e64 s[0:1], v20, v20
	v_cndmask_b32_e64 v16, v11, v16, s[0:1]
	v_cndmask_b32_e32 v17, v11, v18, vcc
	v_perm_b32 v18, v17, v16, s5
	ds_write_b16 v8, v16
	ds_write_b16 v3, v17
	global_store_dword v[4:5], v18, off
	ds_read_b32 v16, v8
	ds_read_b32 v17, v3
	v_add_co_u32_e32 v4, vcc, s11, v4
	v_addc_co_u32_e32 v5, vcc, v5, v13, vcc
	s_waitcnt lgkmcnt(0)
	global_store_dwordx2 v[6:7], v[16:17], off
	v_add_co_u32_e32 v6, vcc, s15, v6
	v_addc_co_u32_e32 v7, vcc, v7, v14, vcc
	s_andn2_b64 exec, exec, s[16:17]
	s_cbranch_execnz .LBB15_9
.LBB15_10:
	s_or_b64 exec, exec, s[36:37]
	v_cmp_gt_i32_e32 vcc, s14, v2
	s_and_saveexec_b64 s[0:1], vcc
	s_cbranch_execz .LBB15_13
; %bb.11:
	s_mul_i32 s0, s8, s19
	s_mul_hi_u32 s1, s8, s18
	s_add_i32 s1, s1, s0
	s_mul_i32 s0, s8, s18
	s_lshl_b64 s[0:1], s[0:1], 1
	s_add_u32 s4, s22, s0
	s_addc_u32 s5, s23, s1
	s_ashr_i32 s0, s12, 31
	s_mul_i32 s0, s30, s0
	s_add_i32 s0, s38, s0
	s_add_i32 s35, s0, s39
	s_lshl_b64 s[0:1], s[34:35], 2
	s_add_u32 s2, s2, s0
	s_addc_u32 s3, s3, s1
	s_ashr_i32 s0, s13, 31
	s_mul_i32 s33, s33, s0
	s_add_i32 s0, s31, s33
	s_load_dword s6, s[6:7], 0x8c
	s_add_i32 s29, s0, s9
	s_lshl_b64 s[0:1], s[28:29], 2
	s_add_u32 s2, s2, s0
	s_addc_u32 s7, s3, s1
	s_waitcnt lgkmcnt(0)
	s_and_b32 s3, s6, 0xffff
	s_mov_b64 s[0:1], 0
	v_mov_b32_e32 v0, s5
	v_mov_b32_e32 v1, s7
.LBB15_12:                              ; =>This Inner Loop Header: Depth=1
	v_ashrrev_i32_e32 v3, 31, v2
	v_lshlrev_b64 v[4:5], 1, v[2:3]
	v_add_co_u32_e32 v4, vcc, s4, v4
	v_addc_co_u32_e32 v5, vcc, v0, v5, vcc
	global_load_dword v6, v[4:5], off
	v_lshlrev_b64 v[4:5], 2, v[2:3]
	v_add_co_u32_e32 v4, vcc, s2, v4
	v_addc_co_u32_e32 v5, vcc, v1, v5, vcc
	v_add_u32_e32 v2, s3, v2
	v_cmp_le_i32_e32 vcc, s14, v2
	s_or_b64 s[0:1], vcc, s[0:1]
	s_waitcnt vmcnt(0)
	global_store_dword v[4:5], v6, off
	s_andn2_b64 exec, exec, s[0:1]
	s_cbranch_execnz .LBB15_12
.LBB15_13:
	s_endpgm
.LBB15_14:
                                        ; implicit-def: $sgpr30_sgpr31
	s_branch .LBB15_6
	.section	.rodata,"a",@progbits
	.p2align	6, 0x0
	.amdhsa_kernel _ZN4vllm38concat_and_cache_mla_rope_fused_kernelIN3c108BFloat16ENS1_4HalfELb0EffLNS_18Fp8KVCacheDataTypeE0EEEvPKlPT_S8_PKS7_PKT0_illlliPT3_S6_iiiiPKf
		.amdhsa_group_segment_fixed_size 4096
		.amdhsa_private_segment_fixed_size 0
		.amdhsa_kernarg_size 384
		.amdhsa_user_sgpr_count 8
		.amdhsa_user_sgpr_private_segment_buffer 1
		.amdhsa_user_sgpr_dispatch_ptr 1
		.amdhsa_user_sgpr_queue_ptr 0
		.amdhsa_user_sgpr_kernarg_segment_ptr 1
		.amdhsa_user_sgpr_dispatch_id 0
		.amdhsa_user_sgpr_flat_scratch_init 0
		.amdhsa_user_sgpr_kernarg_preload_length 0
		.amdhsa_user_sgpr_kernarg_preload_offset 0
		.amdhsa_user_sgpr_private_segment_size 0
		.amdhsa_uses_dynamic_stack 0
		.amdhsa_system_sgpr_private_segment_wavefront_offset 0
		.amdhsa_system_sgpr_workgroup_id_x 1
		.amdhsa_system_sgpr_workgroup_id_y 0
		.amdhsa_system_sgpr_workgroup_id_z 0
		.amdhsa_system_sgpr_workgroup_info 0
		.amdhsa_system_vgpr_workitem_id 2
		.amdhsa_next_free_vgpr 24
		.amdhsa_next_free_sgpr 45
		.amdhsa_accum_offset 24
		.amdhsa_reserve_vcc 1
		.amdhsa_reserve_flat_scratch 0
		.amdhsa_float_round_mode_32 0
		.amdhsa_float_round_mode_16_64 0
		.amdhsa_float_denorm_mode_32 3
		.amdhsa_float_denorm_mode_16_64 3
		.amdhsa_dx10_clamp 1
		.amdhsa_ieee_mode 1
		.amdhsa_fp16_overflow 0
		.amdhsa_tg_split 0
		.amdhsa_exception_fp_ieee_invalid_op 0
		.amdhsa_exception_fp_denorm_src 0
		.amdhsa_exception_fp_ieee_div_zero 0
		.amdhsa_exception_fp_ieee_overflow 0
		.amdhsa_exception_fp_ieee_underflow 0
		.amdhsa_exception_fp_ieee_inexact 0
		.amdhsa_exception_int_div_zero 0
	.end_amdhsa_kernel
	.section	.text._ZN4vllm38concat_and_cache_mla_rope_fused_kernelIN3c108BFloat16ENS1_4HalfELb0EffLNS_18Fp8KVCacheDataTypeE0EEEvPKlPT_S8_PKS7_PKT0_illlliPT3_S6_iiiiPKf,"axG",@progbits,_ZN4vllm38concat_and_cache_mla_rope_fused_kernelIN3c108BFloat16ENS1_4HalfELb0EffLNS_18Fp8KVCacheDataTypeE0EEEvPKlPT_S8_PKS7_PKT0_illlliPT3_S6_iiiiPKf,comdat
.Lfunc_end15:
	.size	_ZN4vllm38concat_and_cache_mla_rope_fused_kernelIN3c108BFloat16ENS1_4HalfELb0EffLNS_18Fp8KVCacheDataTypeE0EEEvPKlPT_S8_PKS7_PKT0_illlliPT3_S6_iiiiPKf, .Lfunc_end15-_ZN4vllm38concat_and_cache_mla_rope_fused_kernelIN3c108BFloat16ENS1_4HalfELb0EffLNS_18Fp8KVCacheDataTypeE0EEEvPKlPT_S8_PKS7_PKT0_illlliPT3_S6_iiiiPKf
                                        ; -- End function
	.section	.AMDGPU.csdata,"",@progbits
; Kernel info:
; codeLenInByte = 2740
; NumSgprs: 49
; NumVgprs: 24
; NumAgprs: 0
; TotalNumVgprs: 24
; ScratchSize: 0
; MemoryBound: 0
; FloatMode: 240
; IeeeMode: 1
; LDSByteSize: 4096 bytes/workgroup (compile time only)
; SGPRBlocks: 6
; VGPRBlocks: 2
; NumSGPRsForWavesPerEU: 49
; NumVGPRsForWavesPerEU: 24
; AccumOffset: 24
; Occupancy: 8
; WaveLimiterHint : 1
; COMPUTE_PGM_RSRC2:SCRATCH_EN: 0
; COMPUTE_PGM_RSRC2:USER_SGPR: 8
; COMPUTE_PGM_RSRC2:TRAP_HANDLER: 0
; COMPUTE_PGM_RSRC2:TGID_X_EN: 1
; COMPUTE_PGM_RSRC2:TGID_Y_EN: 0
; COMPUTE_PGM_RSRC2:TGID_Z_EN: 0
; COMPUTE_PGM_RSRC2:TIDIG_COMP_CNT: 2
; COMPUTE_PGM_RSRC3_GFX90A:ACCUM_OFFSET: 5
; COMPUTE_PGM_RSRC3_GFX90A:TG_SPLIT: 0
	.section	.text._ZN4vllm38concat_and_cache_mla_rope_fused_kernelIN3c108BFloat16ES2_Lb1EffLNS_18Fp8KVCacheDataTypeE0EEEvPKlPT_S7_PKS6_PKT0_illlliPT3_S5_iiiiPKf,"axG",@progbits,_ZN4vllm38concat_and_cache_mla_rope_fused_kernelIN3c108BFloat16ES2_Lb1EffLNS_18Fp8KVCacheDataTypeE0EEEvPKlPT_S7_PKS6_PKT0_illlliPT3_S5_iiiiPKf,comdat
	.protected	_ZN4vllm38concat_and_cache_mla_rope_fused_kernelIN3c108BFloat16ES2_Lb1EffLNS_18Fp8KVCacheDataTypeE0EEEvPKlPT_S7_PKS6_PKT0_illlliPT3_S5_iiiiPKf ; -- Begin function _ZN4vllm38concat_and_cache_mla_rope_fused_kernelIN3c108BFloat16ES2_Lb1EffLNS_18Fp8KVCacheDataTypeE0EEEvPKlPT_S7_PKS6_PKT0_illlliPT3_S5_iiiiPKf
	.globl	_ZN4vllm38concat_and_cache_mla_rope_fused_kernelIN3c108BFloat16ES2_Lb1EffLNS_18Fp8KVCacheDataTypeE0EEEvPKlPT_S7_PKS6_PKT0_illlliPT3_S5_iiiiPKf
	.p2align	8
	.type	_ZN4vllm38concat_and_cache_mla_rope_fused_kernelIN3c108BFloat16ES2_Lb1EffLNS_18Fp8KVCacheDataTypeE0EEEvPKlPT_S7_PKS6_PKT0_illlliPT3_S5_iiiiPKf,@function
_ZN4vllm38concat_and_cache_mla_rope_fused_kernelIN3c108BFloat16ES2_Lb1EffLNS_18Fp8KVCacheDataTypeE0EEEvPKlPT_S7_PKS6_PKT0_illlliPT3_S5_iiiiPKf: ; @_ZN4vllm38concat_and_cache_mla_rope_fused_kernelIN3c108BFloat16ES2_Lb1EffLNS_18Fp8KVCacheDataTypeE0EEEvPKlPT_S7_PKS6_PKT0_illlliPT3_S5_iiiiPKf
; %bb.0:
	s_load_dwordx2 s[2:3], s[6:7], 0x60
	s_mov_b32 s9, 0
	s_lshl_b64 s[0:1], s[8:9], 3
	s_waitcnt lgkmcnt(0)
	s_add_u32 s2, s2, s0
	s_addc_u32 s3, s3, s1
	s_load_dwordx2 s[34:35], s[2:3], 0x0
	s_waitcnt lgkmcnt(0)
	v_cmp_lt_i64_e64 s[2:3], s[34:35], 0
	s_and_b64 vcc, exec, s[2:3]
	s_cbranch_vccnz .LBB16_13
; %bb.1:
	s_load_dword s10, s[6:7], 0x28
	s_load_dwordx2 s[2:3], s[6:7], 0x0
	s_load_dwordx2 s[28:29], s[6:7], 0x20
	s_load_dwordx4 s[20:23], s[6:7], 0x10
	v_and_b32_e32 v2, 0x3ff, v0
	s_waitcnt lgkmcnt(0)
	s_ashr_i32 s9, s10, 31
	s_add_u32 s0, s2, s0
	s_addc_u32 s1, s3, s1
	s_load_dwordx2 s[2:3], s[0:1], 0x0
	s_load_dwordx8 s[12:19], s[6:7], 0x30
	s_load_dwordx2 s[24:25], s[6:7], 0x58
	s_load_dword s11, s[6:7], 0x50
	s_waitcnt lgkmcnt(0)
	s_mul_i32 s0, s2, s9
	s_mul_hi_u32 s1, s2, s10
	s_add_i32 s0, s1, s0
	s_mul_i32 s1, s3, s10
	s_add_i32 s1, s0, s1
	s_mul_i32 s0, s2, s10
	s_lshl_b64 s[30:31], s[0:1], 1
	s_add_u32 s9, s28, s30
	s_addc_u32 s33, s29, s31
	s_lshr_b32 s0, s10, 31
	s_add_i32 s10, s10, s0
	s_ashr_i32 s26, s10, 1
	s_mul_i32 s40, s26, s11
	v_cmp_gt_i32_e32 vcc, s40, v2
	s_and_saveexec_b64 s[36:37], vcc
	s_cbranch_execz .LBB16_4
; %bb.2:
	s_load_dwordx2 s[0:1], s[6:7], 0x8
	s_load_dword s10, s[6:7], 0x8c
	s_mul_i32 s2, s8, s13
	s_mul_hi_u32 s3, s8, s12
	s_add_i32 s3, s3, s2
	s_mul_i32 s2, s8, s12
	s_ashr_i32 s27, s26, 31
	s_lshl_b64 s[2:3], s[2:3], 1
	s_waitcnt lgkmcnt(0)
	s_add_u32 s41, s0, s2
	s_addc_u32 s0, s1, s3
	s_abs_i32 s42, s26
	v_cvt_f32_u32_e32 v1, s42
	s_sub_i32 s1, 0, s42
	s_lshl_b64 s[38:39], s[26:27], 1
	s_mov_b64 s[12:13], 0
	v_rcp_iflag_f32_e32 v3, v1
	v_mov_b32_e32 v1, s33
	s_and_b32 s43, s10, 0xffff
	s_sub_i32 s44, 0, s26
	v_mul_f32_e32 v3, 0x4f7ffffe, v3
	v_cvt_u32_f32_e32 v3, v3
	v_mov_b32_e32 v5, s39
	v_mov_b32_e32 v6, s0
	s_movk_i32 s39, 0x7fff
	v_mul_lo_u32 v4, s1, v3
	v_mul_hi_u32 v4, v3, v4
	v_add_u32_e32 v3, v3, v4
	v_mov_b32_e32 v7, 0x7fc00000
	v_mov_b32_e32 v8, 0x7fc0
	;; [unrolled: 1-line block ×3, first 2 shown]
.LBB16_3:                               ; =>This Inner Loop Header: Depth=1
	v_sub_u32_e32 v10, 0, v4
	v_max_i32_e32 v10, v4, v10
	v_mul_hi_u32 v11, v10, v3
	v_mul_lo_u32 v12, v11, s42
	v_sub_u32_e32 v10, v10, v12
	v_add_u32_e32 v13, 1, v11
	v_cmp_le_u32_e32 vcc, s42, v10
	v_subrev_u32_e32 v12, s42, v10
	v_cndmask_b32_e32 v11, v11, v13, vcc
	v_cndmask_b32_e32 v10, v10, v12, vcc
	v_ashrrev_i32_e32 v9, 31, v4
	v_add_u32_e32 v12, 1, v11
	v_cmp_le_u32_e32 vcc, s42, v10
	v_xor_b32_e32 v9, s27, v9
	v_cndmask_b32_e32 v10, v11, v12, vcc
	v_xor_b32_e32 v10, v10, v9
	v_sub_u32_e32 v9, v10, v9
	v_mad_u64_u32 v[10:11], s[0:1], s44, v9, v[4:5]
	v_ashrrev_i32_e32 v11, 31, v10
	v_ashrrev_i32_e32 v14, 31, v9
	v_lshlrev_b64 v[10:11], 1, v[10:11]
	v_mul_lo_u32 v15, v9, s15
	v_mad_u64_u32 v[12:13], s[0:1], v9, s14, 0
	v_mul_lo_u32 v9, v14, s14
	v_add_co_u32_e32 v14, vcc, s9, v10
	v_add3_u32 v13, v13, v15, v9
	v_addc_co_u32_e32 v15, vcc, v1, v11, vcc
	v_add_co_u32_e32 v16, vcc, s38, v14
	v_lshlrev_b64 v[12:13], 1, v[12:13]
	v_addc_co_u32_e32 v17, vcc, v15, v5, vcc
	v_add_co_u32_e32 v9, vcc, s41, v12
	v_addc_co_u32_e32 v12, vcc, v6, v13, vcc
	v_add_co_u32_e32 v10, vcc, v9, v10
	v_addc_co_u32_e32 v11, vcc, v12, v11, vcc
	global_load_ushort v9, v[16:17], off
	global_load_ushort v18, v[14:15], off
	v_add_co_u32_e32 v12, vcc, s38, v10
	v_addc_co_u32_e32 v13, vcc, v11, v5, vcc
	global_load_ushort v19, v[10:11], off
	global_load_ushort v20, v[12:13], off
	v_add_u32_e32 v4, s43, v4
	v_cmp_le_i32_e32 vcc, s40, v4
	s_or_b64 s[12:13], vcc, s[12:13]
	s_waitcnt vmcnt(3)
	v_lshlrev_b32_e32 v14, 16, v9
	s_waitcnt vmcnt(2)
	v_lshlrev_b32_e32 v15, 16, v18
	v_mov_b32_e32 v16, v15
	v_mov_b32_e32 v17, v14
	s_waitcnt vmcnt(1)
	v_lshlrev_b32_e32 v18, 16, v19
	s_waitcnt vmcnt(0)
	v_lshlrev_b32_e32 v19, 16, v20
	v_pk_mul_f32 v[16:17], v[16:17], v[18:19]
	v_pk_mul_f32 v[14:15], v[14:15], v[18:19]
	v_bfe_u32 v9, v16, 16, 1
	v_bfe_u32 v18, v17, 16, 1
	;; [unrolled: 1-line block ×4, first 2 shown]
	v_add3_u32 v18, v17, v18, s39
	v_add3_u32 v9, v16, v9, s39
	;; [unrolled: 1-line block ×4, first 2 shown]
	v_and_b32_e32 v9, 0xffff0000, v9
	v_and_b32_e32 v18, 0xffff0000, v18
	v_cmp_o_f32_e32 vcc, v16, v16
	v_cmp_o_f32_e64 s[10:11], v17, v17
	v_and_b32_e32 v16, 0xffff0000, v19
	v_and_b32_e32 v19, 0xffff0000, v20
	v_cmp_o_f32_e64 s[0:1], v15, v15
	v_cmp_o_f32_e64 s[2:3], v14, v14
	v_cndmask_b32_e64 v14, v7, v18, s[10:11]
	v_cndmask_b32_e32 v9, v7, v9, vcc
	v_cndmask_b32_e64 v15, v7, v19, s[0:1]
	v_cndmask_b32_e64 v16, v7, v16, s[2:3]
	v_sub_f32_e32 v9, v9, v14
	v_add_f32_e32 v14, v16, v15
	v_bfe_u32 v15, v9, 16, 1
	v_bfe_u32 v16, v14, 16, 1
	v_add3_u32 v15, v9, v15, s39
	v_add3_u32 v16, v14, v16, s39
	v_lshrrev_b32_e32 v15, 16, v15
	v_cmp_o_f32_e64 s[0:1], v9, v9
	v_lshrrev_b32_e32 v16, 16, v16
	v_cmp_o_f32_e32 vcc, v14, v14
	v_cndmask_b32_e64 v9, v8, v15, s[0:1]
	v_cndmask_b32_e32 v14, v8, v16, vcc
	global_store_short v[10:11], v9, off
	global_store_short v[12:13], v14, off
	s_andn2_b64 exec, exec, s[12:13]
	s_cbranch_execnz .LBB16_3
.LBB16_4:
	s_or_b64 exec, exec, s[36:37]
	s_load_dwordx4 s[12:15], s[6:7], 0x68
	s_waitcnt lgkmcnt(0)
	s_ashr_i32 s3, s15, 31
	s_mov_b32 s2, s15
	s_or_b64 s[0:1], s[34:35], s[2:3]
	s_mov_b32 s0, 0
	s_cmp_lg_u64 s[0:1], 0
	s_cbranch_scc0 .LBB16_14
; %bb.5:
	s_add_u32 s0, s2, s3
	s_mov_b32 s10, s3
	s_mov_b32 s11, s3
	s_addc_u32 s1, s3, s3
	s_xor_b64 s[38:39], s[0:1], s[10:11]
	v_cvt_f32_u32_e32 v1, s38
	v_cvt_f32_u32_e32 v3, s39
	s_sub_u32 s0, 0, s38
	s_subb_u32 s1, 0, s39
	v_madmk_f32 v1, v3, 0x4f800000, v1
	v_rcp_f32_e32 v1, v1
	v_mul_f32_e32 v1, 0x5f7ffffc, v1
	v_mul_f32_e32 v3, 0x2f800000, v1
	v_trunc_f32_e32 v3, v3
	v_madmk_f32 v1, v3, 0xcf800000, v1
	v_cvt_u32_f32_e32 v3, v3
	v_cvt_u32_f32_e32 v1, v1
	v_readfirstlane_b32 s15, v3
	v_readfirstlane_b32 s27, v1
	s_mul_i32 s40, s0, s15
	s_mul_hi_u32 s42, s0, s27
	s_mul_i32 s41, s1, s27
	s_add_i32 s40, s42, s40
	s_add_i32 s40, s40, s41
	s_mul_i32 s43, s0, s27
	s_mul_hi_u32 s41, s27, s40
	s_mul_i32 s42, s27, s40
	s_mul_hi_u32 s27, s27, s43
	s_add_u32 s27, s27, s42
	s_addc_u32 s41, 0, s41
	s_mul_hi_u32 s44, s15, s43
	s_mul_i32 s43, s15, s43
	s_add_u32 s27, s27, s43
	s_mul_hi_u32 s42, s15, s40
	s_addc_u32 s27, s41, s44
	s_addc_u32 s41, s42, 0
	s_mul_i32 s40, s15, s40
	s_add_u32 s27, s27, s40
	s_addc_u32 s40, 0, s41
	v_add_co_u32_e32 v1, vcc, s27, v1
	s_cmp_lg_u64 vcc, 0
	s_addc_u32 s15, s15, s40
	v_readfirstlane_b32 s40, v1
	s_mul_i32 s27, s0, s15
	s_mul_hi_u32 s41, s0, s40
	s_add_i32 s27, s41, s27
	s_mul_i32 s1, s1, s40
	s_add_i32 s27, s27, s1
	s_mul_i32 s0, s0, s40
	s_mul_hi_u32 s41, s15, s0
	s_mul_i32 s42, s15, s0
	s_mul_i32 s44, s40, s27
	s_mul_hi_u32 s0, s40, s0
	s_mul_hi_u32 s43, s40, s27
	s_add_u32 s0, s0, s44
	s_addc_u32 s40, 0, s43
	s_add_u32 s0, s0, s42
	s_mul_hi_u32 s1, s15, s27
	s_addc_u32 s0, s40, s41
	s_addc_u32 s1, s1, 0
	s_mul_i32 s27, s15, s27
	s_add_u32 s0, s0, s27
	s_addc_u32 s1, 0, s1
	v_add_co_u32_e32 v1, vcc, s0, v1
	s_cmp_lg_u64 vcc, 0
	s_addc_u32 s15, s15, s1
	s_ashr_i32 s40, s35, 31
	s_add_u32 s0, s34, s40
	s_mov_b32 s41, s40
	s_addc_u32 s1, s35, s40
	s_xor_b64 s[42:43], s[0:1], s[40:41]
	v_readfirstlane_b32 s27, v1
	s_mul_i32 s1, s42, s15
	s_mul_hi_u32 s44, s42, s27
	s_mul_hi_u32 s0, s42, s15
	s_add_u32 s1, s44, s1
	s_addc_u32 s0, 0, s0
	s_mul_hi_u32 s45, s43, s27
	s_mul_i32 s27, s43, s27
	s_add_u32 s1, s1, s27
	s_mul_hi_u32 s44, s43, s15
	s_addc_u32 s0, s0, s45
	s_addc_u32 s1, s44, 0
	s_mul_i32 s15, s43, s15
	s_add_u32 s15, s0, s15
	s_addc_u32 s27, 0, s1
	s_mul_i32 s0, s38, s27
	s_mul_hi_u32 s1, s38, s15
	s_add_i32 s0, s1, s0
	s_mul_i32 s1, s39, s15
	s_add_i32 s44, s0, s1
	s_mul_i32 s1, s38, s15
	v_mov_b32_e32 v1, s1
	s_sub_i32 s0, s43, s44
	v_sub_co_u32_e32 v1, vcc, s42, v1
	s_cmp_lg_u64 vcc, 0
	s_subb_u32 s42, s0, s39
	v_subrev_co_u32_e64 v3, s[0:1], s38, v1
	s_cmp_lg_u64 s[0:1], 0
	s_subb_u32 s0, s42, 0
	s_cmp_ge_u32 s0, s39
	v_readfirstlane_b32 s42, v3
	s_cselect_b32 s1, -1, 0
	s_cmp_ge_u32 s42, s38
	s_cselect_b32 s42, -1, 0
	s_cmp_eq_u32 s0, s39
	s_cselect_b32 s0, s42, s1
	s_add_u32 s1, s15, 1
	s_addc_u32 s42, s27, 0
	s_add_u32 s45, s15, 2
	s_addc_u32 s46, s27, 0
	s_cmp_lg_u32 s0, 0
	s_cselect_b32 s0, s45, s1
	s_cselect_b32 s1, s46, s42
	s_cmp_lg_u64 vcc, 0
	s_subb_u32 s42, s43, s44
	s_cmp_ge_u32 s42, s39
	v_readfirstlane_b32 s44, v1
	s_cselect_b32 s43, -1, 0
	s_cmp_ge_u32 s44, s38
	s_cselect_b32 s38, -1, 0
	s_cmp_eq_u32 s42, s39
	s_cselect_b32 s38, s38, s43
	s_cmp_lg_u32 s38, 0
	s_cselect_b32 s1, s1, s27
	s_cselect_b32 s0, s0, s15
	s_xor_b64 s[10:11], s[40:41], s[10:11]
	s_xor_b64 s[0:1], s[0:1], s[10:11]
	s_sub_u32 s10, s0, s10
	s_subb_u32 s11, s1, s11
	s_cbranch_execnz .LBB16_7
.LBB16_6:
	v_cvt_f32_u32_e32 v1, s2
	s_sub_i32 s0, 0, s2
	s_mov_b32 s11, 0
	v_rcp_iflag_f32_e32 v1, v1
	v_mul_f32_e32 v1, 0x4f7ffffe, v1
	v_cvt_u32_f32_e32 v1, v1
	v_readfirstlane_b32 s1, v1
	s_mul_i32 s0, s0, s1
	s_mul_hi_u32 s0, s1, s0
	s_add_i32 s1, s1, s0
	s_mul_hi_u32 s0, s34, s1
	s_mul_i32 s10, s0, s2
	s_sub_i32 s10, s34, s10
	s_add_i32 s1, s0, 1
	s_sub_i32 s15, s10, s2
	s_cmp_ge_u32 s10, s2
	s_cselect_b32 s0, s1, s0
	s_cselect_b32 s10, s15, s10
	s_add_i32 s1, s0, 1
	s_cmp_ge_u32 s10, s2
	s_cselect_b32 s10, s1, s0
.LBB16_7:
	s_mul_i32 s0, s10, s3
	s_mul_hi_u32 s1, s10, s2
	s_add_i32 s0, s1, s0
	s_mul_i32 s1, s11, s2
	s_add_i32 s0, s0, s1
	s_mul_i32 s1, s10, s2
	s_sub_u32 s40, s34, s1
	s_subb_u32 s0, s35, s0
	v_cmp_gt_i32_e32 vcc, s26, v2
	s_mul_hi_u32 s42, s10, s12
	s_mul_i32 s43, s11, s12
	s_mul_i32 s36, s10, s12
	s_mul_hi_u32 s41, s40, s13
	s_mul_i32 s11, s0, s13
	s_mul_i32 s34, s40, s13
	s_and_saveexec_b64 s[38:39], vcc
	s_cbranch_execz .LBB16_10
; %bb.8:
	s_load_dwordx2 s[0:1], s[4:5], 0x4
	v_bfe_u32 v1, v0, 10, 10
	s_mul_i32 s2, s8, s17
	s_ashr_i32 s27, s26, 31
	v_bfe_u32 v0, v0, 20, 10
	s_waitcnt lgkmcnt(0)
	s_lshr_b32 s0, s0, 16
	s_mul_i32 s0, s0, s1
	v_mul_lo_u32 v3, s0, v2
	s_mul_hi_u32 s0, s8, s16
	v_mad_u32_u24 v1, v1, s1, v3
	s_add_i32 s1, s0, s2
	s_load_dword s2, s[6:7], 0x8c
	s_mul_i32 s0, s8, s16
	s_lshl_b64 s[0:1], s[0:1], 1
	s_add_u32 s44, s20, s0
	s_addc_u32 s45, s21, s1
	s_waitcnt lgkmcnt(0)
	s_and_b32 s46, s2, 0xffff
	s_ashr_i32 s4, s12, 31
	s_ashr_i32 s5, s13, 31
	;; [unrolled: 1-line block ×3, first 2 shown]
	s_lshl_b32 s47, s46, 1
	s_lshl_b64 s[2:3], s[26:27], 1
	s_add_u32 s16, s30, s2
	s_addc_u32 s17, s31, s3
	s_add_u32 s28, s28, s16
	s_addc_u32 s29, s29, s17
	;; [unrolled: 2-line block ×3, first 2 shown]
	s_add_u32 s30, s20, s0
	s_mul_i32 s0, s10, s4
	s_mul_i32 s2, s40, s5
	s_addc_u32 s31, s21, s1
	s_add_i32 s0, s42, s0
	s_add_i32 s2, s41, s2
	;; [unrolled: 1-line block ×4, first 2 shown]
	s_lshl_b64 s[16:17], s[26:27], 2
	s_lshl_b64 s[0:1], s[36:37], 2
	s_lshl_b64 s[2:3], s[34:35], 2
	s_add_u32 s2, s0, s2
	s_addc_u32 s3, s1, s3
	s_lshl_b64 s[0:1], s[14:15], 2
	s_add_u32 s0, s2, s0
	s_addc_u32 s1, s3, s1
	s_add_u32 s0, s24, s0
	v_lshlrev_b32_e32 v4, 2, v2
	s_addc_u32 s1, s25, s1
	v_add_lshl_u32 v1, v1, v0, 1
	s_mov_b32 s48, 0
	v_mov_b32_e32 v5, s1
	v_add_co_u32_e32 v4, vcc, s0, v4
	v_add_u32_e32 v3, 0x800, v1
	v_lshlrev_b32_e32 v0, 1, v2
	v_addc_co_u32_e32 v5, vcc, 0, v5, vcc
	s_lshl_b32 s15, s46, 2
	s_mov_b64 s[20:21], 0
	s_movk_i32 s27, 0x7fff
	v_mov_b32_e32 v10, 0x7fc00000
	v_mov_b32_e32 v11, 0x7fc0
	;; [unrolled: 1-line block ×5, first 2 shown]
.LBB16_9:                               ; =>This Inner Loop Header: Depth=1
	v_mov_b32_e32 v9, s29
	v_add_co_u32_e32 v16, vcc, s28, v0
	v_mov_b32_e32 v20, s31
	v_add_co_u32_e64 v8, s[2:3], s30, v0
	v_mov_b32_e32 v7, s33
	v_mov_b32_e32 v15, s45
	v_add_co_u32_e64 v6, s[0:1], s44, v0
	v_add_co_u32_e64 v18, s[4:5], s9, v0
	v_addc_co_u32_e32 v17, vcc, 0, v9, vcc
	v_addc_co_u32_e64 v9, vcc, 0, v20, s[2:3]
	v_addc_co_u32_e64 v19, s[4:5], 0, v7, s[4:5]
	v_addc_co_u32_e64 v7, vcc, 0, v15, s[0:1]
	global_load_ushort v15, v[8:9], off
	global_load_ushort v20, v[16:17], off
	;; [unrolled: 1-line block ×4, first 2 shown]
	s_add_u32 s9, s9, s47
	s_addc_u32 s33, s33, 0
	s_add_u32 s28, s28, s47
	s_addc_u32 s29, s29, 0
	s_add_u32 s30, s30, s47
	v_add_co_u32_e32 v16, vcc, s16, v4
	s_addc_u32 s31, s31, 0
	v_addc_co_u32_e32 v17, vcc, v5, v12, vcc
	v_add_u32_e32 v14, s46, v14
	s_add_u32 s44, s44, s47
	v_cmp_le_i32_e32 vcc, s26, v14
	s_addc_u32 s45, s45, 0
	s_or_b64 s[20:21], vcc, s[20:21]
	s_waitcnt vmcnt(3)
	v_lshlrev_b32_e32 v19, 16, v15
	s_waitcnt vmcnt(2)
	v_lshlrev_b32_e32 v20, 16, v20
	;; [unrolled: 2-line block ×4, first 2 shown]
	v_mov_b32_e32 v22, v21
	v_mov_b32_e32 v23, v20
	v_pk_mul_f32 v[20:21], v[20:21], v[18:19]
	v_pk_mul_f32 v[18:19], v[22:23], v[18:19]
	v_bfe_u32 v15, v20, 16, 1
	v_bfe_u32 v22, v21, 16, 1
	;; [unrolled: 1-line block ×4, first 2 shown]
	v_add3_u32 v22, v21, v22, s27
	v_add3_u32 v15, v20, v15, s27
	;; [unrolled: 1-line block ×4, first 2 shown]
	v_and_b32_e32 v15, 0xffff0000, v15
	v_and_b32_e32 v22, 0xffff0000, v22
	v_cmp_o_f32_e32 vcc, v20, v20
	v_cmp_o_f32_e64 s[0:1], v21, v21
	v_and_b32_e32 v20, 0xffff0000, v23
	v_and_b32_e32 v21, 0xffff0000, v24
	v_cmp_o_f32_e64 s[2:3], v18, v18
	v_cndmask_b32_e64 v18, v10, v22, s[0:1]
	v_cndmask_b32_e32 v15, v10, v15, vcc
	v_cmp_o_f32_e32 vcc, v19, v19
	v_cndmask_b32_e32 v19, v10, v21, vcc
	v_cndmask_b32_e64 v20, v10, v20, s[2:3]
	v_add_f32_e32 v15, v15, v18
	v_sub_f32_e32 v18, v20, v19
	v_bfe_u32 v19, v15, 16, 1
	v_bfe_u32 v20, v18, 16, 1
	v_add3_u32 v19, v15, v19, s27
	v_add3_u32 v20, v18, v20, s27
	v_lshrrev_b32_e32 v19, 16, v19
	v_cmp_o_f32_e32 vcc, v15, v15
	v_lshrrev_b32_e32 v15, 16, v20
	v_cndmask_b32_e32 v19, v11, v19, vcc
	v_cmp_o_f32_e32 vcc, v18, v18
	v_cndmask_b32_e32 v15, v11, v15, vcc
	ds_write_b16 v1, v19
	ds_write_b16 v3, v15
	global_store_short v[6:7], v15, off
	global_store_short v[8:9], v19, off
	ds_read_b32 v6, v1
	ds_read_b32 v7, v3
	s_waitcnt lgkmcnt(0)
	global_store_dword v[4:5], v7, off
	global_store_dword v[16:17], v6, off
	v_add_co_u32_e32 v4, vcc, s15, v4
	v_addc_co_u32_e32 v5, vcc, v5, v13, vcc
	s_andn2_b64 exec, exec, s[20:21]
	s_cbranch_execnz .LBB16_9
.LBB16_10:
	s_or_b64 exec, exec, s[38:39]
	v_cmp_gt_i32_e32 vcc, s14, v2
	s_and_saveexec_b64 s[0:1], vcc
	s_cbranch_execz .LBB16_13
; %bb.11:
	s_mul_i32 s0, s8, s19
	s_mul_hi_u32 s1, s8, s18
	s_add_i32 s1, s1, s0
	s_mul_i32 s0, s8, s18
	s_lshl_b64 s[0:1], s[0:1], 1
	s_add_u32 s2, s22, s0
	s_addc_u32 s5, s23, s1
	s_ashr_i32 s0, s12, 31
	s_mul_i32 s0, s10, s0
	s_add_i32 s0, s42, s0
	s_add_i32 s37, s0, s43
	s_lshl_b64 s[0:1], s[36:37], 2
	s_add_u32 s3, s24, s0
	s_addc_u32 s4, s25, s1
	s_ashr_i32 s0, s13, 31
	s_mul_i32 s40, s40, s0
	s_add_i32 s0, s41, s40
	s_load_dword s6, s[6:7], 0x8c
	s_add_i32 s35, s0, s11
	s_lshl_b64 s[0:1], s[34:35], 2
	s_add_u32 s3, s3, s0
	s_addc_u32 s7, s4, s1
	s_waitcnt lgkmcnt(0)
	s_and_b32 s4, s6, 0xffff
	s_mov_b64 s[0:1], 0
	v_mov_b32_e32 v0, s5
	v_mov_b32_e32 v1, s7
.LBB16_12:                              ; =>This Inner Loop Header: Depth=1
	v_ashrrev_i32_e32 v3, 31, v2
	v_lshlrev_b64 v[4:5], 1, v[2:3]
	v_add_co_u32_e32 v4, vcc, s2, v4
	v_addc_co_u32_e32 v5, vcc, v0, v5, vcc
	global_load_dword v6, v[4:5], off
	v_lshlrev_b64 v[4:5], 2, v[2:3]
	v_add_co_u32_e32 v4, vcc, s3, v4
	v_addc_co_u32_e32 v5, vcc, v1, v5, vcc
	v_add_u32_e32 v2, s4, v2
	v_cmp_le_i32_e32 vcc, s14, v2
	s_or_b64 s[0:1], vcc, s[0:1]
	s_waitcnt vmcnt(0)
	global_store_dword v[4:5], v6, off
	s_andn2_b64 exec, exec, s[0:1]
	s_cbranch_execnz .LBB16_12
.LBB16_13:
	s_endpgm
.LBB16_14:
                                        ; implicit-def: $sgpr10_sgpr11
	s_branch .LBB16_6
	.section	.rodata,"a",@progbits
	.p2align	6, 0x0
	.amdhsa_kernel _ZN4vllm38concat_and_cache_mla_rope_fused_kernelIN3c108BFloat16ES2_Lb1EffLNS_18Fp8KVCacheDataTypeE0EEEvPKlPT_S7_PKS6_PKT0_illlliPT3_S5_iiiiPKf
		.amdhsa_group_segment_fixed_size 4096
		.amdhsa_private_segment_fixed_size 0
		.amdhsa_kernarg_size 384
		.amdhsa_user_sgpr_count 8
		.amdhsa_user_sgpr_private_segment_buffer 1
		.amdhsa_user_sgpr_dispatch_ptr 1
		.amdhsa_user_sgpr_queue_ptr 0
		.amdhsa_user_sgpr_kernarg_segment_ptr 1
		.amdhsa_user_sgpr_dispatch_id 0
		.amdhsa_user_sgpr_flat_scratch_init 0
		.amdhsa_user_sgpr_kernarg_preload_length 0
		.amdhsa_user_sgpr_kernarg_preload_offset 0
		.amdhsa_user_sgpr_private_segment_size 0
		.amdhsa_uses_dynamic_stack 0
		.amdhsa_system_sgpr_private_segment_wavefront_offset 0
		.amdhsa_system_sgpr_workgroup_id_x 1
		.amdhsa_system_sgpr_workgroup_id_y 0
		.amdhsa_system_sgpr_workgroup_id_z 0
		.amdhsa_system_sgpr_workgroup_info 0
		.amdhsa_system_vgpr_workitem_id 2
		.amdhsa_next_free_vgpr 25
		.amdhsa_next_free_sgpr 49
		.amdhsa_accum_offset 28
		.amdhsa_reserve_vcc 1
		.amdhsa_reserve_flat_scratch 0
		.amdhsa_float_round_mode_32 0
		.amdhsa_float_round_mode_16_64 0
		.amdhsa_float_denorm_mode_32 3
		.amdhsa_float_denorm_mode_16_64 3
		.amdhsa_dx10_clamp 1
		.amdhsa_ieee_mode 1
		.amdhsa_fp16_overflow 0
		.amdhsa_tg_split 0
		.amdhsa_exception_fp_ieee_invalid_op 0
		.amdhsa_exception_fp_denorm_src 0
		.amdhsa_exception_fp_ieee_div_zero 0
		.amdhsa_exception_fp_ieee_overflow 0
		.amdhsa_exception_fp_ieee_underflow 0
		.amdhsa_exception_fp_ieee_inexact 0
		.amdhsa_exception_int_div_zero 0
	.end_amdhsa_kernel
	.section	.text._ZN4vllm38concat_and_cache_mla_rope_fused_kernelIN3c108BFloat16ES2_Lb1EffLNS_18Fp8KVCacheDataTypeE0EEEvPKlPT_S7_PKS6_PKT0_illlliPT3_S5_iiiiPKf,"axG",@progbits,_ZN4vllm38concat_and_cache_mla_rope_fused_kernelIN3c108BFloat16ES2_Lb1EffLNS_18Fp8KVCacheDataTypeE0EEEvPKlPT_S7_PKS6_PKT0_illlliPT3_S5_iiiiPKf,comdat
.Lfunc_end16:
	.size	_ZN4vllm38concat_and_cache_mla_rope_fused_kernelIN3c108BFloat16ES2_Lb1EffLNS_18Fp8KVCacheDataTypeE0EEEvPKlPT_S7_PKS6_PKT0_illlliPT3_S5_iiiiPKf, .Lfunc_end16-_ZN4vllm38concat_and_cache_mla_rope_fused_kernelIN3c108BFloat16ES2_Lb1EffLNS_18Fp8KVCacheDataTypeE0EEEvPKlPT_S7_PKS6_PKT0_illlliPT3_S5_iiiiPKf
                                        ; -- End function
	.section	.AMDGPU.csdata,"",@progbits
; Kernel info:
; codeLenInByte = 2664
; NumSgprs: 53
; NumVgprs: 25
; NumAgprs: 0
; TotalNumVgprs: 25
; ScratchSize: 0
; MemoryBound: 0
; FloatMode: 240
; IeeeMode: 1
; LDSByteSize: 4096 bytes/workgroup (compile time only)
; SGPRBlocks: 6
; VGPRBlocks: 3
; NumSGPRsForWavesPerEU: 53
; NumVGPRsForWavesPerEU: 25
; AccumOffset: 28
; Occupancy: 8
; WaveLimiterHint : 1
; COMPUTE_PGM_RSRC2:SCRATCH_EN: 0
; COMPUTE_PGM_RSRC2:USER_SGPR: 8
; COMPUTE_PGM_RSRC2:TRAP_HANDLER: 0
; COMPUTE_PGM_RSRC2:TGID_X_EN: 1
; COMPUTE_PGM_RSRC2:TGID_Y_EN: 0
; COMPUTE_PGM_RSRC2:TGID_Z_EN: 0
; COMPUTE_PGM_RSRC2:TIDIG_COMP_CNT: 2
; COMPUTE_PGM_RSRC3_GFX90A:ACCUM_OFFSET: 6
; COMPUTE_PGM_RSRC3_GFX90A:TG_SPLIT: 0
	.section	.text._ZN4vllm38concat_and_cache_mla_rope_fused_kernelIN3c108BFloat16ES2_Lb0EffLNS_18Fp8KVCacheDataTypeE0EEEvPKlPT_S7_PKS6_PKT0_illlliPT3_S5_iiiiPKf,"axG",@progbits,_ZN4vllm38concat_and_cache_mla_rope_fused_kernelIN3c108BFloat16ES2_Lb0EffLNS_18Fp8KVCacheDataTypeE0EEEvPKlPT_S7_PKS6_PKT0_illlliPT3_S5_iiiiPKf,comdat
	.protected	_ZN4vllm38concat_and_cache_mla_rope_fused_kernelIN3c108BFloat16ES2_Lb0EffLNS_18Fp8KVCacheDataTypeE0EEEvPKlPT_S7_PKS6_PKT0_illlliPT3_S5_iiiiPKf ; -- Begin function _ZN4vllm38concat_and_cache_mla_rope_fused_kernelIN3c108BFloat16ES2_Lb0EffLNS_18Fp8KVCacheDataTypeE0EEEvPKlPT_S7_PKS6_PKT0_illlliPT3_S5_iiiiPKf
	.globl	_ZN4vllm38concat_and_cache_mla_rope_fused_kernelIN3c108BFloat16ES2_Lb0EffLNS_18Fp8KVCacheDataTypeE0EEEvPKlPT_S7_PKS6_PKT0_illlliPT3_S5_iiiiPKf
	.p2align	8
	.type	_ZN4vllm38concat_and_cache_mla_rope_fused_kernelIN3c108BFloat16ES2_Lb0EffLNS_18Fp8KVCacheDataTypeE0EEEvPKlPT_S7_PKS6_PKT0_illlliPT3_S5_iiiiPKf,@function
_ZN4vllm38concat_and_cache_mla_rope_fused_kernelIN3c108BFloat16ES2_Lb0EffLNS_18Fp8KVCacheDataTypeE0EEEvPKlPT_S7_PKS6_PKT0_illlliPT3_S5_iiiiPKf: ; @_ZN4vllm38concat_and_cache_mla_rope_fused_kernelIN3c108BFloat16ES2_Lb0EffLNS_18Fp8KVCacheDataTypeE0EEEvPKlPT_S7_PKS6_PKT0_illlliPT3_S5_iiiiPKf
; %bb.0:
	s_load_dwordx2 s[2:3], s[6:7], 0x60
	s_mov_b32 s9, 0
	s_lshl_b64 s[0:1], s[8:9], 3
	s_waitcnt lgkmcnt(0)
	s_add_u32 s2, s2, s0
	s_addc_u32 s3, s3, s1
	s_load_dwordx2 s[28:29], s[2:3], 0x0
	s_waitcnt lgkmcnt(0)
	v_cmp_lt_i64_e64 s[2:3], s[28:29], 0
	s_and_b64 vcc, exec, s[2:3]
	s_cbranch_vccnz .LBB17_13
; %bb.1:
	s_load_dword s9, s[6:7], 0x28
	s_load_dwordx2 s[10:11], s[6:7], 0x0
	s_load_dwordx2 s[2:3], s[6:7], 0x20
	s_load_dwordx4 s[20:23], s[6:7], 0x10
	v_and_b32_e32 v2, 0x3ff, v0
	s_waitcnt lgkmcnt(0)
	s_ashr_i32 s26, s9, 31
	s_add_u32 s0, s10, s0
	s_addc_u32 s1, s11, s1
	s_load_dwordx2 s[24:25], s[0:1], 0x0
	s_load_dwordx8 s[12:19], s[6:7], 0x30
	s_load_dwordx2 s[10:11], s[6:7], 0x58
	s_load_dword s30, s[6:7], 0x50
	v_lshlrev_b32_e32 v1, 1, v2
	s_waitcnt lgkmcnt(0)
	s_mul_i32 s0, s24, s26
	s_mul_hi_u32 s1, s24, s9
	s_add_i32 s0, s1, s0
	s_mul_i32 s1, s25, s9
	s_add_i32 s27, s0, s1
	s_lshr_b32 s0, s9, 31
	s_mul_i32 s26, s24, s9
	s_add_i32 s9, s9, s0
	s_ashr_i32 s24, s9, 1
	s_mul_i32 s9, s24, s30
	v_cmp_gt_i32_e32 vcc, s9, v2
	s_and_saveexec_b64 s[30:31], vcc
	s_cbranch_execz .LBB17_4
; %bb.2:
	s_lshl_b64 s[0:1], s[26:27], 1
	s_add_u32 s33, s2, s0
	s_addc_u32 s34, s3, s1
	s_load_dwordx2 s[0:1], s[6:7], 0x8
	s_mul_i32 s13, s8, s13
	s_mul_hi_u32 s35, s8, s12
	s_add_i32 s13, s35, s13
	s_load_dword s35, s[6:7], 0x8c
	s_mul_i32 s12, s8, s12
	s_ashr_i32 s25, s24, 31
	s_lshl_b64 s[12:13], s[12:13], 1
	s_waitcnt lgkmcnt(0)
	s_add_u32 s36, s0, s12
	s_addc_u32 s0, s1, s13
	s_abs_i32 s37, s24
	v_cvt_f32_u32_e32 v3, s37
	s_sub_i32 s1, 0, s37
	s_and_b32 s38, s35, 0xffff
	v_mov_b32_e32 v5, s34
	v_rcp_iflag_f32_e32 v3, v3
	s_lshl_b64 s[34:35], s[24:25], 1
	s_sub_i32 s39, 0, s24
	s_lshl_b32 s41, s38, 1
	v_mul_f32_e32 v3, 0x4f7ffffe, v3
	v_cvt_u32_f32_e32 v3, v3
	s_mov_b64 s[12:13], 0
	v_mov_b32_e32 v7, s35
	v_mov_b32_e32 v8, s0
	v_mul_lo_u32 v4, s1, v3
	v_mul_hi_u32 v4, v3, v4
	s_lshl_b32 s1, s24, 1
	v_add_u32_e32 v3, v3, v4
	s_sub_i32 s40, 0, s1
	s_movk_i32 s35, 0x7fff
	v_mov_b32_e32 v9, 0x7fc00000
	v_mov_b32_e32 v10, 0x7fc0
	s_mov_b32 s42, 0x5040100
	v_mov_b32_e32 v4, v1
	v_mov_b32_e32 v6, v2
.LBB17_3:                               ; =>This Inner Loop Header: Depth=1
	v_sub_u32_e32 v12, 0, v6
	v_max_i32_e32 v12, v6, v12
	v_mul_hi_u32 v13, v12, v3
	v_mul_lo_u32 v14, v13, s37
	v_sub_u32_e32 v12, v12, v14
	v_add_u32_e32 v15, 1, v13
	v_cmp_le_u32_e32 vcc, s37, v12
	v_subrev_u32_e32 v14, s37, v12
	v_cndmask_b32_e32 v13, v13, v15, vcc
	v_cndmask_b32_e32 v12, v12, v14, vcc
	v_ashrrev_i32_e32 v11, 31, v6
	v_add_u32_e32 v14, 1, v13
	v_cmp_le_u32_e32 vcc, s37, v12
	v_xor_b32_e32 v11, s25, v11
	v_cndmask_b32_e32 v12, v13, v14, vcc
	v_xor_b32_e32 v12, v12, v11
	v_sub_u32_e32 v11, v12, v11
	v_mad_u64_u32 v[12:13], s[0:1], s39, v11, v[6:7]
	v_ashrrev_i32_e32 v13, 31, v12
	v_lshlrev_b64 v[12:13], 1, v[12:13]
	v_ashrrev_i32_e32 v18, 31, v11
	v_add_co_u32_e32 v12, vcc, s33, v12
	v_mul_lo_u32 v19, v11, s15
	v_mad_u64_u32 v[14:15], s[0:1], v11, s14, 0
	v_mad_u64_u32 v[16:17], s[0:1], s40, v11, v[4:5]
	v_mul_lo_u32 v11, v18, s14
	v_addc_co_u32_e32 v13, vcc, v5, v13, vcc
	v_add3_u32 v15, v15, v19, v11
	v_add_co_u32_e32 v18, vcc, s34, v12
	v_lshlrev_b64 v[14:15], 1, v[14:15]
	v_addc_co_u32_e32 v19, vcc, v13, v7, vcc
	v_ashrrev_i32_e32 v17, 31, v16
	v_add_co_u32_e32 v11, vcc, s36, v14
	v_lshlrev_b64 v[16:17], 1, v[16:17]
	v_addc_co_u32_e32 v14, vcc, v8, v15, vcc
	global_load_ushort v15, v[12:13], off
	global_load_ushort v20, v[18:19], off
	v_add_co_u32_e32 v12, vcc, v11, v16
	v_addc_co_u32_e32 v13, vcc, v14, v17, vcc
	global_load_dword v11, v[12:13], off
	v_add_u32_e32 v6, s38, v6
	v_cmp_le_i32_e32 vcc, s9, v6
	s_or_b64 s[12:13], vcc, s[12:13]
	v_add_u32_e32 v4, s41, v4
	s_waitcnt vmcnt(2)
	v_lshlrev_b32_e32 v15, 16, v15
	s_waitcnt vmcnt(1)
	v_lshlrev_b32_e32 v17, 16, v20
	v_mov_b32_e32 v14, v17
	v_mov_b32_e32 v18, v15
	s_waitcnt vmcnt(0)
	v_and_b32_e32 v20, 0xffff0000, v11
	v_lshlrev_b32_e32 v16, 16, v11
	v_pk_mul_f32 v[14:15], v[14:15], v[20:21] op_sel_hi:[1,0]
	v_mov_b32_e32 v19, v16
	v_bfe_u32 v11, v14, 16, 1
	v_bfe_u32 v20, v15, 16, 1
	v_pk_mul_f32 v[16:17], v[18:19], v[16:17]
	v_add3_u32 v18, v15, v20, s35
	v_add3_u32 v11, v14, v11, s35
	v_bfe_u32 v19, v16, 16, 1
	v_bfe_u32 v20, v17, 16, 1
	v_and_b32_e32 v11, 0xffff0000, v11
	v_and_b32_e32 v18, 0xffff0000, v18
	v_add3_u32 v20, v17, v20, s35
	v_add3_u32 v19, v16, v19, s35
	v_cmp_o_f32_e32 vcc, v14, v14
	v_cmp_o_f32_e64 s[0:1], v15, v15
	v_and_b32_e32 v19, 0xffff0000, v19
	v_and_b32_e32 v20, 0xffff0000, v20
	v_cndmask_b32_e64 v15, v9, v18, s[0:1]
	v_cndmask_b32_e32 v14, v9, v11, vcc
	v_cmp_o_f32_e32 vcc, v16, v16
	v_cmp_o_f32_e64 s[0:1], v17, v17
	v_cndmask_b32_e64 v17, v9, v20, s[0:1]
	v_cndmask_b32_e32 v16, v9, v19, vcc
	v_pk_add_f32 v[18:19], v[16:17], v[14:15] neg_lo:[0,1] neg_hi:[0,1]
	v_pk_add_f32 v[14:15], v[16:17], v[14:15]
	v_bfe_u32 v11, v18, 16, 1
	v_bfe_u32 v14, v15, 16, 1
	v_add3_u32 v14, v15, v14, s35
	v_add3_u32 v11, v18, v11, s35
	v_lshrrev_b32_e32 v11, 16, v11
	v_lshrrev_b32_e32 v14, 16, v14
	v_cmp_o_f32_e32 vcc, v15, v15
	v_cmp_o_f32_e64 s[0:1], v18, v18
	v_cndmask_b32_e64 v11, v10, v11, s[0:1]
	v_cndmask_b32_e32 v14, v10, v14, vcc
	v_perm_b32 v11, v14, v11, s42
	global_store_dword v[12:13], v11, off
	s_andn2_b64 exec, exec, s[12:13]
	s_cbranch_execnz .LBB17_3
.LBB17_4:
	s_or_b64 exec, exec, s[30:31]
	s_load_dwordx4 s[12:15], s[6:7], 0x68
	s_waitcnt lgkmcnt(0)
	s_ashr_i32 s35, s15, 31
	s_mov_b32 s34, s15
	s_or_b64 s[0:1], s[28:29], s[34:35]
	s_mov_b32 s0, 0
	s_cmp_lg_u64 s[0:1], 0
	s_cbranch_scc0 .LBB17_14
; %bb.5:
	s_add_u32 s0, s34, s35
	s_mov_b32 s30, s35
	s_mov_b32 s31, s35
	s_addc_u32 s1, s35, s35
	s_xor_b64 s[38:39], s[0:1], s[30:31]
	v_cvt_f32_u32_e32 v3, s38
	v_cvt_f32_u32_e32 v4, s39
	s_sub_u32 s0, 0, s38
	s_subb_u32 s1, 0, s39
	v_madmk_f32 v3, v4, 0x4f800000, v3
	v_rcp_f32_e32 v3, v3
	v_mul_f32_e32 v3, 0x5f7ffffc, v3
	v_mul_f32_e32 v4, 0x2f800000, v3
	v_trunc_f32_e32 v4, v4
	v_madmk_f32 v3, v4, 0xcf800000, v3
	v_cvt_u32_f32_e32 v4, v4
	v_cvt_u32_f32_e32 v3, v3
	v_readfirstlane_b32 s9, v4
	v_readfirstlane_b32 s15, v3
	s_mul_i32 s25, s0, s9
	s_mul_hi_u32 s40, s0, s15
	s_mul_i32 s33, s1, s15
	s_add_i32 s25, s40, s25
	s_add_i32 s25, s25, s33
	s_mul_i32 s41, s0, s15
	s_mul_hi_u32 s33, s15, s25
	s_mul_i32 s40, s15, s25
	s_mul_hi_u32 s15, s15, s41
	s_add_u32 s15, s15, s40
	s_addc_u32 s33, 0, s33
	s_mul_hi_u32 s42, s9, s41
	s_mul_i32 s41, s9, s41
	s_add_u32 s15, s15, s41
	s_mul_hi_u32 s40, s9, s25
	s_addc_u32 s15, s33, s42
	s_addc_u32 s33, s40, 0
	s_mul_i32 s25, s9, s25
	s_add_u32 s15, s15, s25
	s_addc_u32 s25, 0, s33
	v_add_co_u32_e32 v3, vcc, s15, v3
	s_cmp_lg_u64 vcc, 0
	s_addc_u32 s9, s9, s25
	v_readfirstlane_b32 s25, v3
	s_mul_i32 s15, s0, s9
	s_mul_hi_u32 s33, s0, s25
	s_add_i32 s15, s33, s15
	s_mul_i32 s1, s1, s25
	s_add_i32 s15, s15, s1
	s_mul_i32 s0, s0, s25
	s_mul_hi_u32 s33, s9, s0
	s_mul_i32 s40, s9, s0
	s_mul_i32 s42, s25, s15
	s_mul_hi_u32 s0, s25, s0
	s_mul_hi_u32 s41, s25, s15
	s_add_u32 s0, s0, s42
	s_addc_u32 s25, 0, s41
	s_add_u32 s0, s0, s40
	s_mul_hi_u32 s1, s9, s15
	s_addc_u32 s0, s25, s33
	s_addc_u32 s1, s1, 0
	s_mul_i32 s15, s9, s15
	s_add_u32 s0, s0, s15
	s_addc_u32 s1, 0, s1
	v_add_co_u32_e32 v3, vcc, s0, v3
	s_cmp_lg_u64 vcc, 0
	s_addc_u32 s9, s9, s1
	s_ashr_i32 s40, s29, 31
	s_add_u32 s0, s28, s40
	s_mov_b32 s41, s40
	s_addc_u32 s1, s29, s40
	s_xor_b64 s[42:43], s[0:1], s[40:41]
	v_readfirstlane_b32 s15, v3
	s_mul_i32 s1, s42, s9
	s_mul_hi_u32 s25, s42, s15
	s_mul_hi_u32 s0, s42, s9
	s_add_u32 s1, s25, s1
	s_addc_u32 s0, 0, s0
	s_mul_hi_u32 s33, s43, s15
	s_mul_i32 s15, s43, s15
	s_add_u32 s1, s1, s15
	s_mul_hi_u32 s25, s43, s9
	s_addc_u32 s0, s0, s33
	s_addc_u32 s1, s25, 0
	s_mul_i32 s9, s43, s9
	s_add_u32 s9, s0, s9
	s_addc_u32 s15, 0, s1
	s_mul_i32 s0, s38, s15
	s_mul_hi_u32 s1, s38, s9
	s_add_i32 s0, s1, s0
	s_mul_i32 s1, s39, s9
	s_add_i32 s25, s0, s1
	s_mul_i32 s1, s38, s9
	v_mov_b32_e32 v3, s1
	s_sub_i32 s0, s43, s25
	v_sub_co_u32_e32 v3, vcc, s42, v3
	s_cmp_lg_u64 vcc, 0
	s_subb_u32 s33, s0, s39
	v_subrev_co_u32_e64 v4, s[0:1], s38, v3
	s_cmp_lg_u64 s[0:1], 0
	s_subb_u32 s0, s33, 0
	s_cmp_ge_u32 s0, s39
	v_readfirstlane_b32 s33, v4
	s_cselect_b32 s1, -1, 0
	s_cmp_ge_u32 s33, s38
	s_cselect_b32 s33, -1, 0
	s_cmp_eq_u32 s0, s39
	s_cselect_b32 s0, s33, s1
	s_add_u32 s1, s9, 1
	s_addc_u32 s33, s15, 0
	s_add_u32 s42, s9, 2
	s_addc_u32 s44, s15, 0
	s_cmp_lg_u32 s0, 0
	s_cselect_b32 s0, s42, s1
	s_cselect_b32 s1, s44, s33
	s_cmp_lg_u64 vcc, 0
	s_subb_u32 s25, s43, s25
	s_cmp_ge_u32 s25, s39
	v_readfirstlane_b32 s42, v3
	s_cselect_b32 s33, -1, 0
	s_cmp_ge_u32 s42, s38
	s_cselect_b32 s38, -1, 0
	s_cmp_eq_u32 s25, s39
	s_cselect_b32 s25, s38, s33
	s_cmp_lg_u32 s25, 0
	s_cselect_b32 s1, s1, s15
	s_cselect_b32 s0, s0, s9
	s_xor_b64 s[30:31], s[40:41], s[30:31]
	s_xor_b64 s[0:1], s[0:1], s[30:31]
	s_sub_u32 s30, s0, s30
	s_subb_u32 s31, s1, s31
	s_cbranch_execnz .LBB17_7
.LBB17_6:
	v_cvt_f32_u32_e32 v3, s34
	s_sub_i32 s0, 0, s34
	s_mov_b32 s31, 0
	v_rcp_iflag_f32_e32 v3, v3
	v_mul_f32_e32 v3, 0x4f7ffffe, v3
	v_cvt_u32_f32_e32 v3, v3
	v_readfirstlane_b32 s1, v3
	s_mul_i32 s0, s0, s1
	s_mul_hi_u32 s0, s1, s0
	s_add_i32 s1, s1, s0
	s_mul_hi_u32 s0, s28, s1
	s_mul_i32 s9, s0, s34
	s_sub_i32 s9, s28, s9
	s_add_i32 s1, s0, 1
	s_sub_i32 s15, s9, s34
	s_cmp_ge_u32 s9, s34
	s_cselect_b32 s0, s1, s0
	s_cselect_b32 s9, s15, s9
	s_add_i32 s1, s0, 1
	s_cmp_ge_u32 s9, s34
	s_cselect_b32 s30, s1, s0
.LBB17_7:
	s_mul_i32 s0, s30, s35
	s_mul_hi_u32 s1, s30, s34
	s_add_i32 s0, s1, s0
	s_mul_i32 s1, s31, s34
	s_add_i32 s0, s0, s1
	s_mul_i32 s1, s30, s34
	s_sub_u32 s33, s28, s1
	s_subb_u32 s9, s29, s0
	v_cmp_gt_i32_e32 vcc, s24, v2
	s_mul_hi_u32 s38, s30, s12
	s_mul_i32 s39, s31, s12
	s_mul_i32 s34, s30, s12
	s_mul_hi_u32 s31, s33, s13
	s_mul_i32 s9, s9, s13
	s_mul_i32 s28, s33, s13
	s_and_saveexec_b64 s[36:37], vcc
	s_cbranch_execz .LBB17_10
; %bb.8:
	s_load_dwordx2 s[0:1], s[4:5], 0x4
	v_bfe_u32 v3, v0, 10, 10
	s_load_dword s4, s[6:7], 0x8c
	s_ashr_i32 s25, s24, 31
	s_ashr_i32 s29, s12, 31
	s_waitcnt lgkmcnt(0)
	s_lshr_b32 s0, s0, 16
	s_mul_i32 s0, s0, s1
	v_mul_lo_u32 v4, s0, v2
	v_mad_u32_u24 v3, v3, s1, v4
	s_ashr_i32 s41, s13, 31
	s_ashr_i32 s15, s14, 31
	s_and_b32 s40, s4, 0xffff
	s_lshl_b64 s[0:1], s[26:27], 1
	s_add_u32 s0, s2, s0
	v_bfe_u32 v0, v0, 20, 10
	s_addc_u32 s1, s3, s1
	v_add_lshl_u32 v3, v3, v0, 1
	v_mov_b32_e32 v4, s1
	v_add_co_u32_e32 v0, vcc, s0, v1
	s_mul_i32 s0, s17, s8
	s_mul_hi_u32 s1, s16, s8
	s_add_i32 s1, s1, s0
	s_mul_i32 s0, s16, s8
	s_lshl_b32 s26, s40, 1
	s_lshl_b64 s[4:5], s[24:25], 1
	s_lshl_b64 s[0:1], s[0:1], 1
	v_addc_co_u32_e32 v1, vcc, 0, v4, vcc
	v_lshlrev_b32_e32 v4, 2, v2
	s_add_u32 s0, s20, s0
	v_add_co_u32_e32 v4, vcc, s0, v4
	s_mul_i32 s0, s30, s29
	s_mul_i32 s2, s33, s41
	s_addc_u32 s1, s21, s1
	s_add_i32 s0, s38, s0
	s_add_i32 s2, s31, s2
	;; [unrolled: 1-line block ×4, first 2 shown]
	v_mov_b32_e32 v5, s1
	s_lshl_b32 s20, s40, 2
	s_lshl_b64 s[0:1], s[34:35], 2
	s_lshl_b64 s[2:3], s[28:29], 2
	s_add_u32 s2, s0, s2
	s_addc_u32 s3, s1, s3
	s_lshl_b64 s[0:1], s[14:15], 2
	s_add_u32 s0, s10, s0
	v_addc_co_u32_e32 v5, vcc, 0, v5, vcc
	s_addc_u32 s1, s11, s1
	v_add_co_u32_e32 v4, vcc, 2, v4
	s_add_u32 s0, s0, s2
	v_addc_co_u32_e32 v5, vcc, 0, v5, vcc
	v_lshlrev_b32_e32 v6, 3, v2
	s_addc_u32 s1, s1, s3
	s_mov_b32 s27, 0
	v_mov_b32_e32 v7, s1
	v_add_co_u32_e32 v6, vcc, s0, v6
	v_add_u32_e32 v8, 0x800, v3
	v_addc_co_u32_e32 v7, vcc, 0, v7, vcc
	s_lshl_b32 s15, s40, 3
	s_mov_b64 s[16:17], 0
	v_mov_b32_e32 v9, s5
	s_movk_i32 s5, 0x7fff
	v_mov_b32_e32 v10, 0x7fc00000
	v_mov_b32_e32 v11, 0x7fc0
	s_mov_b32 s21, 0x5040100
	v_mov_b32_e32 v12, s27
	v_mov_b32_e32 v13, s27
	;; [unrolled: 1-line block ×4, first 2 shown]
	s_mov_b32 s25, s27
.LBB17_9:                               ; =>This Inner Loop Header: Depth=1
	v_add_co_u32_e32 v16, vcc, s4, v0
	global_load_dword v19, v[4:5], off offset:-2
	global_load_ushort v18, v[0:1], off
	v_addc_co_u32_e32 v17, vcc, v1, v9, vcc
	global_load_ushort v16, v[16:17], off
	v_add_co_u32_e32 v0, vcc, s26, v0
	v_add_u32_e32 v15, s40, v15
	v_addc_co_u32_e32 v1, vcc, v1, v12, vcc
	v_cmp_le_i32_e32 vcc, s24, v15
	s_or_b64 s[16:17], vcc, s[16:17]
	s_waitcnt vmcnt(2)
	v_lshlrev_b32_e32 v20, 16, v19
	s_waitcnt vmcnt(1)
	v_lshlrev_b32_e32 v17, 16, v18
	v_mov_b32_e32 v22, v17
	v_mov_b32_e32 v23, v20
	s_waitcnt vmcnt(0)
	v_lshlrev_b32_e32 v21, 16, v16
	v_and_b32_e32 v18, 0xffff0000, v19
	v_mov_b32_e32 v16, v21
	v_pk_mul_f32 v[20:21], v[22:23], v[20:21]
	v_pk_mul_f32 v[16:17], v[16:17], v[18:19] op_sel_hi:[1,0]
	v_bfe_u32 v18, v20, 16, 1
	v_bfe_u32 v19, v21, 16, 1
	;; [unrolled: 1-line block ×4, first 2 shown]
	v_add3_u32 v18, v20, v18, s5
	v_add3_u32 v19, v21, v19, s5
	;; [unrolled: 1-line block ×4, first 2 shown]
	v_and_b32_e32 v18, 0xffff0000, v18
	v_cmp_o_f32_e32 vcc, v20, v20
	v_and_b32_e32 v19, 0xffff0000, v19
	v_cmp_o_f32_e64 s[0:1], v21, v21
	v_and_b32_e32 v20, 0xffff0000, v22
	v_and_b32_e32 v21, 0xffff0000, v23
	v_cmp_o_f32_e64 s[2:3], v16, v16
	v_cndmask_b32_e32 v18, v10, v18, vcc
	v_cmp_o_f32_e32 vcc, v17, v17
	v_cndmask_b32_e64 v19, v10, v19, s[0:1]
	v_cndmask_b32_e32 v17, v10, v21, vcc
	v_cndmask_b32_e64 v16, v10, v20, s[2:3]
	v_pk_add_f32 v[20:21], v[18:19], v[16:17] neg_lo:[0,1] neg_hi:[0,1]
	v_pk_add_f32 v[16:17], v[18:19], v[16:17]
	v_bfe_u32 v16, v20, 16, 1
	v_bfe_u32 v18, v17, 16, 1
	v_add3_u32 v18, v17, v18, s5
	v_add3_u32 v16, v20, v16, s5
	v_lshrrev_b32_e32 v16, 16, v16
	v_lshrrev_b32_e32 v18, 16, v18
	v_cmp_o_f32_e32 vcc, v17, v17
	v_cmp_o_f32_e64 s[0:1], v20, v20
	v_cndmask_b32_e64 v16, v11, v16, s[0:1]
	v_cndmask_b32_e32 v17, v11, v18, vcc
	v_perm_b32 v18, v17, v16, s21
	ds_write_b16 v8, v16
	ds_write_b16 v3, v17
	global_store_dword v[4:5], v18, off offset:-2
	ds_read_b32 v16, v8
	ds_read_b32 v17, v3
	v_add_co_u32_e32 v4, vcc, s20, v4
	v_addc_co_u32_e32 v5, vcc, v5, v13, vcc
	s_waitcnt lgkmcnt(0)
	global_store_dwordx2 v[6:7], v[16:17], off
	v_add_co_u32_e32 v6, vcc, s15, v6
	v_addc_co_u32_e32 v7, vcc, v7, v14, vcc
	s_andn2_b64 exec, exec, s[16:17]
	s_cbranch_execnz .LBB17_9
.LBB17_10:
	s_or_b64 exec, exec, s[36:37]
	v_cmp_gt_i32_e32 vcc, s14, v2
	s_and_saveexec_b64 s[0:1], vcc
	s_cbranch_execz .LBB17_13
; %bb.11:
	s_mul_i32 s0, s8, s19
	s_mul_hi_u32 s1, s8, s18
	s_add_i32 s1, s1, s0
	s_mul_i32 s0, s8, s18
	s_lshl_b64 s[0:1], s[0:1], 1
	s_add_u32 s2, s22, s0
	s_addc_u32 s5, s23, s1
	s_ashr_i32 s0, s12, 31
	s_mul_i32 s0, s30, s0
	s_add_i32 s0, s38, s0
	s_add_i32 s35, s0, s39
	s_lshl_b64 s[0:1], s[34:35], 2
	s_add_u32 s3, s10, s0
	s_addc_u32 s4, s11, s1
	s_ashr_i32 s0, s13, 31
	s_mul_i32 s33, s33, s0
	s_add_i32 s0, s31, s33
	s_load_dword s6, s[6:7], 0x8c
	s_add_i32 s29, s0, s9
	s_lshl_b64 s[0:1], s[28:29], 2
	s_add_u32 s3, s3, s0
	s_addc_u32 s7, s4, s1
	s_waitcnt lgkmcnt(0)
	s_and_b32 s4, s6, 0xffff
	s_mov_b64 s[0:1], 0
	v_mov_b32_e32 v0, s5
	v_mov_b32_e32 v1, s7
.LBB17_12:                              ; =>This Inner Loop Header: Depth=1
	v_ashrrev_i32_e32 v3, 31, v2
	v_lshlrev_b64 v[4:5], 1, v[2:3]
	v_add_co_u32_e32 v4, vcc, s2, v4
	v_addc_co_u32_e32 v5, vcc, v0, v5, vcc
	global_load_dword v6, v[4:5], off
	v_lshlrev_b64 v[4:5], 2, v[2:3]
	v_add_co_u32_e32 v4, vcc, s3, v4
	v_addc_co_u32_e32 v5, vcc, v1, v5, vcc
	v_add_u32_e32 v2, s4, v2
	v_cmp_le_i32_e32 vcc, s14, v2
	s_or_b64 s[0:1], vcc, s[0:1]
	s_waitcnt vmcnt(0)
	global_store_dword v[4:5], v6, off
	s_andn2_b64 exec, exec, s[0:1]
	s_cbranch_execnz .LBB17_12
.LBB17_13:
	s_endpgm
.LBB17_14:
                                        ; implicit-def: $sgpr30_sgpr31
	s_branch .LBB17_6
	.section	.rodata,"a",@progbits
	.p2align	6, 0x0
	.amdhsa_kernel _ZN4vllm38concat_and_cache_mla_rope_fused_kernelIN3c108BFloat16ES2_Lb0EffLNS_18Fp8KVCacheDataTypeE0EEEvPKlPT_S7_PKS6_PKT0_illlliPT3_S5_iiiiPKf
		.amdhsa_group_segment_fixed_size 4096
		.amdhsa_private_segment_fixed_size 0
		.amdhsa_kernarg_size 384
		.amdhsa_user_sgpr_count 8
		.amdhsa_user_sgpr_private_segment_buffer 1
		.amdhsa_user_sgpr_dispatch_ptr 1
		.amdhsa_user_sgpr_queue_ptr 0
		.amdhsa_user_sgpr_kernarg_segment_ptr 1
		.amdhsa_user_sgpr_dispatch_id 0
		.amdhsa_user_sgpr_flat_scratch_init 0
		.amdhsa_user_sgpr_kernarg_preload_length 0
		.amdhsa_user_sgpr_kernarg_preload_offset 0
		.amdhsa_user_sgpr_private_segment_size 0
		.amdhsa_uses_dynamic_stack 0
		.amdhsa_system_sgpr_private_segment_wavefront_offset 0
		.amdhsa_system_sgpr_workgroup_id_x 1
		.amdhsa_system_sgpr_workgroup_id_y 0
		.amdhsa_system_sgpr_workgroup_id_z 0
		.amdhsa_system_sgpr_workgroup_info 0
		.amdhsa_system_vgpr_workitem_id 2
		.amdhsa_next_free_vgpr 24
		.amdhsa_next_free_sgpr 45
		.amdhsa_accum_offset 24
		.amdhsa_reserve_vcc 1
		.amdhsa_reserve_flat_scratch 0
		.amdhsa_float_round_mode_32 0
		.amdhsa_float_round_mode_16_64 0
		.amdhsa_float_denorm_mode_32 3
		.amdhsa_float_denorm_mode_16_64 3
		.amdhsa_dx10_clamp 1
		.amdhsa_ieee_mode 1
		.amdhsa_fp16_overflow 0
		.amdhsa_tg_split 0
		.amdhsa_exception_fp_ieee_invalid_op 0
		.amdhsa_exception_fp_denorm_src 0
		.amdhsa_exception_fp_ieee_div_zero 0
		.amdhsa_exception_fp_ieee_overflow 0
		.amdhsa_exception_fp_ieee_underflow 0
		.amdhsa_exception_fp_ieee_inexact 0
		.amdhsa_exception_int_div_zero 0
	.end_amdhsa_kernel
	.section	.text._ZN4vllm38concat_and_cache_mla_rope_fused_kernelIN3c108BFloat16ES2_Lb0EffLNS_18Fp8KVCacheDataTypeE0EEEvPKlPT_S7_PKS6_PKT0_illlliPT3_S5_iiiiPKf,"axG",@progbits,_ZN4vllm38concat_and_cache_mla_rope_fused_kernelIN3c108BFloat16ES2_Lb0EffLNS_18Fp8KVCacheDataTypeE0EEEvPKlPT_S7_PKS6_PKT0_illlliPT3_S5_iiiiPKf,comdat
.Lfunc_end17:
	.size	_ZN4vllm38concat_and_cache_mla_rope_fused_kernelIN3c108BFloat16ES2_Lb0EffLNS_18Fp8KVCacheDataTypeE0EEEvPKlPT_S7_PKS6_PKT0_illlliPT3_S5_iiiiPKf, .Lfunc_end17-_ZN4vllm38concat_and_cache_mla_rope_fused_kernelIN3c108BFloat16ES2_Lb0EffLNS_18Fp8KVCacheDataTypeE0EEEvPKlPT_S7_PKS6_PKT0_illlliPT3_S5_iiiiPKf
                                        ; -- End function
	.section	.AMDGPU.csdata,"",@progbits
; Kernel info:
; codeLenInByte = 2648
; NumSgprs: 49
; NumVgprs: 24
; NumAgprs: 0
; TotalNumVgprs: 24
; ScratchSize: 0
; MemoryBound: 0
; FloatMode: 240
; IeeeMode: 1
; LDSByteSize: 4096 bytes/workgroup (compile time only)
; SGPRBlocks: 6
; VGPRBlocks: 2
; NumSGPRsForWavesPerEU: 49
; NumVGPRsForWavesPerEU: 24
; AccumOffset: 24
; Occupancy: 8
; WaveLimiterHint : 1
; COMPUTE_PGM_RSRC2:SCRATCH_EN: 0
; COMPUTE_PGM_RSRC2:USER_SGPR: 8
; COMPUTE_PGM_RSRC2:TRAP_HANDLER: 0
; COMPUTE_PGM_RSRC2:TGID_X_EN: 1
; COMPUTE_PGM_RSRC2:TGID_Y_EN: 0
; COMPUTE_PGM_RSRC2:TGID_Z_EN: 0
; COMPUTE_PGM_RSRC2:TIDIG_COMP_CNT: 2
; COMPUTE_PGM_RSRC3_GFX90A:ACCUM_OFFSET: 5
; COMPUTE_PGM_RSRC3_GFX90A:TG_SPLIT: 0
	.section	.text._ZN4vllm38concat_and_cache_mla_rope_fused_kernelIffLb1EttLNS_18Fp8KVCacheDataTypeE0EEEvPKlPT_S5_PKS4_PKT0_illlliPT3_S3_iiiiPKf,"axG",@progbits,_ZN4vllm38concat_and_cache_mla_rope_fused_kernelIffLb1EttLNS_18Fp8KVCacheDataTypeE0EEEvPKlPT_S5_PKS4_PKT0_illlliPT3_S3_iiiiPKf,comdat
	.protected	_ZN4vllm38concat_and_cache_mla_rope_fused_kernelIffLb1EttLNS_18Fp8KVCacheDataTypeE0EEEvPKlPT_S5_PKS4_PKT0_illlliPT3_S3_iiiiPKf ; -- Begin function _ZN4vllm38concat_and_cache_mla_rope_fused_kernelIffLb1EttLNS_18Fp8KVCacheDataTypeE0EEEvPKlPT_S5_PKS4_PKT0_illlliPT3_S3_iiiiPKf
	.globl	_ZN4vllm38concat_and_cache_mla_rope_fused_kernelIffLb1EttLNS_18Fp8KVCacheDataTypeE0EEEvPKlPT_S5_PKS4_PKT0_illlliPT3_S3_iiiiPKf
	.p2align	8
	.type	_ZN4vllm38concat_and_cache_mla_rope_fused_kernelIffLb1EttLNS_18Fp8KVCacheDataTypeE0EEEvPKlPT_S5_PKS4_PKT0_illlliPT3_S3_iiiiPKf,@function
_ZN4vllm38concat_and_cache_mla_rope_fused_kernelIffLb1EttLNS_18Fp8KVCacheDataTypeE0EEEvPKlPT_S5_PKS4_PKT0_illlliPT3_S3_iiiiPKf: ; @_ZN4vllm38concat_and_cache_mla_rope_fused_kernelIffLb1EttLNS_18Fp8KVCacheDataTypeE0EEEvPKlPT_S5_PKS4_PKT0_illlliPT3_S3_iiiiPKf
; %bb.0:
	s_load_dwordx2 s[2:3], s[4:5], 0x60
	s_mov_b32 s7, 0
	s_lshl_b64 s[0:1], s[6:7], 3
	s_waitcnt lgkmcnt(0)
	s_add_u32 s2, s2, s0
	s_addc_u32 s3, s3, s1
	s_load_dwordx2 s[30:31], s[2:3], 0x0
	s_waitcnt lgkmcnt(0)
	v_cmp_lt_i64_e64 s[2:3], s[30:31], 0
	s_and_b64 vcc, exec, s[2:3]
	s_cbranch_vccnz .LBB18_13
; %bb.1:
	s_load_dword s22, s[4:5], 0x28
	s_load_dwordx2 s[2:3], s[4:5], 0x0
	s_load_dwordx4 s[16:19], s[4:5], 0x10
	s_waitcnt lgkmcnt(0)
	s_ashr_i32 s7, s22, 31
	s_add_u32 s0, s2, s0
	s_addc_u32 s1, s3, s1
	s_load_dwordx2 s[20:21], s[0:1], 0x0
	s_load_dwordx2 s[2:3], s[4:5], 0x20
	s_load_dwordx8 s[8:15], s[4:5], 0x30
	s_load_dwordx2 s[24:25], s[4:5], 0x58
	s_load_dword s23, s[4:5], 0x50
	s_waitcnt lgkmcnt(0)
	s_mul_i32 s0, s20, s7
	s_mul_hi_u32 s1, s20, s22
	s_mul_i32 s7, s21, s22
	s_add_i32 s0, s1, s0
	s_add_i32 s1, s0, s7
	s_mul_i32 s0, s20, s22
	s_lshl_b64 s[28:29], s[0:1], 2
	s_add_u32 s7, s2, s28
	s_addc_u32 s33, s3, s29
	s_lshr_b32 s0, s22, 31
	s_add_i32 s22, s22, s0
	s_ashr_i32 s26, s22, 1
	s_mul_i32 s22, s26, s23
	v_cmp_gt_i32_e32 vcc, s22, v0
	s_and_saveexec_b64 s[0:1], vcc
	s_cbranch_execz .LBB18_4
; %bb.2:
	s_load_dwordx2 s[20:21], s[4:5], 0x8
	s_load_dword s35, s[4:5], 0x8c
	s_mul_i32 s9, s6, s9
	s_mul_hi_u32 s23, s6, s8
	s_add_i32 s9, s23, s9
	s_mul_i32 s8, s6, s8
	s_ashr_i32 s27, s26, 31
	s_lshl_b64 s[8:9], s[8:9], 2
	s_waitcnt lgkmcnt(0)
	s_add_u32 s23, s20, s8
	s_addc_u32 s37, s21, s9
	s_abs_i32 s34, s26
	v_cvt_f32_u32_e32 v1, s34
	s_sub_i32 s20, 0, s34
	s_mov_b64 s[8:9], 0
	s_and_b32 s35, s35, 0xffff
	v_rcp_iflag_f32_e32 v2, v1
	v_mov_b32_e32 v1, s33
	s_sub_i32 s36, 0, s26
	v_mov_b32_e32 v5, s37
	v_mul_f32_e32 v2, 0x4f7ffffe, v2
	v_cvt_u32_f32_e32 v2, v2
	v_mul_lo_u32 v3, s20, v2
	v_mul_hi_u32 v3, v2, v3
	s_lshl_b64 s[20:21], s[26:27], 2
	v_add_u32_e32 v3, v2, v3
	v_mov_b32_e32 v4, s21
	v_mov_b32_e32 v2, v0
.LBB18_3:                               ; =>This Inner Loop Header: Depth=1
	v_sub_u32_e32 v7, 0, v2
	v_max_i32_e32 v7, v2, v7
	v_mul_hi_u32 v8, v7, v3
	v_mul_lo_u32 v9, v8, s34
	v_sub_u32_e32 v7, v7, v9
	v_add_u32_e32 v10, 1, v8
	v_cmp_le_u32_e32 vcc, s34, v7
	v_subrev_u32_e32 v9, s34, v7
	v_cndmask_b32_e32 v8, v8, v10, vcc
	v_cndmask_b32_e32 v7, v7, v9, vcc
	v_ashrrev_i32_e32 v6, 31, v2
	v_add_u32_e32 v9, 1, v8
	v_cmp_le_u32_e32 vcc, s34, v7
	v_xor_b32_e32 v6, s27, v6
	v_cndmask_b32_e32 v7, v8, v9, vcc
	v_xor_b32_e32 v7, v7, v6
	v_sub_u32_e32 v8, v7, v6
	v_mad_u64_u32 v[6:7], s[38:39], s36, v8, v[2:3]
	v_ashrrev_i32_e32 v10, 31, v8
	v_ashrrev_i32_e32 v7, 31, v6
	v_mul_lo_u32 v11, v8, s11
	v_mad_u64_u32 v[8:9], s[38:39], v8, s10, 0
	v_mul_lo_u32 v10, v10, s10
	v_lshlrev_b64 v[6:7], 2, v[6:7]
	v_add3_u32 v9, v9, v11, v10
	v_add_co_u32_e32 v10, vcc, s7, v6
	v_addc_co_u32_e32 v11, vcc, v1, v7, vcc
	v_add_co_u32_e32 v12, vcc, s20, v10
	v_lshlrev_b64 v[8:9], 2, v[8:9]
	v_addc_co_u32_e32 v13, vcc, v11, v4, vcc
	v_add_co_u32_e32 v8, vcc, s23, v8
	v_addc_co_u32_e32 v9, vcc, v5, v9, vcc
	v_add_co_u32_e32 v6, vcc, v8, v6
	;; [unrolled: 2-line block ×3, first 2 shown]
	global_load_dword v14, v[10:11], off
	global_load_dword v15, v[12:13], off
	v_addc_co_u32_e32 v9, vcc, v7, v4, vcc
	global_load_dword v10, v[6:7], off
	global_load_dword v11, v[8:9], off
	v_add_u32_e32 v2, s35, v2
	v_cmp_le_i32_e32 vcc, s22, v2
	s_or_b64 s[8:9], vcc, s[8:9]
	s_waitcnt vmcnt(0)
	v_mul_f32_e32 v12, v15, v11
	v_mul_f32_e32 v11, v14, v11
	v_fma_f32 v12, v14, v10, -v12
	v_fmac_f32_e32 v11, v15, v10
	global_store_dword v[6:7], v12, off
	global_store_dword v[8:9], v11, off
	s_andn2_b64 exec, exec, s[8:9]
	s_cbranch_execnz .LBB18_3
.LBB18_4:
	s_or_b64 exec, exec, s[0:1]
	s_load_dwordx4 s[20:23], s[4:5], 0x68
	s_waitcnt lgkmcnt(0)
	s_ashr_i32 s9, s23, 31
	s_mov_b32 s8, s23
	s_or_b64 s[0:1], s[30:31], s[8:9]
	s_mov_b32 s0, 0
	s_cmp_lg_u64 s[0:1], 0
	s_cbranch_scc0 .LBB18_14
; %bb.5:
	s_add_u32 s0, s8, s9
	s_mov_b32 s10, s9
	s_mov_b32 s11, s9
	s_addc_u32 s1, s9, s9
	s_xor_b64 s[36:37], s[0:1], s[10:11]
	v_cvt_f32_u32_e32 v1, s36
	v_cvt_f32_u32_e32 v2, s37
	s_sub_u32 s0, 0, s36
	s_subb_u32 s1, 0, s37
	v_madmk_f32 v1, v2, 0x4f800000, v1
	v_rcp_f32_e32 v1, v1
	v_mul_f32_e32 v1, 0x5f7ffffc, v1
	v_mul_f32_e32 v2, 0x2f800000, v1
	v_trunc_f32_e32 v2, v2
	v_madmk_f32 v1, v2, 0xcf800000, v1
	v_cvt_u32_f32_e32 v2, v2
	v_cvt_u32_f32_e32 v1, v1
	v_readfirstlane_b32 s23, v2
	v_readfirstlane_b32 s27, v1
	s_mul_i32 s38, s0, s23
	s_mul_hi_u32 s40, s0, s27
	s_mul_i32 s39, s1, s27
	s_add_i32 s38, s40, s38
	s_add_i32 s38, s38, s39
	s_mul_i32 s41, s0, s27
	s_mul_hi_u32 s39, s27, s38
	s_mul_i32 s40, s27, s38
	s_mul_hi_u32 s27, s27, s41
	s_add_u32 s27, s27, s40
	s_addc_u32 s39, 0, s39
	s_mul_hi_u32 s42, s23, s41
	s_mul_i32 s41, s23, s41
	s_add_u32 s27, s27, s41
	s_mul_hi_u32 s40, s23, s38
	s_addc_u32 s27, s39, s42
	s_addc_u32 s39, s40, 0
	s_mul_i32 s38, s23, s38
	s_add_u32 s27, s27, s38
	s_addc_u32 s38, 0, s39
	v_add_co_u32_e32 v1, vcc, s27, v1
	s_cmp_lg_u64 vcc, 0
	s_addc_u32 s23, s23, s38
	v_readfirstlane_b32 s38, v1
	s_mul_i32 s27, s0, s23
	s_mul_hi_u32 s39, s0, s38
	s_add_i32 s27, s39, s27
	s_mul_i32 s1, s1, s38
	s_add_i32 s27, s27, s1
	s_mul_i32 s0, s0, s38
	s_mul_hi_u32 s39, s23, s0
	s_mul_i32 s40, s23, s0
	s_mul_i32 s42, s38, s27
	s_mul_hi_u32 s0, s38, s0
	s_mul_hi_u32 s41, s38, s27
	s_add_u32 s0, s0, s42
	s_addc_u32 s38, 0, s41
	s_add_u32 s0, s0, s40
	s_mul_hi_u32 s1, s23, s27
	s_addc_u32 s0, s38, s39
	s_addc_u32 s1, s1, 0
	s_mul_i32 s27, s23, s27
	s_add_u32 s0, s0, s27
	s_addc_u32 s1, 0, s1
	v_add_co_u32_e32 v1, vcc, s0, v1
	s_cmp_lg_u64 vcc, 0
	s_addc_u32 s23, s23, s1
	s_ashr_i32 s38, s31, 31
	s_add_u32 s0, s30, s38
	s_mov_b32 s39, s38
	s_addc_u32 s1, s31, s38
	s_xor_b64 s[40:41], s[0:1], s[38:39]
	v_readfirstlane_b32 s27, v1
	s_mul_i32 s1, s40, s23
	s_mul_hi_u32 s42, s40, s27
	s_mul_hi_u32 s0, s40, s23
	s_add_u32 s1, s42, s1
	s_addc_u32 s0, 0, s0
	s_mul_hi_u32 s43, s41, s27
	s_mul_i32 s27, s41, s27
	s_add_u32 s1, s1, s27
	s_mul_hi_u32 s42, s41, s23
	s_addc_u32 s0, s0, s43
	s_addc_u32 s1, s42, 0
	s_mul_i32 s23, s41, s23
	s_add_u32 s23, s0, s23
	s_addc_u32 s27, 0, s1
	s_mul_i32 s0, s36, s27
	s_mul_hi_u32 s1, s36, s23
	s_add_i32 s0, s1, s0
	s_mul_i32 s1, s37, s23
	s_add_i32 s42, s0, s1
	s_mul_i32 s1, s36, s23
	v_mov_b32_e32 v1, s1
	s_sub_i32 s0, s41, s42
	v_sub_co_u32_e32 v1, vcc, s40, v1
	s_cmp_lg_u64 vcc, 0
	s_subb_u32 s40, s0, s37
	v_subrev_co_u32_e64 v2, s[0:1], s36, v1
	s_cmp_lg_u64 s[0:1], 0
	s_subb_u32 s0, s40, 0
	s_cmp_ge_u32 s0, s37
	v_readfirstlane_b32 s40, v2
	s_cselect_b32 s1, -1, 0
	s_cmp_ge_u32 s40, s36
	s_cselect_b32 s40, -1, 0
	s_cmp_eq_u32 s0, s37
	s_cselect_b32 s0, s40, s1
	s_add_u32 s1, s23, 1
	s_addc_u32 s40, s27, 0
	s_add_u32 s43, s23, 2
	s_addc_u32 s44, s27, 0
	s_cmp_lg_u32 s0, 0
	s_cselect_b32 s0, s43, s1
	s_cselect_b32 s1, s44, s40
	s_cmp_lg_u64 vcc, 0
	s_subb_u32 s40, s41, s42
	s_cmp_ge_u32 s40, s37
	v_readfirstlane_b32 s42, v1
	s_cselect_b32 s41, -1, 0
	s_cmp_ge_u32 s42, s36
	s_cselect_b32 s36, -1, 0
	s_cmp_eq_u32 s40, s37
	s_cselect_b32 s36, s36, s41
	s_cmp_lg_u32 s36, 0
	s_cselect_b32 s1, s1, s27
	s_cselect_b32 s0, s0, s23
	s_xor_b64 s[10:11], s[38:39], s[10:11]
	s_xor_b64 s[0:1], s[0:1], s[10:11]
	s_sub_u32 s10, s0, s10
	s_subb_u32 s11, s1, s11
	s_cbranch_execnz .LBB18_7
.LBB18_6:
	v_cvt_f32_u32_e32 v1, s8
	s_sub_i32 s0, 0, s8
	s_mov_b32 s11, 0
	v_rcp_iflag_f32_e32 v1, v1
	v_mul_f32_e32 v1, 0x4f7ffffe, v1
	v_cvt_u32_f32_e32 v1, v1
	v_readfirstlane_b32 s1, v1
	s_mul_i32 s0, s0, s1
	s_mul_hi_u32 s0, s1, s0
	s_add_i32 s1, s1, s0
	s_mul_hi_u32 s0, s30, s1
	s_mul_i32 s10, s0, s8
	s_sub_i32 s10, s30, s10
	s_add_i32 s1, s0, 1
	s_sub_i32 s23, s10, s8
	s_cmp_ge_u32 s10, s8
	s_cselect_b32 s0, s1, s0
	s_cselect_b32 s10, s23, s10
	s_add_i32 s1, s0, 1
	s_cmp_ge_u32 s10, s8
	s_cselect_b32 s10, s1, s0
.LBB18_7:
	s_mul_i32 s0, s10, s9
	s_mul_hi_u32 s1, s10, s8
	s_add_i32 s0, s1, s0
	s_mul_i32 s1, s11, s8
	s_add_i32 s0, s0, s1
	s_mul_i32 s1, s10, s8
	s_sub_u32 s38, s30, s1
	s_subb_u32 s0, s31, s0
	v_cmp_gt_i32_e32 vcc, s26, v0
	s_mul_hi_u32 s40, s10, s20
	s_mul_i32 s41, s11, s20
	s_mul_i32 s34, s10, s20
	s_mul_hi_u32 s39, s38, s21
	s_mul_i32 s11, s0, s21
	s_mul_i32 s30, s38, s21
	s_and_saveexec_b64 s[36:37], vcc
	s_cbranch_execz .LBB18_10
; %bb.8:
	s_load_dword s8, s[4:5], 0x8c
	s_mul_i32 s0, s6, s13
	s_mul_hi_u32 s1, s6, s12
	s_add_i32 s1, s1, s0
	s_mul_i32 s0, s6, s12
	s_ashr_i32 s27, s26, 31
	s_lshl_b64 s[0:1], s[0:1], 2
	s_add_u32 s42, s16, s0
	s_addc_u32 s43, s17, s1
	s_waitcnt lgkmcnt(0)
	s_and_b32 s44, s8, 0xffff
	s_ashr_i32 s31, s20, 31
	s_ashr_i32 s48, s21, 31
	;; [unrolled: 1-line block ×3, first 2 shown]
	s_lshl_b32 s45, s44, 2
	s_lshl_b64 s[8:9], s[26:27], 2
	s_add_u32 s12, s28, s8
	s_addc_u32 s13, s29, s9
	s_add_u32 s28, s2, s12
	s_addc_u32 s29, s3, s13
	;; [unrolled: 2-line block ×3, first 2 shown]
	s_add_u32 s46, s16, s0
	s_mul_i32 s0, s10, s31
	s_mul_i32 s2, s38, s48
	s_addc_u32 s47, s17, s1
	s_add_i32 s0, s40, s0
	s_add_i32 s2, s39, s2
	s_add_i32 s35, s0, s41
	s_add_i32 s31, s2, s11
	s_lshl_b64 s[12:13], s[26:27], 1
	s_lshl_b64 s[0:1], s[34:35], 1
	;; [unrolled: 1-line block ×3, first 2 shown]
	s_add_u32 s2, s0, s2
	s_addc_u32 s3, s1, s3
	s_lshl_b64 s[0:1], s[22:23], 1
	s_add_u32 s0, s2, s0
	s_addc_u32 s1, s3, s1
	s_add_u32 s0, s24, s0
	v_lshlrev_b32_e32 v1, 1, v0
	s_addc_u32 s1, s25, s1
	s_mov_b32 s49, 0
	v_mov_b32_e32 v3, s1
	v_add_co_u32_e32 v4, vcc, s0, v1
	v_lshlrev_b32_e32 v2, 2, v0
	v_addc_co_u32_e32 v5, vcc, 0, v3, vcc
	s_lshl_b32 s23, s44, 1
	s_mov_b64 s[16:17], 0
	v_mov_b32_e32 v1, s13
	v_mov_b32_e32 v3, s49
	;; [unrolled: 1-line block ×3, first 2 shown]
.LBB18_9:                               ; =>This Inner Loop Header: Depth=1
	v_mov_b32_e32 v9, s29
	v_add_co_u32_e32 v8, vcc, s28, v2
	v_mov_b32_e32 v7, s33
	v_mov_b32_e32 v11, s43
	v_add_co_u32_e64 v10, s[0:1], s42, v2
	v_mov_b32_e32 v13, s47
	v_add_co_u32_e64 v12, s[2:3], s46, v2
	v_add_co_u32_e64 v14, s[8:9], s7, v2
	v_addc_co_u32_e32 v9, vcc, 0, v9, vcc
	v_addc_co_u32_e64 v15, s[8:9], 0, v7, s[8:9]
	v_addc_co_u32_e64 v11, vcc, 0, v11, s[0:1]
	v_addc_co_u32_e64 v13, vcc, 0, v13, s[2:3]
	global_load_dword v7, v[8:9], off
	global_load_dword v16, v[12:13], off
	;; [unrolled: 1-line block ×4, first 2 shown]
	s_add_u32 s7, s7, s45
	s_addc_u32 s33, s33, 0
	s_add_u32 s28, s28, s45
	s_addc_u32 s29, s29, 0
	s_add_u32 s46, s46, s45
	v_add_co_u32_e32 v8, vcc, s12, v4
	s_addc_u32 s47, s47, 0
	v_addc_co_u32_e32 v9, vcc, v5, v1, vcc
	v_add_u32_e32 v6, s44, v6
	s_add_u32 s42, s42, s45
	v_cmp_le_i32_e32 vcc, s26, v6
	s_addc_u32 s43, s43, 0
	s_or_b64 s[16:17], vcc, s[16:17]
	s_waitcnt vmcnt(2)
	v_mul_f32_e32 v14, v7, v16
	s_waitcnt vmcnt(1)
	v_mul_f32_e32 v15, v17, v16
	s_waitcnt vmcnt(0)
	v_fma_f32 v14, v17, v18, -v14
	v_fmac_f32_e32 v15, v7, v18
	global_store_dword v[10:11], v14, off
	global_store_dword v[12:13], v15, off
	global_store_short v[4:5], v14, off
	global_store_short v[8:9], v15, off
	v_add_co_u32_e32 v4, vcc, s23, v4
	v_addc_co_u32_e32 v5, vcc, v5, v3, vcc
	s_andn2_b64 exec, exec, s[16:17]
	s_cbranch_execnz .LBB18_9
.LBB18_10:
	s_or_b64 exec, exec, s[36:37]
	v_cmp_gt_i32_e32 vcc, s22, v0
	s_and_saveexec_b64 s[0:1], vcc
	s_cbranch_execz .LBB18_13
; %bb.11:
	s_mul_i32 s0, s6, s15
	s_mul_hi_u32 s1, s6, s14
	s_add_i32 s1, s1, s0
	s_mul_i32 s0, s6, s14
	s_lshl_b64 s[0:1], s[0:1], 2
	s_add_u32 s2, s18, s0
	s_addc_u32 s6, s19, s1
	s_ashr_i32 s0, s20, 31
	s_mul_i32 s0, s10, s0
	s_add_i32 s0, s40, s0
	s_add_i32 s35, s0, s41
	s_lshl_b64 s[0:1], s[34:35], 1
	s_add_u32 s3, s24, s0
	s_addc_u32 s7, s25, s1
	s_ashr_i32 s0, s21, 31
	s_mul_i32 s38, s38, s0
	s_add_i32 s0, s39, s38
	s_load_dword s4, s[4:5], 0x8c
	s_add_i32 s31, s0, s11
	s_lshl_b64 s[0:1], s[30:31], 1
	s_add_u32 s3, s3, s0
	s_addc_u32 s5, s7, s1
	s_waitcnt lgkmcnt(0)
	s_and_b32 s4, s4, 0xffff
	s_mov_b64 s[0:1], 0
	v_mov_b32_e32 v2, s6
	v_mov_b32_e32 v3, s5
.LBB18_12:                              ; =>This Inner Loop Header: Depth=1
	v_ashrrev_i32_e32 v1, 31, v0
	v_lshlrev_b64 v[4:5], 2, v[0:1]
	v_add_co_u32_e32 v4, vcc, s2, v4
	v_addc_co_u32_e32 v5, vcc, v2, v5, vcc
	global_load_ushort v6, v[4:5], off
	v_lshlrev_b64 v[4:5], 1, v[0:1]
	v_add_co_u32_e32 v4, vcc, s3, v4
	v_addc_co_u32_e32 v5, vcc, v3, v5, vcc
	v_add_u32_e32 v0, s4, v0
	v_cmp_le_i32_e32 vcc, s22, v0
	s_or_b64 s[0:1], vcc, s[0:1]
	s_waitcnt vmcnt(0)
	global_store_short v[4:5], v6, off
	s_andn2_b64 exec, exec, s[0:1]
	s_cbranch_execnz .LBB18_12
.LBB18_13:
	s_endpgm
.LBB18_14:
                                        ; implicit-def: $sgpr10_sgpr11
	s_branch .LBB18_6
	.section	.rodata,"a",@progbits
	.p2align	6, 0x0
	.amdhsa_kernel _ZN4vllm38concat_and_cache_mla_rope_fused_kernelIffLb1EttLNS_18Fp8KVCacheDataTypeE0EEEvPKlPT_S5_PKS4_PKT0_illlliPT3_S3_iiiiPKf
		.amdhsa_group_segment_fixed_size 0
		.amdhsa_private_segment_fixed_size 0
		.amdhsa_kernarg_size 384
		.amdhsa_user_sgpr_count 6
		.amdhsa_user_sgpr_private_segment_buffer 1
		.amdhsa_user_sgpr_dispatch_ptr 0
		.amdhsa_user_sgpr_queue_ptr 0
		.amdhsa_user_sgpr_kernarg_segment_ptr 1
		.amdhsa_user_sgpr_dispatch_id 0
		.amdhsa_user_sgpr_flat_scratch_init 0
		.amdhsa_user_sgpr_kernarg_preload_length 0
		.amdhsa_user_sgpr_kernarg_preload_offset 0
		.amdhsa_user_sgpr_private_segment_size 0
		.amdhsa_uses_dynamic_stack 0
		.amdhsa_system_sgpr_private_segment_wavefront_offset 0
		.amdhsa_system_sgpr_workgroup_id_x 1
		.amdhsa_system_sgpr_workgroup_id_y 0
		.amdhsa_system_sgpr_workgroup_id_z 0
		.amdhsa_system_sgpr_workgroup_info 0
		.amdhsa_system_vgpr_workitem_id 0
		.amdhsa_next_free_vgpr 19
		.amdhsa_next_free_sgpr 50
		.amdhsa_accum_offset 20
		.amdhsa_reserve_vcc 1
		.amdhsa_reserve_flat_scratch 0
		.amdhsa_float_round_mode_32 0
		.amdhsa_float_round_mode_16_64 0
		.amdhsa_float_denorm_mode_32 3
		.amdhsa_float_denorm_mode_16_64 3
		.amdhsa_dx10_clamp 1
		.amdhsa_ieee_mode 1
		.amdhsa_fp16_overflow 0
		.amdhsa_tg_split 0
		.amdhsa_exception_fp_ieee_invalid_op 0
		.amdhsa_exception_fp_denorm_src 0
		.amdhsa_exception_fp_ieee_div_zero 0
		.amdhsa_exception_fp_ieee_overflow 0
		.amdhsa_exception_fp_ieee_underflow 0
		.amdhsa_exception_fp_ieee_inexact 0
		.amdhsa_exception_int_div_zero 0
	.end_amdhsa_kernel
	.section	.text._ZN4vllm38concat_and_cache_mla_rope_fused_kernelIffLb1EttLNS_18Fp8KVCacheDataTypeE0EEEvPKlPT_S5_PKS4_PKT0_illlliPT3_S3_iiiiPKf,"axG",@progbits,_ZN4vllm38concat_and_cache_mla_rope_fused_kernelIffLb1EttLNS_18Fp8KVCacheDataTypeE0EEEvPKlPT_S5_PKS4_PKT0_illlliPT3_S3_iiiiPKf,comdat
.Lfunc_end18:
	.size	_ZN4vllm38concat_and_cache_mla_rope_fused_kernelIffLb1EttLNS_18Fp8KVCacheDataTypeE0EEEvPKlPT_S5_PKS4_PKT0_illlliPT3_S3_iiiiPKf, .Lfunc_end18-_ZN4vllm38concat_and_cache_mla_rope_fused_kernelIffLb1EttLNS_18Fp8KVCacheDataTypeE0EEEvPKlPT_S5_PKS4_PKT0_illlliPT3_S3_iiiiPKf
                                        ; -- End function
	.section	.AMDGPU.csdata,"",@progbits
; Kernel info:
; codeLenInByte = 2024
; NumSgprs: 54
; NumVgprs: 19
; NumAgprs: 0
; TotalNumVgprs: 19
; ScratchSize: 0
; MemoryBound: 0
; FloatMode: 240
; IeeeMode: 1
; LDSByteSize: 0 bytes/workgroup (compile time only)
; SGPRBlocks: 6
; VGPRBlocks: 2
; NumSGPRsForWavesPerEU: 54
; NumVGPRsForWavesPerEU: 19
; AccumOffset: 20
; Occupancy: 8
; WaveLimiterHint : 1
; COMPUTE_PGM_RSRC2:SCRATCH_EN: 0
; COMPUTE_PGM_RSRC2:USER_SGPR: 6
; COMPUTE_PGM_RSRC2:TRAP_HANDLER: 0
; COMPUTE_PGM_RSRC2:TGID_X_EN: 1
; COMPUTE_PGM_RSRC2:TGID_Y_EN: 0
; COMPUTE_PGM_RSRC2:TGID_Z_EN: 0
; COMPUTE_PGM_RSRC2:TIDIG_COMP_CNT: 0
; COMPUTE_PGM_RSRC3_GFX90A:ACCUM_OFFSET: 4
; COMPUTE_PGM_RSRC3_GFX90A:TG_SPLIT: 0
	.section	.text._ZN4vllm38concat_and_cache_mla_rope_fused_kernelIffLb0EttLNS_18Fp8KVCacheDataTypeE0EEEvPKlPT_S5_PKS4_PKT0_illlliPT3_S3_iiiiPKf,"axG",@progbits,_ZN4vllm38concat_and_cache_mla_rope_fused_kernelIffLb0EttLNS_18Fp8KVCacheDataTypeE0EEEvPKlPT_S5_PKS4_PKT0_illlliPT3_S3_iiiiPKf,comdat
	.protected	_ZN4vllm38concat_and_cache_mla_rope_fused_kernelIffLb0EttLNS_18Fp8KVCacheDataTypeE0EEEvPKlPT_S5_PKS4_PKT0_illlliPT3_S3_iiiiPKf ; -- Begin function _ZN4vllm38concat_and_cache_mla_rope_fused_kernelIffLb0EttLNS_18Fp8KVCacheDataTypeE0EEEvPKlPT_S5_PKS4_PKT0_illlliPT3_S3_iiiiPKf
	.globl	_ZN4vllm38concat_and_cache_mla_rope_fused_kernelIffLb0EttLNS_18Fp8KVCacheDataTypeE0EEEvPKlPT_S5_PKS4_PKT0_illlliPT3_S3_iiiiPKf
	.p2align	8
	.type	_ZN4vllm38concat_and_cache_mla_rope_fused_kernelIffLb0EttLNS_18Fp8KVCacheDataTypeE0EEEvPKlPT_S5_PKS4_PKT0_illlliPT3_S3_iiiiPKf,@function
_ZN4vllm38concat_and_cache_mla_rope_fused_kernelIffLb0EttLNS_18Fp8KVCacheDataTypeE0EEEvPKlPT_S5_PKS4_PKT0_illlliPT3_S3_iiiiPKf: ; @_ZN4vllm38concat_and_cache_mla_rope_fused_kernelIffLb0EttLNS_18Fp8KVCacheDataTypeE0EEEvPKlPT_S5_PKS4_PKT0_illlliPT3_S3_iiiiPKf
; %bb.0:
	s_load_dwordx2 s[2:3], s[4:5], 0x60
	s_mov_b32 s7, 0
	s_lshl_b64 s[0:1], s[6:7], 3
	s_waitcnt lgkmcnt(0)
	s_add_u32 s2, s2, s0
	s_addc_u32 s3, s3, s1
	s_load_dwordx2 s[24:25], s[2:3], 0x0
	s_waitcnt lgkmcnt(0)
	v_cmp_lt_i64_e64 s[2:3], s[24:25], 0
	s_and_b64 vcc, exec, s[2:3]
	s_cbranch_vccnz .LBB19_13
; %bb.1:
	s_load_dword s7, s[4:5], 0x28
	s_load_dwordx2 s[2:3], s[4:5], 0x0
	s_load_dwordx4 s[16:19], s[4:5], 0x10
	s_waitcnt lgkmcnt(0)
	s_ashr_i32 s26, s7, 31
	s_add_u32 s0, s2, s0
	s_addc_u32 s1, s3, s1
	s_load_dwordx2 s[20:21], s[0:1], 0x0
	s_load_dwordx2 s[22:23], s[4:5], 0x20
	s_load_dwordx8 s[8:15], s[4:5], 0x30
	s_load_dwordx2 s[2:3], s[4:5], 0x58
	s_load_dword s28, s[4:5], 0x50
	s_waitcnt lgkmcnt(0)
	s_mul_i32 s0, s20, s26
	s_mul_hi_u32 s1, s20, s7
	s_mul_i32 s21, s21, s7
	s_add_i32 s0, s1, s0
	s_add_i32 s27, s0, s21
	s_lshr_b32 s0, s7, 31
	s_mul_i32 s26, s20, s7
	s_add_i32 s7, s7, s0
	s_ashr_i32 s20, s7, 1
	s_mul_i32 s7, s20, s28
	v_cmp_gt_i32_e32 vcc, s7, v0
	s_and_saveexec_b64 s[0:1], vcc
	s_cbranch_execz .LBB19_4
; %bb.2:
	s_lshl_b64 s[28:29], s[26:27], 2
	s_add_u32 s30, s22, s28
	s_addc_u32 s38, s23, s29
	s_load_dwordx2 s[28:29], s[4:5], 0x8
	s_load_dword s34, s[4:5], 0x8c
	s_mul_i32 s9, s6, s9
	s_mul_hi_u32 s31, s6, s8
	s_add_i32 s9, s31, s9
	s_mul_i32 s8, s6, s8
	s_ashr_i32 s21, s20, 31
	s_lshl_b64 s[8:9], s[8:9], 2
	s_waitcnt lgkmcnt(0)
	s_add_u32 s31, s28, s8
	s_addc_u32 s39, s29, s9
	s_abs_i32 s33, s20
	v_cvt_f32_u32_e32 v1, s33
	s_sub_i32 s8, 0, s33
	s_and_b32 s34, s34, 0xffff
	s_lshl_b64 s[28:29], s[20:21], 2
	v_rcp_iflag_f32_e32 v1, v1
	s_sub_i32 s35, 0, s20
	s_lshl_b32 s37, s34, 1
	v_mov_b32_e32 v3, s38
	v_mul_f32_e32 v1, 0x4f7ffffe, v1
	v_cvt_u32_f32_e32 v1, v1
	v_mov_b32_e32 v5, s29
	v_mov_b32_e32 v6, s39
	;; [unrolled: 1-line block ×3, first 2 shown]
	v_mul_lo_u32 v2, s8, v1
	v_mul_hi_u32 v2, v1, v2
	s_lshl_b32 s8, s20, 1
	v_add_u32_e32 v1, v1, v2
	s_sub_i32 s36, 0, s8
	v_lshlrev_b32_e32 v2, 1, v0
	s_mov_b64 s[8:9], 0
.LBB19_3:                               ; =>This Inner Loop Header: Depth=1
	v_sub_u32_e32 v8, 0, v4
	v_max_i32_e32 v8, v4, v8
	v_mul_hi_u32 v9, v8, v1
	v_mul_lo_u32 v10, v9, s33
	v_sub_u32_e32 v8, v8, v10
	v_add_u32_e32 v11, 1, v9
	v_cmp_le_u32_e32 vcc, s33, v8
	v_subrev_u32_e32 v10, s33, v8
	v_cndmask_b32_e32 v9, v9, v11, vcc
	v_cndmask_b32_e32 v8, v8, v10, vcc
	v_ashrrev_i32_e32 v7, 31, v4
	v_add_u32_e32 v10, 1, v9
	v_cmp_le_u32_e32 vcc, s33, v8
	v_xor_b32_e32 v7, s21, v7
	v_cndmask_b32_e32 v8, v9, v10, vcc
	v_xor_b32_e32 v8, v8, v7
	v_sub_u32_e32 v7, v8, v7
	v_mad_u64_u32 v[8:9], s[38:39], s35, v7, v[4:5]
	v_ashrrev_i32_e32 v9, 31, v8
	v_lshlrev_b64 v[8:9], 2, v[8:9]
	v_ashrrev_i32_e32 v14, 31, v7
	v_add_co_u32_e32 v8, vcc, s30, v8
	v_mul_lo_u32 v15, v7, s11
	v_mad_u64_u32 v[10:11], s[38:39], v7, s10, 0
	v_mad_u64_u32 v[12:13], s[38:39], s36, v7, v[2:3]
	v_mul_lo_u32 v7, v14, s10
	v_addc_co_u32_e32 v9, vcc, v3, v9, vcc
	v_add3_u32 v11, v11, v15, v7
	v_add_co_u32_e32 v14, vcc, s28, v8
	v_lshlrev_b64 v[10:11], 2, v[10:11]
	v_addc_co_u32_e32 v15, vcc, v9, v5, vcc
	v_ashrrev_i32_e32 v13, 31, v12
	v_add_co_u32_e32 v7, vcc, s31, v10
	v_lshlrev_b64 v[12:13], 2, v[12:13]
	v_addc_co_u32_e32 v10, vcc, v6, v11, vcc
	global_load_dword v16, v[8:9], off
	global_load_dword v17, v[14:15], off
	v_add_co_u32_e32 v8, vcc, v7, v12
	v_addc_co_u32_e32 v9, vcc, v10, v13, vcc
	global_load_dwordx2 v[10:11], v[8:9], off
	v_add_u32_e32 v4, s34, v4
	v_cmp_le_i32_e32 vcc, s7, v4
	v_add_u32_e32 v2, s37, v2
	s_or_b64 s[8:9], vcc, s[8:9]
	s_waitcnt vmcnt(0)
	v_mul_f32_e32 v7, v17, v11
	v_mul_f32_e32 v13, v16, v11
	v_fma_f32 v12, v16, v10, -v7
	v_fmac_f32_e32 v13, v17, v10
	global_store_dwordx2 v[8:9], v[12:13], off
	s_andn2_b64 exec, exec, s[8:9]
	s_cbranch_execnz .LBB19_3
.LBB19_4:
	s_or_b64 exec, exec, s[0:1]
	s_load_dwordx4 s[8:11], s[4:5], 0x68
	s_waitcnt lgkmcnt(0)
	s_ashr_i32 s29, s11, 31
	s_mov_b32 s28, s11
	s_or_b64 s[0:1], s[24:25], s[28:29]
	s_mov_b32 s0, 0
	s_cmp_lg_u64 s[0:1], 0
	s_cbranch_scc0 .LBB19_14
; %bb.5:
	s_add_u32 s0, s28, s29
	s_mov_b32 s34, s29
	s_mov_b32 s35, s29
	s_addc_u32 s1, s29, s29
	s_xor_b64 s[36:37], s[0:1], s[34:35]
	v_cvt_f32_u32_e32 v1, s36
	v_cvt_f32_u32_e32 v2, s37
	s_sub_u32 s0, 0, s36
	s_subb_u32 s1, 0, s37
	v_madmk_f32 v1, v2, 0x4f800000, v1
	v_rcp_f32_e32 v1, v1
	v_mul_f32_e32 v1, 0x5f7ffffc, v1
	v_mul_f32_e32 v2, 0x2f800000, v1
	v_trunc_f32_e32 v2, v2
	v_madmk_f32 v1, v2, 0xcf800000, v1
	v_cvt_u32_f32_e32 v2, v2
	v_cvt_u32_f32_e32 v1, v1
	v_readfirstlane_b32 s7, v2
	v_readfirstlane_b32 s11, v1
	s_mul_i32 s21, s0, s7
	s_mul_hi_u32 s38, s0, s11
	s_mul_i32 s33, s1, s11
	s_add_i32 s21, s38, s21
	s_add_i32 s21, s21, s33
	s_mul_i32 s39, s0, s11
	s_mul_hi_u32 s33, s11, s21
	s_mul_i32 s38, s11, s21
	s_mul_hi_u32 s11, s11, s39
	s_add_u32 s11, s11, s38
	s_addc_u32 s33, 0, s33
	s_mul_hi_u32 s40, s7, s39
	s_mul_i32 s39, s7, s39
	s_add_u32 s11, s11, s39
	s_mul_hi_u32 s38, s7, s21
	s_addc_u32 s11, s33, s40
	s_addc_u32 s33, s38, 0
	s_mul_i32 s21, s7, s21
	s_add_u32 s11, s11, s21
	s_addc_u32 s21, 0, s33
	v_add_co_u32_e32 v1, vcc, s11, v1
	s_cmp_lg_u64 vcc, 0
	s_addc_u32 s7, s7, s21
	v_readfirstlane_b32 s21, v1
	s_mul_i32 s11, s0, s7
	s_mul_hi_u32 s33, s0, s21
	s_add_i32 s11, s33, s11
	s_mul_i32 s1, s1, s21
	s_add_i32 s11, s11, s1
	s_mul_i32 s0, s0, s21
	s_mul_hi_u32 s33, s7, s0
	s_mul_i32 s38, s7, s0
	s_mul_i32 s40, s21, s11
	s_mul_hi_u32 s0, s21, s0
	s_mul_hi_u32 s39, s21, s11
	s_add_u32 s0, s0, s40
	s_addc_u32 s21, 0, s39
	s_add_u32 s0, s0, s38
	s_mul_hi_u32 s1, s7, s11
	s_addc_u32 s0, s21, s33
	s_addc_u32 s1, s1, 0
	s_mul_i32 s11, s7, s11
	s_add_u32 s0, s0, s11
	s_addc_u32 s1, 0, s1
	v_add_co_u32_e32 v1, vcc, s0, v1
	s_cmp_lg_u64 vcc, 0
	s_addc_u32 s7, s7, s1
	s_ashr_i32 s38, s25, 31
	s_add_u32 s0, s24, s38
	s_mov_b32 s39, s38
	s_addc_u32 s1, s25, s38
	s_xor_b64 s[40:41], s[0:1], s[38:39]
	v_readfirstlane_b32 s11, v1
	s_mul_i32 s1, s40, s7
	s_mul_hi_u32 s21, s40, s11
	s_mul_hi_u32 s0, s40, s7
	s_add_u32 s1, s21, s1
	s_addc_u32 s0, 0, s0
	s_mul_hi_u32 s33, s41, s11
	s_mul_i32 s11, s41, s11
	s_add_u32 s1, s1, s11
	s_mul_hi_u32 s21, s41, s7
	s_addc_u32 s0, s0, s33
	s_addc_u32 s1, s21, 0
	s_mul_i32 s7, s41, s7
	s_add_u32 s7, s0, s7
	s_addc_u32 s11, 0, s1
	s_mul_i32 s0, s36, s11
	s_mul_hi_u32 s1, s36, s7
	s_add_i32 s0, s1, s0
	s_mul_i32 s1, s37, s7
	s_add_i32 s21, s0, s1
	s_mul_i32 s1, s36, s7
	v_mov_b32_e32 v1, s1
	s_sub_i32 s0, s41, s21
	v_sub_co_u32_e32 v1, vcc, s40, v1
	s_cmp_lg_u64 vcc, 0
	s_subb_u32 s33, s0, s37
	v_subrev_co_u32_e64 v2, s[0:1], s36, v1
	s_cmp_lg_u64 s[0:1], 0
	s_subb_u32 s0, s33, 0
	s_cmp_ge_u32 s0, s37
	v_readfirstlane_b32 s33, v2
	s_cselect_b32 s1, -1, 0
	s_cmp_ge_u32 s33, s36
	s_cselect_b32 s33, -1, 0
	s_cmp_eq_u32 s0, s37
	s_cselect_b32 s0, s33, s1
	s_add_u32 s1, s7, 1
	s_addc_u32 s33, s11, 0
	s_add_u32 s40, s7, 2
	s_addc_u32 s42, s11, 0
	s_cmp_lg_u32 s0, 0
	s_cselect_b32 s0, s40, s1
	s_cselect_b32 s1, s42, s33
	s_cmp_lg_u64 vcc, 0
	s_subb_u32 s21, s41, s21
	s_cmp_ge_u32 s21, s37
	v_readfirstlane_b32 s40, v1
	s_cselect_b32 s33, -1, 0
	s_cmp_ge_u32 s40, s36
	s_cselect_b32 s36, -1, 0
	s_cmp_eq_u32 s21, s37
	s_cselect_b32 s21, s36, s33
	s_cmp_lg_u32 s21, 0
	s_cselect_b32 s1, s1, s11
	s_cselect_b32 s0, s0, s7
	s_xor_b64 s[34:35], s[38:39], s[34:35]
	s_xor_b64 s[0:1], s[0:1], s[34:35]
	s_sub_u32 s0, s0, s34
	s_subb_u32 s1, s1, s35
	s_cbranch_execnz .LBB19_7
.LBB19_6:
	v_cvt_f32_u32_e32 v1, s28
	s_sub_i32 s0, 0, s28
	s_mov_b32 s1, 0
	v_rcp_iflag_f32_e32 v1, v1
	v_mul_f32_e32 v1, 0x4f7ffffe, v1
	v_cvt_u32_f32_e32 v1, v1
	v_readfirstlane_b32 s7, v1
	s_mul_i32 s0, s0, s7
	s_mul_hi_u32 s0, s7, s0
	s_add_i32 s7, s7, s0
	s_mul_hi_u32 s0, s24, s7
	s_mul_i32 s11, s0, s28
	s_sub_i32 s11, s24, s11
	s_add_i32 s7, s0, 1
	s_sub_i32 s21, s11, s28
	s_cmp_ge_u32 s11, s28
	s_cselect_b32 s0, s7, s0
	s_cselect_b32 s11, s21, s11
	s_add_i32 s7, s0, 1
	s_cmp_ge_u32 s11, s28
	s_cselect_b32 s0, s7, s0
.LBB19_7:
	s_mul_i32 s7, s0, s29
	s_mul_hi_u32 s11, s0, s28
	s_add_i32 s7, s11, s7
	s_mul_i32 s11, s1, s28
	s_add_i32 s11, s7, s11
	s_mul_i32 s7, s0, s28
	s_sub_u32 s7, s24, s7
	s_subb_u32 s11, s25, s11
	v_cmp_gt_i32_e32 vcc, s20, v0
	s_mul_hi_u32 s34, s0, s8
	s_mul_i32 s35, s1, s8
	s_mul_i32 s28, s0, s8
	s_mul_hi_u32 s33, s7, s9
	s_mul_i32 s1, s11, s9
	s_mul_i32 s24, s7, s9
	s_and_saveexec_b64 s[30:31], vcc
	s_cbranch_execz .LBB19_10
; %bb.8:
	s_load_dword s25, s[4:5], 0x8c
	s_ashr_i32 s21, s20, 31
	s_ashr_i32 s29, s8, 31
	;; [unrolled: 1-line block ×4, first 2 shown]
	s_waitcnt lgkmcnt(0)
	s_and_b32 s36, s25, 0xffff
	s_lshl_b64 s[26:27], s[26:27], 2
	s_add_u32 s22, s22, s26
	v_lshlrev_b32_e32 v1, 2, v0
	s_addc_u32 s23, s23, s27
	v_mov_b32_e32 v3, s23
	v_add_co_u32_e32 v2, vcc, s22, v1
	s_lshl_b64 s[22:23], s[20:21], 2
	s_mul_i32 s13, s13, s6
	s_mul_hi_u32 s21, s12, s6
	s_add_i32 s13, s21, s13
	s_mul_i32 s12, s12, s6
	s_lshl_b32 s26, s36, 2
	s_lshl_b64 s[12:13], s[12:13], 2
	v_addc_co_u32_e32 v3, vcc, 0, v3, vcc
	v_lshlrev_b32_e32 v4, 3, v0
	s_add_u32 s12, s16, s12
	v_add_co_u32_e32 v4, vcc, s12, v4
	s_mul_i32 s12, s0, s29
	s_mul_i32 s21, s7, s37
	s_addc_u32 s13, s17, s13
	s_add_i32 s12, s34, s12
	s_add_i32 s21, s33, s21
	;; [unrolled: 1-line block ×4, first 2 shown]
	v_mov_b32_e32 v5, s13
	s_lshl_b32 s16, s36, 3
	s_lshl_b64 s[12:13], s[28:29], 1
	s_lshl_b64 s[38:39], s[24:25], 1
	s_add_u32 s21, s12, s38
	s_addc_u32 s25, s13, s39
	s_lshl_b64 s[12:13], s[10:11], 1
	s_add_u32 s11, s2, s12
	v_addc_co_u32_e32 v5, vcc, 0, v5, vcc
	s_addc_u32 s12, s3, s13
	v_add_co_u32_e32 v4, vcc, 4, v4
	s_add_u32 s11, s11, s21
	v_addc_co_u32_e32 v5, vcc, 0, v5, vcc
	s_addc_u32 s12, s12, s25
	s_mov_b32 s40, 0
	v_mov_b32_e32 v7, s12
	v_add_co_u32_e32 v6, vcc, s11, v1
	v_addc_co_u32_e32 v7, vcc, 0, v7, vcc
	s_mov_b64 s[12:13], 0
	v_mov_b32_e32 v1, s23
	s_mov_b32 s11, 0x5040100
	v_mov_b32_e32 v8, s40
	v_mov_b32_e32 v9, s40
	;; [unrolled: 1-line block ×3, first 2 shown]
	s_mov_b32 s17, s40
.LBB19_9:                               ; =>This Inner Loop Header: Depth=1
	v_add_co_u32_e32 v12, vcc, s22, v2
	v_addc_co_u32_e32 v13, vcc, v3, v1, vcc
	global_load_dword v14, v[12:13], off
	global_load_dwordx2 v[16:17], v[4:5], off offset:-4
	global_load_dword v18, v[2:3], off
	v_add_co_u32_e32 v2, vcc, s26, v2
	v_add_u32_e32 v10, s36, v10
	v_addc_co_u32_e32 v3, vcc, v3, v8, vcc
	v_cmp_le_i32_e32 vcc, s20, v10
	s_or_b64 s[12:13], vcc, s[12:13]
	s_waitcnt vmcnt(1)
	v_pk_mul_f32 v[12:13], v[14:15], v[16:17] op_sel_hi:[0,1]
	s_waitcnt vmcnt(0)
	v_pk_fma_f32 v[14:15], v[18:19], v[16:17], v[12:13] op_sel:[0,0,1] op_sel_hi:[1,1,0] neg_lo:[0,0,1] neg_hi:[0,0,1]
	v_pk_fma_f32 v[12:13], v[18:19], v[16:17], v[12:13] op_sel:[0,0,1] op_sel_hi:[0,1,0]
	v_mov_b32_e32 v15, v13
	v_perm_b32 v11, v13, v14, s11
	global_store_dwordx2 v[4:5], v[14:15], off offset:-4
	global_store_dword v[6:7], v11, off
	v_add_co_u32_e32 v4, vcc, s16, v4
	v_addc_co_u32_e32 v5, vcc, v5, v9, vcc
	v_add_co_u32_e32 v6, vcc, s26, v6
	v_addc_co_u32_e32 v7, vcc, v7, v8, vcc
	s_andn2_b64 exec, exec, s[12:13]
	s_cbranch_execnz .LBB19_9
.LBB19_10:
	s_or_b64 exec, exec, s[30:31]
	v_cmp_gt_i32_e32 vcc, s10, v0
	s_and_saveexec_b64 s[12:13], vcc
	s_cbranch_execz .LBB19_13
; %bb.11:
	s_mul_i32 s11, s6, s15
	s_mul_hi_u32 s12, s6, s14
	s_add_i32 s13, s12, s11
	s_mul_i32 s12, s6, s14
	s_lshl_b64 s[12:13], s[12:13], 2
	s_add_u32 s6, s18, s12
	s_addc_u32 s11, s19, s13
	s_ashr_i32 s8, s8, 31
	s_mul_i32 s0, s0, s8
	s_add_i32 s0, s34, s0
	s_add_i32 s29, s0, s35
	s_lshl_b64 s[12:13], s[28:29], 1
	s_add_u32 s2, s2, s12
	s_addc_u32 s3, s3, s13
	s_ashr_i32 s0, s9, 31
	s_mul_i32 s7, s7, s0
	s_add_i32 s0, s33, s7
	s_load_dword s4, s[4:5], 0x8c
	s_add_i32 s25, s0, s1
	s_lshl_b64 s[0:1], s[24:25], 1
	s_add_u32 s2, s2, s0
	s_addc_u32 s5, s3, s1
	s_waitcnt lgkmcnt(0)
	s_and_b32 s3, s4, 0xffff
	s_mov_b64 s[0:1], 0
	v_mov_b32_e32 v2, s11
	v_mov_b32_e32 v3, s5
.LBB19_12:                              ; =>This Inner Loop Header: Depth=1
	v_ashrrev_i32_e32 v1, 31, v0
	v_lshlrev_b64 v[4:5], 2, v[0:1]
	v_add_co_u32_e32 v4, vcc, s6, v4
	v_addc_co_u32_e32 v5, vcc, v2, v5, vcc
	global_load_ushort v6, v[4:5], off
	v_lshlrev_b64 v[4:5], 1, v[0:1]
	v_add_co_u32_e32 v4, vcc, s2, v4
	v_addc_co_u32_e32 v5, vcc, v3, v5, vcc
	v_add_u32_e32 v0, s3, v0
	v_cmp_le_i32_e32 vcc, s10, v0
	s_or_b64 s[0:1], vcc, s[0:1]
	s_waitcnt vmcnt(0)
	global_store_short v[4:5], v6, off
	s_andn2_b64 exec, exec, s[0:1]
	s_cbranch_execnz .LBB19_12
.LBB19_13:
	s_endpgm
.LBB19_14:
                                        ; implicit-def: $sgpr0_sgpr1
	s_branch .LBB19_6
	.section	.rodata,"a",@progbits
	.p2align	6, 0x0
	.amdhsa_kernel _ZN4vllm38concat_and_cache_mla_rope_fused_kernelIffLb0EttLNS_18Fp8KVCacheDataTypeE0EEEvPKlPT_S5_PKS4_PKT0_illlliPT3_S3_iiiiPKf
		.amdhsa_group_segment_fixed_size 0
		.amdhsa_private_segment_fixed_size 0
		.amdhsa_kernarg_size 384
		.amdhsa_user_sgpr_count 6
		.amdhsa_user_sgpr_private_segment_buffer 1
		.amdhsa_user_sgpr_dispatch_ptr 0
		.amdhsa_user_sgpr_queue_ptr 0
		.amdhsa_user_sgpr_kernarg_segment_ptr 1
		.amdhsa_user_sgpr_dispatch_id 0
		.amdhsa_user_sgpr_flat_scratch_init 0
		.amdhsa_user_sgpr_kernarg_preload_length 0
		.amdhsa_user_sgpr_kernarg_preload_offset 0
		.amdhsa_user_sgpr_private_segment_size 0
		.amdhsa_uses_dynamic_stack 0
		.amdhsa_system_sgpr_private_segment_wavefront_offset 0
		.amdhsa_system_sgpr_workgroup_id_x 1
		.amdhsa_system_sgpr_workgroup_id_y 0
		.amdhsa_system_sgpr_workgroup_id_z 0
		.amdhsa_system_sgpr_workgroup_info 0
		.amdhsa_system_vgpr_workitem_id 0
		.amdhsa_next_free_vgpr 20
		.amdhsa_next_free_sgpr 43
		.amdhsa_accum_offset 20
		.amdhsa_reserve_vcc 1
		.amdhsa_reserve_flat_scratch 0
		.amdhsa_float_round_mode_32 0
		.amdhsa_float_round_mode_16_64 0
		.amdhsa_float_denorm_mode_32 3
		.amdhsa_float_denorm_mode_16_64 3
		.amdhsa_dx10_clamp 1
		.amdhsa_ieee_mode 1
		.amdhsa_fp16_overflow 0
		.amdhsa_tg_split 0
		.amdhsa_exception_fp_ieee_invalid_op 0
		.amdhsa_exception_fp_denorm_src 0
		.amdhsa_exception_fp_ieee_div_zero 0
		.amdhsa_exception_fp_ieee_overflow 0
		.amdhsa_exception_fp_ieee_underflow 0
		.amdhsa_exception_fp_ieee_inexact 0
		.amdhsa_exception_int_div_zero 0
	.end_amdhsa_kernel
	.section	.text._ZN4vllm38concat_and_cache_mla_rope_fused_kernelIffLb0EttLNS_18Fp8KVCacheDataTypeE0EEEvPKlPT_S5_PKS4_PKT0_illlliPT3_S3_iiiiPKf,"axG",@progbits,_ZN4vllm38concat_and_cache_mla_rope_fused_kernelIffLb0EttLNS_18Fp8KVCacheDataTypeE0EEEvPKlPT_S5_PKS4_PKT0_illlliPT3_S3_iiiiPKf,comdat
.Lfunc_end19:
	.size	_ZN4vllm38concat_and_cache_mla_rope_fused_kernelIffLb0EttLNS_18Fp8KVCacheDataTypeE0EEEvPKlPT_S5_PKS4_PKT0_illlliPT3_S3_iiiiPKf, .Lfunc_end19-_ZN4vllm38concat_and_cache_mla_rope_fused_kernelIffLb0EttLNS_18Fp8KVCacheDataTypeE0EEEvPKlPT_S5_PKS4_PKT0_illlliPT3_S3_iiiiPKf
                                        ; -- End function
	.section	.AMDGPU.csdata,"",@progbits
; Kernel info:
; codeLenInByte = 1964
; NumSgprs: 47
; NumVgprs: 20
; NumAgprs: 0
; TotalNumVgprs: 20
; ScratchSize: 0
; MemoryBound: 0
; FloatMode: 240
; IeeeMode: 1
; LDSByteSize: 0 bytes/workgroup (compile time only)
; SGPRBlocks: 5
; VGPRBlocks: 2
; NumSGPRsForWavesPerEU: 47
; NumVGPRsForWavesPerEU: 20
; AccumOffset: 20
; Occupancy: 8
; WaveLimiterHint : 1
; COMPUTE_PGM_RSRC2:SCRATCH_EN: 0
; COMPUTE_PGM_RSRC2:USER_SGPR: 6
; COMPUTE_PGM_RSRC2:TRAP_HANDLER: 0
; COMPUTE_PGM_RSRC2:TGID_X_EN: 1
; COMPUTE_PGM_RSRC2:TGID_Y_EN: 0
; COMPUTE_PGM_RSRC2:TGID_Z_EN: 0
; COMPUTE_PGM_RSRC2:TIDIG_COMP_CNT: 0
; COMPUTE_PGM_RSRC3_GFX90A:ACCUM_OFFSET: 4
; COMPUTE_PGM_RSRC3_GFX90A:TG_SPLIT: 0
	.section	.text._ZN4vllm38concat_and_cache_mla_rope_fused_kernelIfN3c104HalfELb1EttLNS_18Fp8KVCacheDataTypeE0EEEvPKlPT_S7_PKS6_PKT0_illlliPT3_S5_iiiiPKf,"axG",@progbits,_ZN4vllm38concat_and_cache_mla_rope_fused_kernelIfN3c104HalfELb1EttLNS_18Fp8KVCacheDataTypeE0EEEvPKlPT_S7_PKS6_PKT0_illlliPT3_S5_iiiiPKf,comdat
	.protected	_ZN4vllm38concat_and_cache_mla_rope_fused_kernelIfN3c104HalfELb1EttLNS_18Fp8KVCacheDataTypeE0EEEvPKlPT_S7_PKS6_PKT0_illlliPT3_S5_iiiiPKf ; -- Begin function _ZN4vllm38concat_and_cache_mla_rope_fused_kernelIfN3c104HalfELb1EttLNS_18Fp8KVCacheDataTypeE0EEEvPKlPT_S7_PKS6_PKT0_illlliPT3_S5_iiiiPKf
	.globl	_ZN4vllm38concat_and_cache_mla_rope_fused_kernelIfN3c104HalfELb1EttLNS_18Fp8KVCacheDataTypeE0EEEvPKlPT_S7_PKS6_PKT0_illlliPT3_S5_iiiiPKf
	.p2align	8
	.type	_ZN4vllm38concat_and_cache_mla_rope_fused_kernelIfN3c104HalfELb1EttLNS_18Fp8KVCacheDataTypeE0EEEvPKlPT_S7_PKS6_PKT0_illlliPT3_S5_iiiiPKf,@function
_ZN4vllm38concat_and_cache_mla_rope_fused_kernelIfN3c104HalfELb1EttLNS_18Fp8KVCacheDataTypeE0EEEvPKlPT_S7_PKS6_PKT0_illlliPT3_S5_iiiiPKf: ; @_ZN4vllm38concat_and_cache_mla_rope_fused_kernelIfN3c104HalfELb1EttLNS_18Fp8KVCacheDataTypeE0EEEvPKlPT_S7_PKS6_PKT0_illlliPT3_S5_iiiiPKf
; %bb.0:
	s_load_dwordx2 s[2:3], s[4:5], 0x60
	s_mov_b32 s7, 0
	s_lshl_b64 s[0:1], s[6:7], 3
	s_waitcnt lgkmcnt(0)
	s_add_u32 s2, s2, s0
	s_addc_u32 s3, s3, s1
	s_load_dwordx2 s[26:27], s[2:3], 0x0
	s_waitcnt lgkmcnt(0)
	v_cmp_lt_i64_e64 s[2:3], s[26:27], 0
	s_and_b64 vcc, exec, s[2:3]
	s_cbranch_vccnz .LBB20_13
; %bb.1:
	s_load_dword s28, s[4:5], 0x28
	s_load_dwordx2 s[2:3], s[4:5], 0x0
	s_load_dwordx4 s[16:19], s[4:5], 0x10
	s_waitcnt lgkmcnt(0)
	s_ashr_i32 s7, s28, 31
	s_add_u32 s0, s2, s0
	s_addc_u32 s1, s3, s1
	s_load_dwordx2 s[20:21], s[0:1], 0x0
	s_load_dwordx2 s[22:23], s[4:5], 0x20
	s_load_dwordx8 s[8:15], s[4:5], 0x30
	s_load_dwordx2 s[2:3], s[4:5], 0x58
	s_load_dword s29, s[4:5], 0x50
	s_waitcnt lgkmcnt(0)
	s_mul_i32 s0, s20, s7
	s_mul_hi_u32 s1, s20, s28
	s_mul_i32 s7, s21, s28
	s_add_i32 s0, s1, s0
	s_add_i32 s1, s0, s7
	s_mul_i32 s0, s20, s28
	s_lshl_b64 s[24:25], s[0:1], 1
	s_add_u32 s7, s22, s24
	s_addc_u32 s33, s23, s25
	s_lshr_b32 s0, s28, 31
	s_add_i32 s28, s28, s0
	s_ashr_i32 s20, s28, 1
	s_mul_i32 s34, s20, s29
	v_cmp_gt_i32_e32 vcc, s34, v0
	s_and_saveexec_b64 s[0:1], vcc
	s_cbranch_execz .LBB20_4
; %bb.2:
	s_load_dwordx2 s[28:29], s[4:5], 0x8
	s_mul_i32 s9, s6, s9
	s_mul_hi_u32 s30, s6, s8
	s_add_i32 s9, s30, s9
	s_load_dword s30, s[4:5], 0x8c
	s_mul_i32 s8, s6, s8
	s_ashr_i32 s21, s20, 31
	s_lshl_b64 s[8:9], s[8:9], 2
	s_waitcnt lgkmcnt(0)
	s_add_u32 s35, s28, s8
	s_addc_u32 s31, s29, s9
	s_abs_i32 s36, s20
	v_cvt_f32_u32_e32 v1, s36
	s_sub_i32 s28, 0, s36
	s_and_b32 s37, s30, 0xffff
	v_mov_b32_e32 v5, s31
	v_rcp_iflag_f32_e32 v2, v1
	s_lshl_b64 s[30:31], s[20:21], 2
	s_mov_b64 s[8:9], 0
	v_mov_b32_e32 v1, s33
	v_mul_f32_e32 v2, 0x4f7ffffe, v2
	v_cvt_u32_f32_e32 v2, v2
	s_sub_i32 s38, 0, s20
	v_mov_b32_e32 v6, s31
	v_mul_lo_u32 v3, s28, v2
	v_mul_hi_u32 v3, v2, v3
	s_lshl_b64 s[28:29], s[20:21], 1
	v_add_u32_e32 v3, v2, v3
	v_mov_b32_e32 v4, s29
	v_mov_b32_e32 v2, v0
.LBB20_3:                               ; =>This Inner Loop Header: Depth=1
	v_sub_u32_e32 v8, 0, v2
	v_max_i32_e32 v8, v2, v8
	v_mul_hi_u32 v9, v8, v3
	v_mul_lo_u32 v10, v9, s36
	v_sub_u32_e32 v8, v8, v10
	v_add_u32_e32 v11, 1, v9
	v_cmp_le_u32_e32 vcc, s36, v8
	v_subrev_u32_e32 v10, s36, v8
	v_cndmask_b32_e32 v9, v9, v11, vcc
	v_cndmask_b32_e32 v8, v8, v10, vcc
	v_ashrrev_i32_e32 v7, 31, v2
	v_add_u32_e32 v10, 1, v9
	v_cmp_le_u32_e32 vcc, s36, v8
	v_xor_b32_e32 v7, s21, v7
	v_cndmask_b32_e32 v8, v9, v10, vcc
	v_xor_b32_e32 v8, v8, v7
	v_sub_u32_e32 v7, v8, v7
	v_mad_u64_u32 v[8:9], s[40:41], s38, v7, v[2:3]
	v_ashrrev_i32_e32 v12, 31, v7
	v_ashrrev_i32_e32 v9, 31, v8
	v_mul_lo_u32 v14, v7, s11
	v_mad_u64_u32 v[10:11], s[40:41], v7, s10, 0
	v_mul_lo_u32 v7, v12, s10
	v_lshlrev_b64 v[12:13], 1, v[8:9]
	v_add_co_u32_e32 v12, vcc, s7, v12
	v_addc_co_u32_e32 v13, vcc, v1, v13, vcc
	v_add3_u32 v11, v11, v14, v7
	v_add_co_u32_e32 v14, vcc, s28, v12
	v_lshlrev_b64 v[10:11], 2, v[10:11]
	v_addc_co_u32_e32 v15, vcc, v13, v4, vcc
	v_add_co_u32_e32 v7, vcc, s35, v10
	v_lshlrev_b64 v[8:9], 2, v[8:9]
	v_addc_co_u32_e32 v10, vcc, v5, v11, vcc
	global_load_ushort v16, v[12:13], off
	global_load_ushort v17, v[14:15], off
	v_add_co_u32_e32 v8, vcc, v7, v8
	v_addc_co_u32_e32 v9, vcc, v10, v9, vcc
	v_add_co_u32_e32 v10, vcc, s30, v8
	v_addc_co_u32_e32 v11, vcc, v9, v6, vcc
	global_load_dword v7, v[8:9], off
	global_load_dword v12, v[10:11], off
	v_add_u32_e32 v2, s37, v2
	v_cmp_le_i32_e32 vcc, s34, v2
	s_or_b64 s[8:9], vcc, s[8:9]
	s_waitcnt vmcnt(3)
	v_cvt_f32_f16_e32 v13, v16
	s_waitcnt vmcnt(2)
	v_cvt_f32_f16_e32 v14, v17
	s_waitcnt vmcnt(0)
	v_mul_f32_e32 v13, v12, v13
	v_mul_f32_e32 v12, v12, v14
	v_fma_mix_f32 v13, v7, v17, v13 op_sel_hi:[0,1,0]
	v_fma_mix_f32 v7, v7, v16, -v12 op_sel_hi:[0,1,0]
	global_store_dword v[8:9], v7, off
	global_store_dword v[10:11], v13, off
	s_andn2_b64 exec, exec, s[8:9]
	s_cbranch_execnz .LBB20_3
.LBB20_4:
	s_or_b64 exec, exec, s[0:1]
	s_load_dwordx4 s[8:11], s[4:5], 0x68
	s_waitcnt lgkmcnt(0)
	s_ashr_i32 s31, s11, 31
	s_mov_b32 s30, s11
	s_or_b64 s[0:1], s[26:27], s[30:31]
	s_mov_b32 s0, 0
	s_cmp_lg_u64 s[0:1], 0
	s_cbranch_scc0 .LBB20_14
; %bb.5:
	s_add_u32 s0, s30, s31
	s_mov_b32 s28, s31
	s_mov_b32 s29, s31
	s_addc_u32 s1, s31, s31
	s_xor_b64 s[36:37], s[0:1], s[28:29]
	v_cvt_f32_u32_e32 v1, s36
	v_cvt_f32_u32_e32 v2, s37
	s_sub_u32 s0, 0, s36
	s_subb_u32 s1, 0, s37
	v_madmk_f32 v1, v2, 0x4f800000, v1
	v_rcp_f32_e32 v1, v1
	v_mul_f32_e32 v1, 0x5f7ffffc, v1
	v_mul_f32_e32 v2, 0x2f800000, v1
	v_trunc_f32_e32 v2, v2
	v_madmk_f32 v1, v2, 0xcf800000, v1
	v_cvt_u32_f32_e32 v2, v2
	v_cvt_u32_f32_e32 v1, v1
	v_readfirstlane_b32 s11, v2
	v_readfirstlane_b32 s21, v1
	s_mul_i32 s38, s0, s11
	s_mul_hi_u32 s40, s0, s21
	s_mul_i32 s39, s1, s21
	s_add_i32 s38, s40, s38
	s_add_i32 s38, s38, s39
	s_mul_i32 s41, s0, s21
	s_mul_hi_u32 s39, s21, s38
	s_mul_i32 s40, s21, s38
	s_mul_hi_u32 s21, s21, s41
	s_add_u32 s21, s21, s40
	s_addc_u32 s39, 0, s39
	s_mul_hi_u32 s42, s11, s41
	s_mul_i32 s41, s11, s41
	s_add_u32 s21, s21, s41
	s_mul_hi_u32 s40, s11, s38
	s_addc_u32 s21, s39, s42
	s_addc_u32 s39, s40, 0
	s_mul_i32 s38, s11, s38
	s_add_u32 s21, s21, s38
	s_addc_u32 s38, 0, s39
	v_add_co_u32_e32 v1, vcc, s21, v1
	s_cmp_lg_u64 vcc, 0
	s_addc_u32 s11, s11, s38
	v_readfirstlane_b32 s38, v1
	s_mul_i32 s21, s0, s11
	s_mul_hi_u32 s39, s0, s38
	s_add_i32 s21, s39, s21
	s_mul_i32 s1, s1, s38
	s_add_i32 s21, s21, s1
	s_mul_i32 s0, s0, s38
	s_mul_hi_u32 s39, s11, s0
	s_mul_i32 s40, s11, s0
	s_mul_i32 s42, s38, s21
	s_mul_hi_u32 s0, s38, s0
	s_mul_hi_u32 s41, s38, s21
	s_add_u32 s0, s0, s42
	s_addc_u32 s38, 0, s41
	s_add_u32 s0, s0, s40
	s_mul_hi_u32 s1, s11, s21
	s_addc_u32 s0, s38, s39
	s_addc_u32 s1, s1, 0
	s_mul_i32 s21, s11, s21
	s_add_u32 s0, s0, s21
	s_addc_u32 s1, 0, s1
	v_add_co_u32_e32 v1, vcc, s0, v1
	s_cmp_lg_u64 vcc, 0
	s_addc_u32 s11, s11, s1
	s_ashr_i32 s38, s27, 31
	s_add_u32 s0, s26, s38
	s_mov_b32 s39, s38
	s_addc_u32 s1, s27, s38
	s_xor_b64 s[40:41], s[0:1], s[38:39]
	v_readfirstlane_b32 s21, v1
	s_mul_i32 s1, s40, s11
	s_mul_hi_u32 s42, s40, s21
	s_mul_hi_u32 s0, s40, s11
	s_add_u32 s1, s42, s1
	s_addc_u32 s0, 0, s0
	s_mul_hi_u32 s43, s41, s21
	s_mul_i32 s21, s41, s21
	s_add_u32 s1, s1, s21
	s_mul_hi_u32 s42, s41, s11
	s_addc_u32 s0, s0, s43
	s_addc_u32 s1, s42, 0
	s_mul_i32 s11, s41, s11
	s_add_u32 s11, s0, s11
	s_addc_u32 s21, 0, s1
	s_mul_i32 s0, s36, s21
	s_mul_hi_u32 s1, s36, s11
	s_add_i32 s0, s1, s0
	s_mul_i32 s1, s37, s11
	s_add_i32 s42, s0, s1
	s_mul_i32 s1, s36, s11
	v_mov_b32_e32 v1, s1
	s_sub_i32 s0, s41, s42
	v_sub_co_u32_e32 v1, vcc, s40, v1
	s_cmp_lg_u64 vcc, 0
	s_subb_u32 s40, s0, s37
	v_subrev_co_u32_e64 v2, s[0:1], s36, v1
	s_cmp_lg_u64 s[0:1], 0
	s_subb_u32 s0, s40, 0
	s_cmp_ge_u32 s0, s37
	v_readfirstlane_b32 s40, v2
	s_cselect_b32 s1, -1, 0
	s_cmp_ge_u32 s40, s36
	s_cselect_b32 s40, -1, 0
	s_cmp_eq_u32 s0, s37
	s_cselect_b32 s0, s40, s1
	s_add_u32 s1, s11, 1
	s_addc_u32 s40, s21, 0
	s_add_u32 s43, s11, 2
	s_addc_u32 s44, s21, 0
	s_cmp_lg_u32 s0, 0
	s_cselect_b32 s0, s43, s1
	s_cselect_b32 s1, s44, s40
	s_cmp_lg_u64 vcc, 0
	s_subb_u32 s40, s41, s42
	s_cmp_ge_u32 s40, s37
	v_readfirstlane_b32 s42, v1
	s_cselect_b32 s41, -1, 0
	s_cmp_ge_u32 s42, s36
	s_cselect_b32 s36, -1, 0
	s_cmp_eq_u32 s40, s37
	s_cselect_b32 s36, s36, s41
	s_cmp_lg_u32 s36, 0
	s_cselect_b32 s1, s1, s21
	s_cselect_b32 s0, s0, s11
	s_xor_b64 s[28:29], s[38:39], s[28:29]
	s_xor_b64 s[0:1], s[0:1], s[28:29]
	s_sub_u32 s28, s0, s28
	s_subb_u32 s29, s1, s29
	s_cbranch_execnz .LBB20_7
.LBB20_6:
	v_cvt_f32_u32_e32 v1, s30
	s_sub_i32 s0, 0, s30
	s_mov_b32 s29, 0
	v_rcp_iflag_f32_e32 v1, v1
	v_mul_f32_e32 v1, 0x4f7ffffe, v1
	v_cvt_u32_f32_e32 v1, v1
	v_readfirstlane_b32 s1, v1
	s_mul_i32 s0, s0, s1
	s_mul_hi_u32 s0, s1, s0
	s_add_i32 s1, s1, s0
	s_mul_hi_u32 s0, s26, s1
	s_mul_i32 s11, s0, s30
	s_sub_i32 s11, s26, s11
	s_add_i32 s1, s0, 1
	s_sub_i32 s21, s11, s30
	s_cmp_ge_u32 s11, s30
	s_cselect_b32 s0, s1, s0
	s_cselect_b32 s11, s21, s11
	s_add_i32 s1, s0, 1
	s_cmp_ge_u32 s11, s30
	s_cselect_b32 s28, s1, s0
.LBB20_7:
	s_mul_i32 s0, s28, s31
	s_mul_hi_u32 s1, s28, s30
	s_add_i32 s0, s1, s0
	s_mul_i32 s1, s29, s30
	s_add_i32 s0, s0, s1
	s_mul_i32 s1, s28, s30
	s_sub_u32 s36, s26, s1
	s_subb_u32 s0, s27, s0
	v_cmp_gt_i32_e32 vcc, s20, v0
	s_mul_hi_u32 s38, s28, s8
	s_mul_i32 s39, s29, s8
	s_mul_i32 s30, s28, s8
	s_mul_hi_u32 s37, s36, s9
	s_mul_i32 s29, s0, s9
	s_mul_i32 s26, s36, s9
	s_and_saveexec_b64 s[34:35], vcc
	s_cbranch_execz .LBB20_10
; %bb.8:
	s_ashr_i32 s0, s8, 31
	s_mul_i32 s0, s28, s0
	s_add_i32 s0, s38, s0
	s_add_i32 s31, s0, s39
	s_ashr_i32 s0, s9, 31
	s_mul_i32 s0, s36, s0
	s_add_i32 s0, s37, s0
	s_add_i32 s27, s0, s29
	s_ashr_i32 s21, s20, 31
	s_lshl_b64 s[0:1], s[30:31], 1
	s_lshl_b64 s[40:41], s[26:27], 1
	s_add_u32 s44, s0, s40
	s_addc_u32 s41, s1, s41
	s_load_dword s40, s[4:5], 0x8c
	s_add_u32 s27, s44, s2
	s_addc_u32 s31, s41, s3
	s_ashr_i32 s11, s10, 31
	s_lshl_b64 s[0:1], s[10:11], 1
	s_add_u32 s11, s27, s0
	s_addc_u32 s27, s31, s1
	s_waitcnt lgkmcnt(0)
	s_and_b32 s31, s40, 0xffff
	s_lshl_b32 s40, s31, 1
	s_lshl_b64 s[42:43], s[20:21], 1
	s_add_u32 s24, s24, s42
	s_addc_u32 s25, s25, s43
	s_add_u32 s24, s22, s24
	s_addc_u32 s25, s23, s25
	s_lshl_b64 s[22:23], s[20:21], 2
	s_mul_i32 s13, s13, s6
	s_mul_hi_u32 s21, s12, s6
	s_add_i32 s13, s21, s13
	s_mul_i32 s12, s12, s6
	s_lshl_b64 s[12:13], s[12:13], 2
	s_add_u32 s12, s16, s12
	v_lshlrev_b32_e32 v1, 2, v0
	s_addc_u32 s13, s17, s13
	s_lshl_b32 s16, s31, 2
	v_add_co_u32_e32 v4, vcc, s12, v1
	s_add_u32 s12, s44, s42
	v_mov_b32_e32 v3, s13
	s_addc_u32 s13, s41, s43
	s_add_u32 s0, s12, s0
	s_addc_u32 s1, s13, s1
	s_mov_b32 s45, 0
	s_add_u32 s17, s2, s0
	v_lshlrev_b32_e32 v2, 1, v0
	v_addc_co_u32_e32 v5, vcc, 0, v3, vcc
	s_addc_u32 s21, s3, s1
	s_mov_b64 s[12:13], 0
	v_mov_b32_e32 v1, s23
	v_mov_b32_e32 v3, s45
	;; [unrolled: 1-line block ×3, first 2 shown]
.LBB20_9:                               ; =>This Inner Loop Header: Depth=1
	v_add_co_u32_e64 v10, s[0:1], s22, v4
	v_mov_b32_e32 v9, s25
	v_add_co_u32_e32 v8, vcc, s24, v2
	v_addc_co_u32_e64 v11, s[0:1], v5, v1, s[0:1]
	v_mov_b32_e32 v7, s33
	v_add_co_u32_e64 v12, s[0:1], s7, v2
	v_addc_co_u32_e32 v9, vcc, 0, v9, vcc
	global_load_dword v14, v[4:5], off
	v_addc_co_u32_e64 v13, s[0:1], 0, v7, s[0:1]
	global_load_ushort v7, v[8:9], off
	global_load_ushort v15, v[12:13], off
	global_load_dword v16, v[10:11], off
	s_add_u32 s7, s7, s40
	v_mov_b32_e32 v9, s27
	v_mov_b32_e32 v17, s21
	v_add_co_u32_e32 v8, vcc, s17, v2
	v_add_co_u32_e64 v12, s[0:1], s11, v2
	s_addc_u32 s33, s33, 0
	v_addc_co_u32_e64 v13, s[0:1], 0, v9, s[0:1]
	v_addc_co_u32_e32 v9, vcc, 0, v17, vcc
	s_add_u32 s24, s24, s40
	s_addc_u32 s25, s25, 0
	s_add_u32 s17, s17, s40
	s_addc_u32 s21, s21, 0
	v_add_u32_e32 v6, s31, v6
	s_add_u32 s11, s11, s40
	v_cmp_le_i32_e32 vcc, s20, v6
	s_addc_u32 s27, s27, 0
	s_or_b64 s[12:13], vcc, s[12:13]
	s_waitcnt vmcnt(2)
	v_cvt_f32_f16_e32 v17, v7
	s_waitcnt vmcnt(1)
	v_cvt_f32_f16_e32 v18, v15
	s_waitcnt vmcnt(0)
	v_mul_f32_e32 v17, v16, v17
	v_mul_f32_e32 v16, v16, v18
	v_fma_mix_f32 v15, v14, v15, -v17 op_sel_hi:[0,1,0]
	v_fma_mix_f32 v7, v14, v7, v16 op_sel_hi:[0,1,0]
	global_store_dword v[4:5], v15, off
	global_store_dword v[10:11], v7, off
	global_store_short v[12:13], v15, off
	global_store_short v[8:9], v7, off
	v_add_co_u32_e32 v4, vcc, s16, v4
	v_addc_co_u32_e32 v5, vcc, v5, v3, vcc
	s_andn2_b64 exec, exec, s[12:13]
	s_cbranch_execnz .LBB20_9
.LBB20_10:
	s_or_b64 exec, exec, s[34:35]
	v_cmp_gt_i32_e32 vcc, s10, v0
	s_and_saveexec_b64 s[0:1], vcc
	s_cbranch_execz .LBB20_13
; %bb.11:
	s_mul_i32 s0, s6, s15
	s_mul_hi_u32 s1, s6, s14
	s_add_i32 s1, s1, s0
	s_mul_i32 s0, s6, s14
	s_lshl_b64 s[0:1], s[0:1], 2
	s_add_u32 s6, s18, s0
	s_addc_u32 s7, s19, s1
	s_ashr_i32 s0, s8, 31
	s_mul_i32 s0, s28, s0
	s_add_i32 s0, s38, s0
	s_add_i32 s31, s0, s39
	s_lshl_b64 s[0:1], s[30:31], 1
	s_add_u32 s2, s2, s0
	s_addc_u32 s3, s3, s1
	s_ashr_i32 s0, s9, 31
	s_mul_i32 s36, s36, s0
	s_add_i32 s0, s37, s36
	s_load_dword s4, s[4:5], 0x8c
	s_add_i32 s27, s0, s29
	s_lshl_b64 s[0:1], s[26:27], 1
	s_add_u32 s2, s2, s0
	s_addc_u32 s5, s3, s1
	s_waitcnt lgkmcnt(0)
	s_and_b32 s3, s4, 0xffff
	s_mov_b64 s[0:1], 0
	v_mov_b32_e32 v2, s7
	v_mov_b32_e32 v3, s5
.LBB20_12:                              ; =>This Inner Loop Header: Depth=1
	v_ashrrev_i32_e32 v1, 31, v0
	v_lshlrev_b64 v[4:5], 2, v[0:1]
	v_add_co_u32_e32 v4, vcc, s6, v4
	v_addc_co_u32_e32 v5, vcc, v2, v5, vcc
	global_load_ushort v6, v[4:5], off
	v_lshlrev_b64 v[4:5], 1, v[0:1]
	v_add_co_u32_e32 v4, vcc, s2, v4
	v_addc_co_u32_e32 v5, vcc, v3, v5, vcc
	v_add_u32_e32 v0, s3, v0
	v_cmp_le_i32_e32 vcc, s10, v0
	s_or_b64 s[0:1], vcc, s[0:1]
	s_waitcnt vmcnt(0)
	global_store_short v[4:5], v6, off
	s_andn2_b64 exec, exec, s[0:1]
	s_cbranch_execnz .LBB20_12
.LBB20_13:
	s_endpgm
.LBB20_14:
                                        ; implicit-def: $sgpr28_sgpr29
	s_branch .LBB20_6
	.section	.rodata,"a",@progbits
	.p2align	6, 0x0
	.amdhsa_kernel _ZN4vllm38concat_and_cache_mla_rope_fused_kernelIfN3c104HalfELb1EttLNS_18Fp8KVCacheDataTypeE0EEEvPKlPT_S7_PKS6_PKT0_illlliPT3_S5_iiiiPKf
		.amdhsa_group_segment_fixed_size 0
		.amdhsa_private_segment_fixed_size 0
		.amdhsa_kernarg_size 384
		.amdhsa_user_sgpr_count 6
		.amdhsa_user_sgpr_private_segment_buffer 1
		.amdhsa_user_sgpr_dispatch_ptr 0
		.amdhsa_user_sgpr_queue_ptr 0
		.amdhsa_user_sgpr_kernarg_segment_ptr 1
		.amdhsa_user_sgpr_dispatch_id 0
		.amdhsa_user_sgpr_flat_scratch_init 0
		.amdhsa_user_sgpr_kernarg_preload_length 0
		.amdhsa_user_sgpr_kernarg_preload_offset 0
		.amdhsa_user_sgpr_private_segment_size 0
		.amdhsa_uses_dynamic_stack 0
		.amdhsa_system_sgpr_private_segment_wavefront_offset 0
		.amdhsa_system_sgpr_workgroup_id_x 1
		.amdhsa_system_sgpr_workgroup_id_y 0
		.amdhsa_system_sgpr_workgroup_id_z 0
		.amdhsa_system_sgpr_workgroup_info 0
		.amdhsa_system_vgpr_workitem_id 0
		.amdhsa_next_free_vgpr 19
		.amdhsa_next_free_sgpr 46
		.amdhsa_accum_offset 20
		.amdhsa_reserve_vcc 1
		.amdhsa_reserve_flat_scratch 0
		.amdhsa_float_round_mode_32 0
		.amdhsa_float_round_mode_16_64 0
		.amdhsa_float_denorm_mode_32 3
		.amdhsa_float_denorm_mode_16_64 3
		.amdhsa_dx10_clamp 1
		.amdhsa_ieee_mode 1
		.amdhsa_fp16_overflow 0
		.amdhsa_tg_split 0
		.amdhsa_exception_fp_ieee_invalid_op 0
		.amdhsa_exception_fp_denorm_src 0
		.amdhsa_exception_fp_ieee_div_zero 0
		.amdhsa_exception_fp_ieee_overflow 0
		.amdhsa_exception_fp_ieee_underflow 0
		.amdhsa_exception_fp_ieee_inexact 0
		.amdhsa_exception_int_div_zero 0
	.end_amdhsa_kernel
	.section	.text._ZN4vllm38concat_and_cache_mla_rope_fused_kernelIfN3c104HalfELb1EttLNS_18Fp8KVCacheDataTypeE0EEEvPKlPT_S7_PKS6_PKT0_illlliPT3_S5_iiiiPKf,"axG",@progbits,_ZN4vllm38concat_and_cache_mla_rope_fused_kernelIfN3c104HalfELb1EttLNS_18Fp8KVCacheDataTypeE0EEEvPKlPT_S7_PKS6_PKT0_illlliPT3_S5_iiiiPKf,comdat
.Lfunc_end20:
	.size	_ZN4vllm38concat_and_cache_mla_rope_fused_kernelIfN3c104HalfELb1EttLNS_18Fp8KVCacheDataTypeE0EEEvPKlPT_S7_PKS6_PKT0_illlliPT3_S5_iiiiPKf, .Lfunc_end20-_ZN4vllm38concat_and_cache_mla_rope_fused_kernelIfN3c104HalfELb1EttLNS_18Fp8KVCacheDataTypeE0EEEvPKlPT_S7_PKS6_PKT0_illlliPT3_S5_iiiiPKf
                                        ; -- End function
	.section	.AMDGPU.csdata,"",@progbits
; Kernel info:
; codeLenInByte = 2080
; NumSgprs: 50
; NumVgprs: 19
; NumAgprs: 0
; TotalNumVgprs: 19
; ScratchSize: 0
; MemoryBound: 0
; FloatMode: 240
; IeeeMode: 1
; LDSByteSize: 0 bytes/workgroup (compile time only)
; SGPRBlocks: 6
; VGPRBlocks: 2
; NumSGPRsForWavesPerEU: 50
; NumVGPRsForWavesPerEU: 19
; AccumOffset: 20
; Occupancy: 8
; WaveLimiterHint : 1
; COMPUTE_PGM_RSRC2:SCRATCH_EN: 0
; COMPUTE_PGM_RSRC2:USER_SGPR: 6
; COMPUTE_PGM_RSRC2:TRAP_HANDLER: 0
; COMPUTE_PGM_RSRC2:TGID_X_EN: 1
; COMPUTE_PGM_RSRC2:TGID_Y_EN: 0
; COMPUTE_PGM_RSRC2:TGID_Z_EN: 0
; COMPUTE_PGM_RSRC2:TIDIG_COMP_CNT: 0
; COMPUTE_PGM_RSRC3_GFX90A:ACCUM_OFFSET: 4
; COMPUTE_PGM_RSRC3_GFX90A:TG_SPLIT: 0
	.section	.text._ZN4vllm38concat_and_cache_mla_rope_fused_kernelIfN3c104HalfELb0EttLNS_18Fp8KVCacheDataTypeE0EEEvPKlPT_S7_PKS6_PKT0_illlliPT3_S5_iiiiPKf,"axG",@progbits,_ZN4vllm38concat_and_cache_mla_rope_fused_kernelIfN3c104HalfELb0EttLNS_18Fp8KVCacheDataTypeE0EEEvPKlPT_S7_PKS6_PKT0_illlliPT3_S5_iiiiPKf,comdat
	.protected	_ZN4vllm38concat_and_cache_mla_rope_fused_kernelIfN3c104HalfELb0EttLNS_18Fp8KVCacheDataTypeE0EEEvPKlPT_S7_PKS6_PKT0_illlliPT3_S5_iiiiPKf ; -- Begin function _ZN4vllm38concat_and_cache_mla_rope_fused_kernelIfN3c104HalfELb0EttLNS_18Fp8KVCacheDataTypeE0EEEvPKlPT_S7_PKS6_PKT0_illlliPT3_S5_iiiiPKf
	.globl	_ZN4vllm38concat_and_cache_mla_rope_fused_kernelIfN3c104HalfELb0EttLNS_18Fp8KVCacheDataTypeE0EEEvPKlPT_S7_PKS6_PKT0_illlliPT3_S5_iiiiPKf
	.p2align	8
	.type	_ZN4vllm38concat_and_cache_mla_rope_fused_kernelIfN3c104HalfELb0EttLNS_18Fp8KVCacheDataTypeE0EEEvPKlPT_S7_PKS6_PKT0_illlliPT3_S5_iiiiPKf,@function
_ZN4vllm38concat_and_cache_mla_rope_fused_kernelIfN3c104HalfELb0EttLNS_18Fp8KVCacheDataTypeE0EEEvPKlPT_S7_PKS6_PKT0_illlliPT3_S5_iiiiPKf: ; @_ZN4vllm38concat_and_cache_mla_rope_fused_kernelIfN3c104HalfELb0EttLNS_18Fp8KVCacheDataTypeE0EEEvPKlPT_S7_PKS6_PKT0_illlliPT3_S5_iiiiPKf
; %bb.0:
	s_load_dwordx2 s[2:3], s[4:5], 0x60
	s_mov_b32 s7, 0
	s_lshl_b64 s[0:1], s[6:7], 3
	s_waitcnt lgkmcnt(0)
	s_add_u32 s2, s2, s0
	s_addc_u32 s3, s3, s1
	s_load_dwordx2 s[24:25], s[2:3], 0x0
	s_waitcnt lgkmcnt(0)
	v_cmp_lt_i64_e64 s[2:3], s[24:25], 0
	s_and_b64 vcc, exec, s[2:3]
	s_cbranch_vccnz .LBB21_13
; %bb.1:
	s_load_dword s7, s[4:5], 0x28
	s_load_dwordx2 s[2:3], s[4:5], 0x0
	s_load_dwordx4 s[16:19], s[4:5], 0x10
	v_lshlrev_b32_e32 v1, 1, v0
	s_waitcnt lgkmcnt(0)
	s_ashr_i32 s26, s7, 31
	s_add_u32 s0, s2, s0
	s_addc_u32 s1, s3, s1
	s_load_dwordx2 s[20:21], s[0:1], 0x0
	s_load_dwordx2 s[22:23], s[4:5], 0x20
	s_load_dwordx8 s[8:15], s[4:5], 0x30
	s_load_dwordx2 s[2:3], s[4:5], 0x58
	s_load_dword s28, s[4:5], 0x50
	s_waitcnt lgkmcnt(0)
	s_mul_i32 s0, s20, s26
	s_mul_hi_u32 s1, s20, s7
	s_mul_i32 s21, s21, s7
	s_add_i32 s0, s1, s0
	s_add_i32 s27, s0, s21
	s_lshr_b32 s0, s7, 31
	s_mul_i32 s26, s20, s7
	s_add_i32 s7, s7, s0
	s_ashr_i32 s20, s7, 1
	s_mul_i32 s7, s20, s28
	v_cmp_gt_i32_e32 vcc, s7, v0
	s_and_saveexec_b64 s[0:1], vcc
	s_cbranch_execz .LBB21_4
; %bb.2:
	s_lshl_b64 s[28:29], s[26:27], 1
	s_add_u32 s30, s22, s28
	s_addc_u32 s38, s23, s29
	s_load_dwordx2 s[28:29], s[4:5], 0x8
	s_load_dword s34, s[4:5], 0x8c
	s_mul_i32 s9, s6, s9
	s_mul_hi_u32 s31, s6, s8
	s_add_i32 s9, s31, s9
	s_mul_i32 s8, s6, s8
	s_ashr_i32 s21, s20, 31
	s_lshl_b64 s[8:9], s[8:9], 2
	s_waitcnt lgkmcnt(0)
	s_add_u32 s31, s28, s8
	s_addc_u32 s39, s29, s9
	s_abs_i32 s33, s20
	v_cvt_f32_u32_e32 v2, s33
	s_sub_i32 s8, 0, s33
	s_and_b32 s34, s34, 0xffff
	s_lshl_b64 s[28:29], s[20:21], 1
	v_rcp_iflag_f32_e32 v2, v2
	s_sub_i32 s35, 0, s20
	s_lshl_b32 s37, s34, 1
	v_mov_b32_e32 v5, s38
	v_mul_f32_e32 v2, 0x4f7ffffe, v2
	v_cvt_u32_f32_e32 v2, v2
	v_mov_b32_e32 v6, s29
	v_mov_b32_e32 v7, s39
	v_mov_b32_e32 v4, v0
	v_mul_lo_u32 v3, s8, v2
	v_mul_hi_u32 v3, v2, v3
	s_lshl_b32 s8, s20, 1
	v_add_u32_e32 v3, v2, v3
	s_sub_i32 s36, 0, s8
	s_mov_b64 s[8:9], 0
	v_mov_b32_e32 v2, v1
.LBB21_3:                               ; =>This Inner Loop Header: Depth=1
	v_sub_u32_e32 v9, 0, v4
	v_max_i32_e32 v9, v4, v9
	v_mul_hi_u32 v10, v9, v3
	v_mul_lo_u32 v11, v10, s33
	v_sub_u32_e32 v9, v9, v11
	v_add_u32_e32 v12, 1, v10
	v_cmp_le_u32_e32 vcc, s33, v9
	v_subrev_u32_e32 v11, s33, v9
	v_cndmask_b32_e32 v10, v10, v12, vcc
	v_cndmask_b32_e32 v9, v9, v11, vcc
	v_ashrrev_i32_e32 v8, 31, v4
	v_add_u32_e32 v11, 1, v10
	v_cmp_le_u32_e32 vcc, s33, v9
	v_xor_b32_e32 v8, s21, v8
	v_cndmask_b32_e32 v9, v10, v11, vcc
	v_xor_b32_e32 v9, v9, v8
	v_sub_u32_e32 v12, v9, v8
	v_mad_u64_u32 v[8:9], s[38:39], s35, v12, v[4:5]
	v_ashrrev_i32_e32 v9, 31, v8
	v_lshlrev_b64 v[8:9], 1, v[8:9]
	v_ashrrev_i32_e32 v14, 31, v12
	v_add_co_u32_e32 v8, vcc, s30, v8
	v_mul_lo_u32 v15, v12, s11
	v_mad_u64_u32 v[10:11], s[38:39], v12, s10, 0
	v_mul_lo_u32 v14, v14, s10
	v_addc_co_u32_e32 v9, vcc, v5, v9, vcc
	v_add3_u32 v11, v11, v15, v14
	v_add_co_u32_e32 v14, vcc, s28, v8
	v_mad_u64_u32 v[12:13], s[38:39], s36, v12, v[2:3]
	v_lshlrev_b64 v[10:11], 2, v[10:11]
	v_addc_co_u32_e32 v15, vcc, v9, v6, vcc
	v_ashrrev_i32_e32 v13, 31, v12
	v_add_co_u32_e32 v10, vcc, s31, v10
	global_load_ushort v16, v[8:9], off
	global_load_ushort v17, v[14:15], off
	v_lshlrev_b64 v[12:13], 2, v[12:13]
	v_addc_co_u32_e32 v11, vcc, v7, v11, vcc
	v_add_co_u32_e32 v8, vcc, v10, v12
	v_addc_co_u32_e32 v9, vcc, v11, v13, vcc
	global_load_dwordx2 v[10:11], v[8:9], off
	v_add_u32_e32 v4, s34, v4
	v_cmp_le_i32_e32 vcc, s7, v4
	v_add_u32_e32 v2, s37, v2
	s_or_b64 s[8:9], vcc, s[8:9]
	s_waitcnt vmcnt(2)
	v_cvt_f32_f16_e32 v12, v16
	s_waitcnt vmcnt(1)
	v_cvt_f32_f16_e32 v13, v17
	s_waitcnt vmcnt(0)
	v_mul_f32_e32 v12, v11, v12
	v_mul_f32_e32 v13, v11, v13
	v_fma_mix_f32 v11, v10, v17, v12 op_sel_hi:[0,1,0]
	v_fma_mix_f32 v10, v10, v16, -v13 op_sel_hi:[0,1,0]
	global_store_dwordx2 v[8:9], v[10:11], off
	s_andn2_b64 exec, exec, s[8:9]
	s_cbranch_execnz .LBB21_3
.LBB21_4:
	s_or_b64 exec, exec, s[0:1]
	s_load_dwordx4 s[8:11], s[4:5], 0x68
	s_waitcnt lgkmcnt(0)
	s_ashr_i32 s29, s11, 31
	s_mov_b32 s28, s11
	s_or_b64 s[0:1], s[24:25], s[28:29]
	s_mov_b32 s0, 0
	s_cmp_lg_u64 s[0:1], 0
	s_cbranch_scc0 .LBB21_14
; %bb.5:
	s_add_u32 s0, s28, s29
	s_mov_b32 s34, s29
	s_mov_b32 s35, s29
	s_addc_u32 s1, s29, s29
	s_xor_b64 s[36:37], s[0:1], s[34:35]
	v_cvt_f32_u32_e32 v2, s36
	v_cvt_f32_u32_e32 v3, s37
	s_sub_u32 s0, 0, s36
	s_subb_u32 s1, 0, s37
	v_madmk_f32 v2, v3, 0x4f800000, v2
	v_rcp_f32_e32 v2, v2
	v_mul_f32_e32 v2, 0x5f7ffffc, v2
	v_mul_f32_e32 v3, 0x2f800000, v2
	v_trunc_f32_e32 v3, v3
	v_madmk_f32 v2, v3, 0xcf800000, v2
	v_cvt_u32_f32_e32 v3, v3
	v_cvt_u32_f32_e32 v2, v2
	v_readfirstlane_b32 s7, v3
	v_readfirstlane_b32 s11, v2
	s_mul_i32 s21, s0, s7
	s_mul_hi_u32 s38, s0, s11
	s_mul_i32 s33, s1, s11
	s_add_i32 s21, s38, s21
	s_add_i32 s21, s21, s33
	s_mul_i32 s39, s0, s11
	s_mul_hi_u32 s33, s11, s21
	s_mul_i32 s38, s11, s21
	s_mul_hi_u32 s11, s11, s39
	s_add_u32 s11, s11, s38
	s_addc_u32 s33, 0, s33
	s_mul_hi_u32 s40, s7, s39
	s_mul_i32 s39, s7, s39
	s_add_u32 s11, s11, s39
	s_mul_hi_u32 s38, s7, s21
	s_addc_u32 s11, s33, s40
	s_addc_u32 s33, s38, 0
	s_mul_i32 s21, s7, s21
	s_add_u32 s11, s11, s21
	s_addc_u32 s21, 0, s33
	v_add_co_u32_e32 v2, vcc, s11, v2
	s_cmp_lg_u64 vcc, 0
	s_addc_u32 s7, s7, s21
	v_readfirstlane_b32 s21, v2
	s_mul_i32 s11, s0, s7
	s_mul_hi_u32 s33, s0, s21
	s_add_i32 s11, s33, s11
	s_mul_i32 s1, s1, s21
	s_add_i32 s11, s11, s1
	s_mul_i32 s0, s0, s21
	s_mul_hi_u32 s33, s7, s0
	s_mul_i32 s38, s7, s0
	s_mul_i32 s40, s21, s11
	s_mul_hi_u32 s0, s21, s0
	s_mul_hi_u32 s39, s21, s11
	s_add_u32 s0, s0, s40
	s_addc_u32 s21, 0, s39
	s_add_u32 s0, s0, s38
	s_mul_hi_u32 s1, s7, s11
	s_addc_u32 s0, s21, s33
	s_addc_u32 s1, s1, 0
	s_mul_i32 s11, s7, s11
	s_add_u32 s0, s0, s11
	s_addc_u32 s1, 0, s1
	v_add_co_u32_e32 v2, vcc, s0, v2
	s_cmp_lg_u64 vcc, 0
	s_addc_u32 s7, s7, s1
	s_ashr_i32 s38, s25, 31
	s_add_u32 s0, s24, s38
	s_mov_b32 s39, s38
	s_addc_u32 s1, s25, s38
	s_xor_b64 s[40:41], s[0:1], s[38:39]
	v_readfirstlane_b32 s11, v2
	s_mul_i32 s1, s40, s7
	s_mul_hi_u32 s21, s40, s11
	s_mul_hi_u32 s0, s40, s7
	s_add_u32 s1, s21, s1
	s_addc_u32 s0, 0, s0
	s_mul_hi_u32 s33, s41, s11
	s_mul_i32 s11, s41, s11
	s_add_u32 s1, s1, s11
	s_mul_hi_u32 s21, s41, s7
	s_addc_u32 s0, s0, s33
	s_addc_u32 s1, s21, 0
	s_mul_i32 s7, s41, s7
	s_add_u32 s7, s0, s7
	s_addc_u32 s11, 0, s1
	s_mul_i32 s0, s36, s11
	s_mul_hi_u32 s1, s36, s7
	s_add_i32 s0, s1, s0
	s_mul_i32 s1, s37, s7
	s_add_i32 s21, s0, s1
	s_mul_i32 s1, s36, s7
	v_mov_b32_e32 v2, s1
	s_sub_i32 s0, s41, s21
	v_sub_co_u32_e32 v2, vcc, s40, v2
	s_cmp_lg_u64 vcc, 0
	s_subb_u32 s33, s0, s37
	v_subrev_co_u32_e64 v3, s[0:1], s36, v2
	s_cmp_lg_u64 s[0:1], 0
	s_subb_u32 s0, s33, 0
	s_cmp_ge_u32 s0, s37
	v_readfirstlane_b32 s33, v3
	s_cselect_b32 s1, -1, 0
	s_cmp_ge_u32 s33, s36
	s_cselect_b32 s33, -1, 0
	s_cmp_eq_u32 s0, s37
	s_cselect_b32 s0, s33, s1
	s_add_u32 s1, s7, 1
	s_addc_u32 s33, s11, 0
	s_add_u32 s40, s7, 2
	s_addc_u32 s42, s11, 0
	s_cmp_lg_u32 s0, 0
	s_cselect_b32 s0, s40, s1
	s_cselect_b32 s1, s42, s33
	s_cmp_lg_u64 vcc, 0
	s_subb_u32 s21, s41, s21
	s_cmp_ge_u32 s21, s37
	v_readfirstlane_b32 s40, v2
	s_cselect_b32 s33, -1, 0
	s_cmp_ge_u32 s40, s36
	s_cselect_b32 s36, -1, 0
	s_cmp_eq_u32 s21, s37
	s_cselect_b32 s21, s36, s33
	s_cmp_lg_u32 s21, 0
	s_cselect_b32 s1, s1, s11
	s_cselect_b32 s0, s0, s7
	s_xor_b64 s[34:35], s[38:39], s[34:35]
	s_xor_b64 s[0:1], s[0:1], s[34:35]
	s_sub_u32 s0, s0, s34
	s_subb_u32 s1, s1, s35
	s_cbranch_execnz .LBB21_7
.LBB21_6:
	v_cvt_f32_u32_e32 v2, s28
	s_sub_i32 s0, 0, s28
	s_mov_b32 s1, 0
	v_rcp_iflag_f32_e32 v2, v2
	v_mul_f32_e32 v2, 0x4f7ffffe, v2
	v_cvt_u32_f32_e32 v2, v2
	v_readfirstlane_b32 s7, v2
	s_mul_i32 s0, s0, s7
	s_mul_hi_u32 s0, s7, s0
	s_add_i32 s7, s7, s0
	s_mul_hi_u32 s0, s24, s7
	s_mul_i32 s11, s0, s28
	s_sub_i32 s11, s24, s11
	s_add_i32 s7, s0, 1
	s_sub_i32 s21, s11, s28
	s_cmp_ge_u32 s11, s28
	s_cselect_b32 s0, s7, s0
	s_cselect_b32 s11, s21, s11
	s_add_i32 s7, s0, 1
	s_cmp_ge_u32 s11, s28
	s_cselect_b32 s0, s7, s0
.LBB21_7:
	s_mul_i32 s7, s0, s29
	s_mul_hi_u32 s11, s0, s28
	s_add_i32 s7, s11, s7
	s_mul_i32 s11, s1, s28
	s_add_i32 s11, s7, s11
	s_mul_i32 s7, s0, s28
	s_sub_u32 s7, s24, s7
	s_subb_u32 s11, s25, s11
	v_cmp_gt_i32_e32 vcc, s20, v0
	s_mul_hi_u32 s34, s0, s8
	s_mul_i32 s35, s1, s8
	s_mul_i32 s28, s0, s8
	s_mul_hi_u32 s33, s7, s9
	s_mul_i32 s1, s11, s9
	s_mul_i32 s24, s7, s9
	s_and_saveexec_b64 s[30:31], vcc
	s_cbranch_execz .LBB21_10
; %bb.8:
	s_load_dword s25, s[4:5], 0x8c
	s_ashr_i32 s21, s20, 31
	s_ashr_i32 s29, s8, 31
	;; [unrolled: 1-line block ×4, first 2 shown]
	s_waitcnt lgkmcnt(0)
	s_and_b32 s36, s25, 0xffff
	s_lshl_b64 s[26:27], s[26:27], 1
	s_add_u32 s22, s22, s26
	s_addc_u32 s23, s23, s27
	v_mov_b32_e32 v3, s23
	v_add_co_u32_e32 v2, vcc, s22, v1
	s_lshl_b64 s[22:23], s[20:21], 1
	s_mul_i32 s13, s13, s6
	s_mul_hi_u32 s21, s12, s6
	s_add_i32 s13, s21, s13
	s_mul_i32 s12, s12, s6
	s_lshl_b32 s26, s36, 1
	s_lshl_b64 s[12:13], s[12:13], 2
	v_addc_co_u32_e32 v3, vcc, 0, v3, vcc
	v_lshlrev_b32_e32 v1, 3, v0
	s_add_u32 s12, s16, s12
	s_addc_u32 s13, s17, s13
	v_add_co_u32_e32 v1, vcc, s12, v1
	s_mul_i32 s12, s0, s29
	s_mul_i32 s17, s7, s37
	s_add_i32 s12, s34, s12
	s_add_i32 s17, s33, s17
	;; [unrolled: 1-line block ×4, first 2 shown]
	v_mov_b32_e32 v4, s13
	s_lshl_b32 s16, s36, 3
	s_lshl_b64 s[12:13], s[28:29], 1
	s_lshl_b64 s[38:39], s[24:25], 1
	s_add_u32 s17, s12, s38
	s_addc_u32 s25, s13, s39
	s_lshl_b64 s[12:13], s[10:11], 1
	s_add_u32 s11, s2, s12
	v_addc_co_u32_e32 v5, vcc, 0, v4, vcc
	s_addc_u32 s12, s3, s13
	v_add_co_u32_e32 v4, vcc, 4, v1
	s_add_u32 s11, s11, s17
	v_addc_co_u32_e32 v5, vcc, 0, v5, vcc
	v_lshlrev_b32_e32 v1, 2, v0
	s_addc_u32 s12, s12, s25
	s_mov_b32 s40, 0
	v_mov_b32_e32 v7, s12
	v_add_co_u32_e32 v6, vcc, s11, v1
	v_addc_co_u32_e32 v7, vcc, 0, v7, vcc
	s_lshl_b32 s11, s36, 2
	s_mov_b64 s[12:13], 0
	v_mov_b32_e32 v1, s23
	s_mov_b32 s17, 0x5040100
	v_mov_b32_e32 v8, s40
	v_mov_b32_e32 v9, s40
	;; [unrolled: 1-line block ×4, first 2 shown]
	s_mov_b32 s21, s40
	s_mov_b32 s25, s40
.LBB21_9:                               ; =>This Inner Loop Header: Depth=1
	v_add_co_u32_e32 v12, vcc, s22, v2
	global_load_ushort v16, v[2:3], off
	v_addc_co_u32_e32 v13, vcc, v3, v1, vcc
	global_load_ushort v17, v[12:13], off
	global_load_dwordx2 v[14:15], v[4:5], off offset:-4
	v_add_co_u32_e32 v2, vcc, s26, v2
	v_add_u32_e32 v11, s36, v11
	v_addc_co_u32_e32 v3, vcc, v3, v8, vcc
	v_cmp_le_i32_e32 vcc, s20, v11
	s_or_b64 s[12:13], vcc, s[12:13]
	s_waitcnt vmcnt(2)
	v_cvt_f32_f16_e32 v12, v16
	s_waitcnt vmcnt(1)
	v_cvt_f32_f16_e32 v16, v17
	s_waitcnt vmcnt(0)
	v_pk_mul_f32 v[16:17], v[14:15], v[16:17] op_sel_hi:[1,0]
	v_pk_fma_f32 v[18:19], v[14:15], v[12:13], v[16:17] op_sel:[0,0,1] op_sel_hi:[1,1,0] neg_lo:[0,0,1] neg_hi:[0,0,1]
	v_pk_fma_f32 v[12:13], v[14:15], v[12:13], v[16:17] op_sel:[0,0,1] op_sel_hi:[1,0,0]
	v_mov_b32_e32 v19, v13
	v_perm_b32 v12, v13, v18, s17
	global_store_dwordx2 v[4:5], v[18:19], off offset:-4
	global_store_dword v[6:7], v12, off
	v_add_co_u32_e32 v4, vcc, s16, v4
	v_addc_co_u32_e32 v5, vcc, v5, v9, vcc
	v_add_co_u32_e32 v6, vcc, s11, v6
	v_addc_co_u32_e32 v7, vcc, v7, v10, vcc
	s_andn2_b64 exec, exec, s[12:13]
	s_cbranch_execnz .LBB21_9
.LBB21_10:
	s_or_b64 exec, exec, s[30:31]
	v_cmp_gt_i32_e32 vcc, s10, v0
	s_and_saveexec_b64 s[12:13], vcc
	s_cbranch_execz .LBB21_13
; %bb.11:
	s_mul_i32 s11, s6, s15
	s_mul_hi_u32 s12, s6, s14
	s_add_i32 s13, s12, s11
	s_mul_i32 s12, s6, s14
	s_lshl_b64 s[12:13], s[12:13], 2
	s_add_u32 s6, s18, s12
	s_addc_u32 s11, s19, s13
	s_ashr_i32 s8, s8, 31
	s_mul_i32 s0, s0, s8
	s_add_i32 s0, s34, s0
	s_add_i32 s29, s0, s35
	s_lshl_b64 s[12:13], s[28:29], 1
	s_add_u32 s2, s2, s12
	s_addc_u32 s3, s3, s13
	s_ashr_i32 s0, s9, 31
	s_mul_i32 s7, s7, s0
	s_add_i32 s0, s33, s7
	s_load_dword s4, s[4:5], 0x8c
	s_add_i32 s25, s0, s1
	s_lshl_b64 s[0:1], s[24:25], 1
	s_add_u32 s2, s2, s0
	s_addc_u32 s5, s3, s1
	s_waitcnt lgkmcnt(0)
	s_and_b32 s3, s4, 0xffff
	s_mov_b64 s[0:1], 0
	v_mov_b32_e32 v2, s11
	v_mov_b32_e32 v3, s5
.LBB21_12:                              ; =>This Inner Loop Header: Depth=1
	v_ashrrev_i32_e32 v1, 31, v0
	v_lshlrev_b64 v[4:5], 2, v[0:1]
	v_add_co_u32_e32 v4, vcc, s6, v4
	v_addc_co_u32_e32 v5, vcc, v2, v5, vcc
	global_load_ushort v6, v[4:5], off
	v_lshlrev_b64 v[4:5], 1, v[0:1]
	v_add_co_u32_e32 v4, vcc, s2, v4
	v_addc_co_u32_e32 v5, vcc, v3, v5, vcc
	v_add_u32_e32 v0, s3, v0
	v_cmp_le_i32_e32 vcc, s10, v0
	s_or_b64 s[0:1], vcc, s[0:1]
	s_waitcnt vmcnt(0)
	global_store_short v[4:5], v6, off
	s_andn2_b64 exec, exec, s[0:1]
	s_cbranch_execnz .LBB21_12
.LBB21_13:
	s_endpgm
.LBB21_14:
                                        ; implicit-def: $sgpr0_sgpr1
	s_branch .LBB21_6
	.section	.rodata,"a",@progbits
	.p2align	6, 0x0
	.amdhsa_kernel _ZN4vllm38concat_and_cache_mla_rope_fused_kernelIfN3c104HalfELb0EttLNS_18Fp8KVCacheDataTypeE0EEEvPKlPT_S7_PKS6_PKT0_illlliPT3_S5_iiiiPKf
		.amdhsa_group_segment_fixed_size 0
		.amdhsa_private_segment_fixed_size 0
		.amdhsa_kernarg_size 384
		.amdhsa_user_sgpr_count 6
		.amdhsa_user_sgpr_private_segment_buffer 1
		.amdhsa_user_sgpr_dispatch_ptr 0
		.amdhsa_user_sgpr_queue_ptr 0
		.amdhsa_user_sgpr_kernarg_segment_ptr 1
		.amdhsa_user_sgpr_dispatch_id 0
		.amdhsa_user_sgpr_flat_scratch_init 0
		.amdhsa_user_sgpr_kernarg_preload_length 0
		.amdhsa_user_sgpr_kernarg_preload_offset 0
		.amdhsa_user_sgpr_private_segment_size 0
		.amdhsa_uses_dynamic_stack 0
		.amdhsa_system_sgpr_private_segment_wavefront_offset 0
		.amdhsa_system_sgpr_workgroup_id_x 1
		.amdhsa_system_sgpr_workgroup_id_y 0
		.amdhsa_system_sgpr_workgroup_id_z 0
		.amdhsa_system_sgpr_workgroup_info 0
		.amdhsa_system_vgpr_workitem_id 0
		.amdhsa_next_free_vgpr 20
		.amdhsa_next_free_sgpr 43
		.amdhsa_accum_offset 20
		.amdhsa_reserve_vcc 1
		.amdhsa_reserve_flat_scratch 0
		.amdhsa_float_round_mode_32 0
		.amdhsa_float_round_mode_16_64 0
		.amdhsa_float_denorm_mode_32 3
		.amdhsa_float_denorm_mode_16_64 3
		.amdhsa_dx10_clamp 1
		.amdhsa_ieee_mode 1
		.amdhsa_fp16_overflow 0
		.amdhsa_tg_split 0
		.amdhsa_exception_fp_ieee_invalid_op 0
		.amdhsa_exception_fp_denorm_src 0
		.amdhsa_exception_fp_ieee_div_zero 0
		.amdhsa_exception_fp_ieee_overflow 0
		.amdhsa_exception_fp_ieee_underflow 0
		.amdhsa_exception_fp_ieee_inexact 0
		.amdhsa_exception_int_div_zero 0
	.end_amdhsa_kernel
	.section	.text._ZN4vllm38concat_and_cache_mla_rope_fused_kernelIfN3c104HalfELb0EttLNS_18Fp8KVCacheDataTypeE0EEEvPKlPT_S7_PKS6_PKT0_illlliPT3_S5_iiiiPKf,"axG",@progbits,_ZN4vllm38concat_and_cache_mla_rope_fused_kernelIfN3c104HalfELb0EttLNS_18Fp8KVCacheDataTypeE0EEEvPKlPT_S7_PKS6_PKT0_illlliPT3_S5_iiiiPKf,comdat
.Lfunc_end21:
	.size	_ZN4vllm38concat_and_cache_mla_rope_fused_kernelIfN3c104HalfELb0EttLNS_18Fp8KVCacheDataTypeE0EEEvPKlPT_S7_PKS6_PKT0_illlliPT3_S5_iiiiPKf, .Lfunc_end21-_ZN4vllm38concat_and_cache_mla_rope_fused_kernelIfN3c104HalfELb0EttLNS_18Fp8KVCacheDataTypeE0EEEvPKlPT_S7_PKS6_PKT0_illlliPT3_S5_iiiiPKf
                                        ; -- End function
	.section	.AMDGPU.csdata,"",@progbits
; Kernel info:
; codeLenInByte = 2012
; NumSgprs: 47
; NumVgprs: 20
; NumAgprs: 0
; TotalNumVgprs: 20
; ScratchSize: 0
; MemoryBound: 0
; FloatMode: 240
; IeeeMode: 1
; LDSByteSize: 0 bytes/workgroup (compile time only)
; SGPRBlocks: 5
; VGPRBlocks: 2
; NumSGPRsForWavesPerEU: 47
; NumVGPRsForWavesPerEU: 20
; AccumOffset: 20
; Occupancy: 8
; WaveLimiterHint : 1
; COMPUTE_PGM_RSRC2:SCRATCH_EN: 0
; COMPUTE_PGM_RSRC2:USER_SGPR: 6
; COMPUTE_PGM_RSRC2:TRAP_HANDLER: 0
; COMPUTE_PGM_RSRC2:TGID_X_EN: 1
; COMPUTE_PGM_RSRC2:TGID_Y_EN: 0
; COMPUTE_PGM_RSRC2:TGID_Z_EN: 0
; COMPUTE_PGM_RSRC2:TIDIG_COMP_CNT: 0
; COMPUTE_PGM_RSRC3_GFX90A:ACCUM_OFFSET: 4
; COMPUTE_PGM_RSRC3_GFX90A:TG_SPLIT: 0
	.section	.text._ZN4vllm38concat_and_cache_mla_rope_fused_kernelIfN3c108BFloat16ELb1EttLNS_18Fp8KVCacheDataTypeE0EEEvPKlPT_S7_PKS6_PKT0_illlliPT3_S5_iiiiPKf,"axG",@progbits,_ZN4vllm38concat_and_cache_mla_rope_fused_kernelIfN3c108BFloat16ELb1EttLNS_18Fp8KVCacheDataTypeE0EEEvPKlPT_S7_PKS6_PKT0_illlliPT3_S5_iiiiPKf,comdat
	.protected	_ZN4vllm38concat_and_cache_mla_rope_fused_kernelIfN3c108BFloat16ELb1EttLNS_18Fp8KVCacheDataTypeE0EEEvPKlPT_S7_PKS6_PKT0_illlliPT3_S5_iiiiPKf ; -- Begin function _ZN4vllm38concat_and_cache_mla_rope_fused_kernelIfN3c108BFloat16ELb1EttLNS_18Fp8KVCacheDataTypeE0EEEvPKlPT_S7_PKS6_PKT0_illlliPT3_S5_iiiiPKf
	.globl	_ZN4vllm38concat_and_cache_mla_rope_fused_kernelIfN3c108BFloat16ELb1EttLNS_18Fp8KVCacheDataTypeE0EEEvPKlPT_S7_PKS6_PKT0_illlliPT3_S5_iiiiPKf
	.p2align	8
	.type	_ZN4vllm38concat_and_cache_mla_rope_fused_kernelIfN3c108BFloat16ELb1EttLNS_18Fp8KVCacheDataTypeE0EEEvPKlPT_S7_PKS6_PKT0_illlliPT3_S5_iiiiPKf,@function
_ZN4vllm38concat_and_cache_mla_rope_fused_kernelIfN3c108BFloat16ELb1EttLNS_18Fp8KVCacheDataTypeE0EEEvPKlPT_S7_PKS6_PKT0_illlliPT3_S5_iiiiPKf: ; @_ZN4vllm38concat_and_cache_mla_rope_fused_kernelIfN3c108BFloat16ELb1EttLNS_18Fp8KVCacheDataTypeE0EEEvPKlPT_S7_PKS6_PKT0_illlliPT3_S5_iiiiPKf
; %bb.0:
	s_load_dwordx2 s[2:3], s[4:5], 0x60
	s_mov_b32 s7, 0
	s_lshl_b64 s[0:1], s[6:7], 3
	s_waitcnt lgkmcnt(0)
	s_add_u32 s2, s2, s0
	s_addc_u32 s3, s3, s1
	s_load_dwordx2 s[26:27], s[2:3], 0x0
	s_waitcnt lgkmcnt(0)
	v_cmp_lt_i64_e64 s[2:3], s[26:27], 0
	s_and_b64 vcc, exec, s[2:3]
	s_cbranch_vccnz .LBB22_13
; %bb.1:
	s_load_dword s28, s[4:5], 0x28
	s_load_dwordx2 s[2:3], s[4:5], 0x0
	s_load_dwordx4 s[16:19], s[4:5], 0x10
	s_waitcnt lgkmcnt(0)
	s_ashr_i32 s7, s28, 31
	s_add_u32 s0, s2, s0
	s_addc_u32 s1, s3, s1
	s_load_dwordx2 s[20:21], s[0:1], 0x0
	s_load_dwordx2 s[22:23], s[4:5], 0x20
	s_load_dwordx8 s[8:15], s[4:5], 0x30
	s_load_dwordx2 s[2:3], s[4:5], 0x58
	s_load_dword s29, s[4:5], 0x50
	s_waitcnt lgkmcnt(0)
	s_mul_i32 s0, s20, s7
	s_mul_hi_u32 s1, s20, s28
	s_mul_i32 s7, s21, s28
	s_add_i32 s0, s1, s0
	s_add_i32 s1, s0, s7
	s_mul_i32 s0, s20, s28
	s_lshl_b64 s[24:25], s[0:1], 1
	s_add_u32 s7, s22, s24
	s_addc_u32 s33, s23, s25
	s_lshr_b32 s0, s28, 31
	s_add_i32 s28, s28, s0
	s_ashr_i32 s20, s28, 1
	s_mul_i32 s34, s20, s29
	v_cmp_gt_i32_e32 vcc, s34, v0
	s_and_saveexec_b64 s[0:1], vcc
	s_cbranch_execz .LBB22_4
; %bb.2:
	s_load_dwordx2 s[28:29], s[4:5], 0x8
	s_mul_i32 s9, s6, s9
	s_mul_hi_u32 s30, s6, s8
	s_add_i32 s9, s30, s9
	s_load_dword s30, s[4:5], 0x8c
	s_mul_i32 s8, s6, s8
	s_ashr_i32 s21, s20, 31
	s_lshl_b64 s[8:9], s[8:9], 2
	s_waitcnt lgkmcnt(0)
	s_add_u32 s35, s28, s8
	s_addc_u32 s31, s29, s9
	s_abs_i32 s36, s20
	v_cvt_f32_u32_e32 v1, s36
	s_sub_i32 s28, 0, s36
	s_and_b32 s37, s30, 0xffff
	v_mov_b32_e32 v5, s31
	v_rcp_iflag_f32_e32 v2, v1
	s_lshl_b64 s[30:31], s[20:21], 2
	s_mov_b64 s[8:9], 0
	v_mov_b32_e32 v1, s33
	v_mul_f32_e32 v2, 0x4f7ffffe, v2
	v_cvt_u32_f32_e32 v2, v2
	s_sub_i32 s38, 0, s20
	v_mov_b32_e32 v6, s31
	v_mul_lo_u32 v3, s28, v2
	v_mul_hi_u32 v3, v2, v3
	s_lshl_b64 s[28:29], s[20:21], 1
	v_add_u32_e32 v3, v2, v3
	v_mov_b32_e32 v4, s29
	v_mov_b32_e32 v2, v0
.LBB22_3:                               ; =>This Inner Loop Header: Depth=1
	v_sub_u32_e32 v8, 0, v2
	v_max_i32_e32 v8, v2, v8
	v_mul_hi_u32 v9, v8, v3
	v_mul_lo_u32 v10, v9, s36
	v_sub_u32_e32 v8, v8, v10
	v_add_u32_e32 v11, 1, v9
	v_cmp_le_u32_e32 vcc, s36, v8
	v_subrev_u32_e32 v10, s36, v8
	v_cndmask_b32_e32 v9, v9, v11, vcc
	v_cndmask_b32_e32 v8, v8, v10, vcc
	v_ashrrev_i32_e32 v7, 31, v2
	v_add_u32_e32 v10, 1, v9
	v_cmp_le_u32_e32 vcc, s36, v8
	v_xor_b32_e32 v7, s21, v7
	v_cndmask_b32_e32 v8, v9, v10, vcc
	v_xor_b32_e32 v8, v8, v7
	v_sub_u32_e32 v7, v8, v7
	v_mad_u64_u32 v[8:9], s[40:41], s38, v7, v[2:3]
	v_ashrrev_i32_e32 v12, 31, v7
	v_ashrrev_i32_e32 v9, 31, v8
	v_mul_lo_u32 v14, v7, s11
	v_mad_u64_u32 v[10:11], s[40:41], v7, s10, 0
	v_mul_lo_u32 v7, v12, s10
	v_lshlrev_b64 v[12:13], 1, v[8:9]
	v_add_co_u32_e32 v12, vcc, s7, v12
	v_addc_co_u32_e32 v13, vcc, v1, v13, vcc
	v_add3_u32 v11, v11, v14, v7
	v_add_co_u32_e32 v14, vcc, s28, v12
	v_lshlrev_b64 v[10:11], 2, v[10:11]
	v_addc_co_u32_e32 v15, vcc, v13, v4, vcc
	v_add_co_u32_e32 v7, vcc, s35, v10
	v_lshlrev_b64 v[8:9], 2, v[8:9]
	v_addc_co_u32_e32 v10, vcc, v5, v11, vcc
	v_add_co_u32_e32 v8, vcc, v7, v8
	v_addc_co_u32_e32 v9, vcc, v10, v9, vcc
	global_load_ushort v16, v[12:13], off
	global_load_ushort v17, v[14:15], off
	v_add_co_u32_e32 v10, vcc, s30, v8
	v_addc_co_u32_e32 v11, vcc, v9, v6, vcc
	global_load_dword v7, v[8:9], off
	global_load_dword v12, v[10:11], off
	v_add_u32_e32 v2, s37, v2
	v_cmp_le_i32_e32 vcc, s34, v2
	s_or_b64 s[8:9], vcc, s[8:9]
	s_waitcnt vmcnt(3)
	v_lshlrev_b32_e32 v13, 16, v16
	s_waitcnt vmcnt(2)
	v_lshlrev_b32_e32 v14, 16, v17
	s_waitcnt vmcnt(1)
	v_mul_f32_e32 v15, v7, v14
	s_waitcnt vmcnt(0)
	v_mul_f32_e32 v14, v12, v14
	v_fma_f32 v7, v7, v13, -v14
	v_fmac_f32_e32 v15, v12, v13
	global_store_dword v[8:9], v7, off
	global_store_dword v[10:11], v15, off
	s_andn2_b64 exec, exec, s[8:9]
	s_cbranch_execnz .LBB22_3
.LBB22_4:
	s_or_b64 exec, exec, s[0:1]
	s_load_dwordx4 s[8:11], s[4:5], 0x68
	s_waitcnt lgkmcnt(0)
	s_ashr_i32 s31, s11, 31
	s_mov_b32 s30, s11
	s_or_b64 s[0:1], s[26:27], s[30:31]
	s_mov_b32 s0, 0
	s_cmp_lg_u64 s[0:1], 0
	s_cbranch_scc0 .LBB22_14
; %bb.5:
	s_add_u32 s0, s30, s31
	s_mov_b32 s28, s31
	s_mov_b32 s29, s31
	s_addc_u32 s1, s31, s31
	s_xor_b64 s[36:37], s[0:1], s[28:29]
	v_cvt_f32_u32_e32 v1, s36
	v_cvt_f32_u32_e32 v2, s37
	s_sub_u32 s0, 0, s36
	s_subb_u32 s1, 0, s37
	v_madmk_f32 v1, v2, 0x4f800000, v1
	v_rcp_f32_e32 v1, v1
	v_mul_f32_e32 v1, 0x5f7ffffc, v1
	v_mul_f32_e32 v2, 0x2f800000, v1
	v_trunc_f32_e32 v2, v2
	v_madmk_f32 v1, v2, 0xcf800000, v1
	v_cvt_u32_f32_e32 v2, v2
	v_cvt_u32_f32_e32 v1, v1
	v_readfirstlane_b32 s11, v2
	v_readfirstlane_b32 s21, v1
	s_mul_i32 s38, s0, s11
	s_mul_hi_u32 s40, s0, s21
	s_mul_i32 s39, s1, s21
	s_add_i32 s38, s40, s38
	s_add_i32 s38, s38, s39
	s_mul_i32 s41, s0, s21
	s_mul_hi_u32 s39, s21, s38
	s_mul_i32 s40, s21, s38
	s_mul_hi_u32 s21, s21, s41
	s_add_u32 s21, s21, s40
	s_addc_u32 s39, 0, s39
	s_mul_hi_u32 s42, s11, s41
	s_mul_i32 s41, s11, s41
	s_add_u32 s21, s21, s41
	s_mul_hi_u32 s40, s11, s38
	s_addc_u32 s21, s39, s42
	s_addc_u32 s39, s40, 0
	s_mul_i32 s38, s11, s38
	s_add_u32 s21, s21, s38
	s_addc_u32 s38, 0, s39
	v_add_co_u32_e32 v1, vcc, s21, v1
	s_cmp_lg_u64 vcc, 0
	s_addc_u32 s11, s11, s38
	v_readfirstlane_b32 s38, v1
	s_mul_i32 s21, s0, s11
	s_mul_hi_u32 s39, s0, s38
	s_add_i32 s21, s39, s21
	s_mul_i32 s1, s1, s38
	s_add_i32 s21, s21, s1
	s_mul_i32 s0, s0, s38
	s_mul_hi_u32 s39, s11, s0
	s_mul_i32 s40, s11, s0
	s_mul_i32 s42, s38, s21
	s_mul_hi_u32 s0, s38, s0
	s_mul_hi_u32 s41, s38, s21
	s_add_u32 s0, s0, s42
	s_addc_u32 s38, 0, s41
	s_add_u32 s0, s0, s40
	s_mul_hi_u32 s1, s11, s21
	s_addc_u32 s0, s38, s39
	s_addc_u32 s1, s1, 0
	s_mul_i32 s21, s11, s21
	s_add_u32 s0, s0, s21
	s_addc_u32 s1, 0, s1
	v_add_co_u32_e32 v1, vcc, s0, v1
	s_cmp_lg_u64 vcc, 0
	s_addc_u32 s11, s11, s1
	s_ashr_i32 s38, s27, 31
	s_add_u32 s0, s26, s38
	s_mov_b32 s39, s38
	s_addc_u32 s1, s27, s38
	s_xor_b64 s[40:41], s[0:1], s[38:39]
	v_readfirstlane_b32 s21, v1
	s_mul_i32 s1, s40, s11
	s_mul_hi_u32 s42, s40, s21
	s_mul_hi_u32 s0, s40, s11
	s_add_u32 s1, s42, s1
	s_addc_u32 s0, 0, s0
	s_mul_hi_u32 s43, s41, s21
	s_mul_i32 s21, s41, s21
	s_add_u32 s1, s1, s21
	s_mul_hi_u32 s42, s41, s11
	s_addc_u32 s0, s0, s43
	s_addc_u32 s1, s42, 0
	s_mul_i32 s11, s41, s11
	s_add_u32 s11, s0, s11
	s_addc_u32 s21, 0, s1
	s_mul_i32 s0, s36, s21
	s_mul_hi_u32 s1, s36, s11
	s_add_i32 s0, s1, s0
	s_mul_i32 s1, s37, s11
	s_add_i32 s42, s0, s1
	s_mul_i32 s1, s36, s11
	v_mov_b32_e32 v1, s1
	s_sub_i32 s0, s41, s42
	v_sub_co_u32_e32 v1, vcc, s40, v1
	s_cmp_lg_u64 vcc, 0
	s_subb_u32 s40, s0, s37
	v_subrev_co_u32_e64 v2, s[0:1], s36, v1
	s_cmp_lg_u64 s[0:1], 0
	s_subb_u32 s0, s40, 0
	s_cmp_ge_u32 s0, s37
	v_readfirstlane_b32 s40, v2
	s_cselect_b32 s1, -1, 0
	s_cmp_ge_u32 s40, s36
	s_cselect_b32 s40, -1, 0
	s_cmp_eq_u32 s0, s37
	s_cselect_b32 s0, s40, s1
	s_add_u32 s1, s11, 1
	s_addc_u32 s40, s21, 0
	s_add_u32 s43, s11, 2
	s_addc_u32 s44, s21, 0
	s_cmp_lg_u32 s0, 0
	s_cselect_b32 s0, s43, s1
	s_cselect_b32 s1, s44, s40
	s_cmp_lg_u64 vcc, 0
	s_subb_u32 s40, s41, s42
	s_cmp_ge_u32 s40, s37
	v_readfirstlane_b32 s42, v1
	s_cselect_b32 s41, -1, 0
	s_cmp_ge_u32 s42, s36
	s_cselect_b32 s36, -1, 0
	s_cmp_eq_u32 s40, s37
	s_cselect_b32 s36, s36, s41
	s_cmp_lg_u32 s36, 0
	s_cselect_b32 s1, s1, s21
	s_cselect_b32 s0, s0, s11
	s_xor_b64 s[28:29], s[38:39], s[28:29]
	s_xor_b64 s[0:1], s[0:1], s[28:29]
	s_sub_u32 s28, s0, s28
	s_subb_u32 s29, s1, s29
	s_cbranch_execnz .LBB22_7
.LBB22_6:
	v_cvt_f32_u32_e32 v1, s30
	s_sub_i32 s0, 0, s30
	s_mov_b32 s29, 0
	v_rcp_iflag_f32_e32 v1, v1
	v_mul_f32_e32 v1, 0x4f7ffffe, v1
	v_cvt_u32_f32_e32 v1, v1
	v_readfirstlane_b32 s1, v1
	s_mul_i32 s0, s0, s1
	s_mul_hi_u32 s0, s1, s0
	s_add_i32 s1, s1, s0
	s_mul_hi_u32 s0, s26, s1
	s_mul_i32 s11, s0, s30
	s_sub_i32 s11, s26, s11
	s_add_i32 s1, s0, 1
	s_sub_i32 s21, s11, s30
	s_cmp_ge_u32 s11, s30
	s_cselect_b32 s0, s1, s0
	s_cselect_b32 s11, s21, s11
	s_add_i32 s1, s0, 1
	s_cmp_ge_u32 s11, s30
	s_cselect_b32 s28, s1, s0
.LBB22_7:
	s_mul_i32 s0, s28, s31
	s_mul_hi_u32 s1, s28, s30
	s_add_i32 s0, s1, s0
	s_mul_i32 s1, s29, s30
	s_add_i32 s0, s0, s1
	s_mul_i32 s1, s28, s30
	s_sub_u32 s36, s26, s1
	s_subb_u32 s0, s27, s0
	v_cmp_gt_i32_e32 vcc, s20, v0
	s_mul_hi_u32 s38, s28, s8
	s_mul_i32 s39, s29, s8
	s_mul_i32 s30, s28, s8
	s_mul_hi_u32 s37, s36, s9
	s_mul_i32 s29, s0, s9
	s_mul_i32 s26, s36, s9
	s_and_saveexec_b64 s[34:35], vcc
	s_cbranch_execz .LBB22_10
; %bb.8:
	s_ashr_i32 s0, s8, 31
	s_mul_i32 s0, s28, s0
	s_add_i32 s0, s38, s0
	s_add_i32 s31, s0, s39
	s_ashr_i32 s0, s9, 31
	s_mul_i32 s0, s36, s0
	s_add_i32 s0, s37, s0
	s_add_i32 s27, s0, s29
	s_ashr_i32 s21, s20, 31
	s_lshl_b64 s[0:1], s[30:31], 1
	s_lshl_b64 s[40:41], s[26:27], 1
	s_add_u32 s44, s0, s40
	s_addc_u32 s41, s1, s41
	s_load_dword s40, s[4:5], 0x8c
	s_add_u32 s27, s44, s2
	s_addc_u32 s31, s41, s3
	s_ashr_i32 s11, s10, 31
	s_lshl_b64 s[0:1], s[10:11], 1
	s_add_u32 s11, s27, s0
	s_addc_u32 s27, s31, s1
	s_waitcnt lgkmcnt(0)
	s_and_b32 s31, s40, 0xffff
	s_lshl_b32 s40, s31, 1
	s_lshl_b64 s[42:43], s[20:21], 1
	s_add_u32 s24, s24, s42
	s_addc_u32 s25, s25, s43
	s_add_u32 s24, s22, s24
	s_addc_u32 s25, s23, s25
	s_lshl_b64 s[22:23], s[20:21], 2
	s_mul_i32 s13, s13, s6
	s_mul_hi_u32 s21, s12, s6
	s_add_i32 s13, s21, s13
	s_mul_i32 s12, s12, s6
	s_lshl_b64 s[12:13], s[12:13], 2
	s_add_u32 s12, s16, s12
	v_lshlrev_b32_e32 v1, 2, v0
	s_addc_u32 s13, s17, s13
	s_lshl_b32 s16, s31, 2
	v_add_co_u32_e32 v4, vcc, s12, v1
	s_add_u32 s12, s44, s42
	v_mov_b32_e32 v3, s13
	s_addc_u32 s13, s41, s43
	s_add_u32 s0, s12, s0
	s_addc_u32 s1, s13, s1
	s_mov_b32 s45, 0
	s_add_u32 s17, s2, s0
	v_lshlrev_b32_e32 v2, 1, v0
	v_addc_co_u32_e32 v5, vcc, 0, v3, vcc
	s_addc_u32 s21, s3, s1
	s_mov_b64 s[12:13], 0
	v_mov_b32_e32 v1, s23
	v_mov_b32_e32 v3, s45
	v_mov_b32_e32 v6, v0
.LBB22_9:                               ; =>This Inner Loop Header: Depth=1
	v_add_co_u32_e64 v10, s[0:1], s22, v4
	v_addc_co_u32_e64 v11, s[0:1], v5, v1, s[0:1]
	v_mov_b32_e32 v7, s33
	v_mov_b32_e32 v9, s25
	v_add_co_u32_e32 v8, vcc, s24, v2
	v_add_co_u32_e64 v12, s[0:1], s7, v2
	global_load_dword v14, v[4:5], off
	v_addc_co_u32_e64 v13, s[0:1], 0, v7, s[0:1]
	v_addc_co_u32_e32 v9, vcc, 0, v9, vcc
	global_load_dword v7, v[10:11], off
	global_load_ushort v15, v[8:9], off
	global_load_ushort v16, v[12:13], off
	s_add_u32 s7, s7, s40
	s_addc_u32 s33, s33, 0
	s_add_u32 s24, s24, s40
	s_addc_u32 s25, s25, 0
	v_add_co_u32_e32 v8, vcc, s17, v2
	s_add_u32 s17, s17, s40
	v_mov_b32_e32 v9, s27
	v_mov_b32_e32 v17, s21
	v_add_co_u32_e64 v12, s[0:1], s11, v2
	s_addc_u32 s21, s21, 0
	v_add_u32_e32 v6, s31, v6
	v_addc_co_u32_e64 v13, s[0:1], 0, v9, s[0:1]
	v_addc_co_u32_e32 v9, vcc, 0, v17, vcc
	s_add_u32 s11, s11, s40
	v_cmp_le_i32_e32 vcc, s20, v6
	s_addc_u32 s27, s27, 0
	s_or_b64 s[12:13], vcc, s[12:13]
	s_waitcnt vmcnt(1)
	v_lshlrev_b32_e32 v15, 16, v15
	s_waitcnt vmcnt(0)
	v_lshlrev_b32_e32 v16, 16, v16
	v_mul_f32_e32 v17, v7, v15
	v_mul_f32_e32 v15, v14, v15
	v_fma_f32 v14, v14, v16, -v17
	v_fmac_f32_e32 v15, v7, v16
	global_store_dword v[4:5], v14, off
	global_store_dword v[10:11], v15, off
	global_store_short v[12:13], v14, off
	global_store_short v[8:9], v15, off
	v_add_co_u32_e32 v4, vcc, s16, v4
	v_addc_co_u32_e32 v5, vcc, v5, v3, vcc
	s_andn2_b64 exec, exec, s[12:13]
	s_cbranch_execnz .LBB22_9
.LBB22_10:
	s_or_b64 exec, exec, s[34:35]
	v_cmp_gt_i32_e32 vcc, s10, v0
	s_and_saveexec_b64 s[0:1], vcc
	s_cbranch_execz .LBB22_13
; %bb.11:
	s_mul_i32 s0, s6, s15
	s_mul_hi_u32 s1, s6, s14
	s_add_i32 s1, s1, s0
	s_mul_i32 s0, s6, s14
	s_lshl_b64 s[0:1], s[0:1], 2
	s_add_u32 s6, s18, s0
	s_addc_u32 s7, s19, s1
	s_ashr_i32 s0, s8, 31
	s_mul_i32 s0, s28, s0
	s_add_i32 s0, s38, s0
	s_add_i32 s31, s0, s39
	s_lshl_b64 s[0:1], s[30:31], 1
	s_add_u32 s2, s2, s0
	s_addc_u32 s3, s3, s1
	s_ashr_i32 s0, s9, 31
	s_mul_i32 s36, s36, s0
	s_add_i32 s0, s37, s36
	s_load_dword s4, s[4:5], 0x8c
	s_add_i32 s27, s0, s29
	s_lshl_b64 s[0:1], s[26:27], 1
	s_add_u32 s2, s2, s0
	s_addc_u32 s5, s3, s1
	s_waitcnt lgkmcnt(0)
	s_and_b32 s3, s4, 0xffff
	s_mov_b64 s[0:1], 0
	v_mov_b32_e32 v2, s7
	v_mov_b32_e32 v3, s5
.LBB22_12:                              ; =>This Inner Loop Header: Depth=1
	v_ashrrev_i32_e32 v1, 31, v0
	v_lshlrev_b64 v[4:5], 2, v[0:1]
	v_add_co_u32_e32 v4, vcc, s6, v4
	v_addc_co_u32_e32 v5, vcc, v2, v5, vcc
	global_load_ushort v6, v[4:5], off
	v_lshlrev_b64 v[4:5], 1, v[0:1]
	v_add_co_u32_e32 v4, vcc, s2, v4
	v_addc_co_u32_e32 v5, vcc, v3, v5, vcc
	v_add_u32_e32 v0, s3, v0
	v_cmp_le_i32_e32 vcc, s10, v0
	s_or_b64 s[0:1], vcc, s[0:1]
	s_waitcnt vmcnt(0)
	global_store_short v[4:5], v6, off
	s_andn2_b64 exec, exec, s[0:1]
	s_cbranch_execnz .LBB22_12
.LBB22_13:
	s_endpgm
.LBB22_14:
                                        ; implicit-def: $sgpr28_sgpr29
	s_branch .LBB22_6
	.section	.rodata,"a",@progbits
	.p2align	6, 0x0
	.amdhsa_kernel _ZN4vllm38concat_and_cache_mla_rope_fused_kernelIfN3c108BFloat16ELb1EttLNS_18Fp8KVCacheDataTypeE0EEEvPKlPT_S7_PKS6_PKT0_illlliPT3_S5_iiiiPKf
		.amdhsa_group_segment_fixed_size 0
		.amdhsa_private_segment_fixed_size 0
		.amdhsa_kernarg_size 384
		.amdhsa_user_sgpr_count 6
		.amdhsa_user_sgpr_private_segment_buffer 1
		.amdhsa_user_sgpr_dispatch_ptr 0
		.amdhsa_user_sgpr_queue_ptr 0
		.amdhsa_user_sgpr_kernarg_segment_ptr 1
		.amdhsa_user_sgpr_dispatch_id 0
		.amdhsa_user_sgpr_flat_scratch_init 0
		.amdhsa_user_sgpr_kernarg_preload_length 0
		.amdhsa_user_sgpr_kernarg_preload_offset 0
		.amdhsa_user_sgpr_private_segment_size 0
		.amdhsa_uses_dynamic_stack 0
		.amdhsa_system_sgpr_private_segment_wavefront_offset 0
		.amdhsa_system_sgpr_workgroup_id_x 1
		.amdhsa_system_sgpr_workgroup_id_y 0
		.amdhsa_system_sgpr_workgroup_id_z 0
		.amdhsa_system_sgpr_workgroup_info 0
		.amdhsa_system_vgpr_workitem_id 0
		.amdhsa_next_free_vgpr 18
		.amdhsa_next_free_sgpr 46
		.amdhsa_accum_offset 20
		.amdhsa_reserve_vcc 1
		.amdhsa_reserve_flat_scratch 0
		.amdhsa_float_round_mode_32 0
		.amdhsa_float_round_mode_16_64 0
		.amdhsa_float_denorm_mode_32 3
		.amdhsa_float_denorm_mode_16_64 3
		.amdhsa_dx10_clamp 1
		.amdhsa_ieee_mode 1
		.amdhsa_fp16_overflow 0
		.amdhsa_tg_split 0
		.amdhsa_exception_fp_ieee_invalid_op 0
		.amdhsa_exception_fp_denorm_src 0
		.amdhsa_exception_fp_ieee_div_zero 0
		.amdhsa_exception_fp_ieee_overflow 0
		.amdhsa_exception_fp_ieee_underflow 0
		.amdhsa_exception_fp_ieee_inexact 0
		.amdhsa_exception_int_div_zero 0
	.end_amdhsa_kernel
	.section	.text._ZN4vllm38concat_and_cache_mla_rope_fused_kernelIfN3c108BFloat16ELb1EttLNS_18Fp8KVCacheDataTypeE0EEEvPKlPT_S7_PKS6_PKT0_illlliPT3_S5_iiiiPKf,"axG",@progbits,_ZN4vllm38concat_and_cache_mla_rope_fused_kernelIfN3c108BFloat16ELb1EttLNS_18Fp8KVCacheDataTypeE0EEEvPKlPT_S7_PKS6_PKT0_illlliPT3_S5_iiiiPKf,comdat
.Lfunc_end22:
	.size	_ZN4vllm38concat_and_cache_mla_rope_fused_kernelIfN3c108BFloat16ELb1EttLNS_18Fp8KVCacheDataTypeE0EEEvPKlPT_S7_PKS6_PKT0_illlliPT3_S5_iiiiPKf, .Lfunc_end22-_ZN4vllm38concat_and_cache_mla_rope_fused_kernelIfN3c108BFloat16ELb1EttLNS_18Fp8KVCacheDataTypeE0EEEvPKlPT_S7_PKS6_PKT0_illlliPT3_S5_iiiiPKf
                                        ; -- End function
	.section	.AMDGPU.csdata,"",@progbits
; Kernel info:
; codeLenInByte = 2072
; NumSgprs: 50
; NumVgprs: 18
; NumAgprs: 0
; TotalNumVgprs: 18
; ScratchSize: 0
; MemoryBound: 0
; FloatMode: 240
; IeeeMode: 1
; LDSByteSize: 0 bytes/workgroup (compile time only)
; SGPRBlocks: 6
; VGPRBlocks: 2
; NumSGPRsForWavesPerEU: 50
; NumVGPRsForWavesPerEU: 18
; AccumOffset: 20
; Occupancy: 8
; WaveLimiterHint : 1
; COMPUTE_PGM_RSRC2:SCRATCH_EN: 0
; COMPUTE_PGM_RSRC2:USER_SGPR: 6
; COMPUTE_PGM_RSRC2:TRAP_HANDLER: 0
; COMPUTE_PGM_RSRC2:TGID_X_EN: 1
; COMPUTE_PGM_RSRC2:TGID_Y_EN: 0
; COMPUTE_PGM_RSRC2:TGID_Z_EN: 0
; COMPUTE_PGM_RSRC2:TIDIG_COMP_CNT: 0
; COMPUTE_PGM_RSRC3_GFX90A:ACCUM_OFFSET: 4
; COMPUTE_PGM_RSRC3_GFX90A:TG_SPLIT: 0
	.section	.text._ZN4vllm38concat_and_cache_mla_rope_fused_kernelIfN3c108BFloat16ELb0EttLNS_18Fp8KVCacheDataTypeE0EEEvPKlPT_S7_PKS6_PKT0_illlliPT3_S5_iiiiPKf,"axG",@progbits,_ZN4vllm38concat_and_cache_mla_rope_fused_kernelIfN3c108BFloat16ELb0EttLNS_18Fp8KVCacheDataTypeE0EEEvPKlPT_S7_PKS6_PKT0_illlliPT3_S5_iiiiPKf,comdat
	.protected	_ZN4vllm38concat_and_cache_mla_rope_fused_kernelIfN3c108BFloat16ELb0EttLNS_18Fp8KVCacheDataTypeE0EEEvPKlPT_S7_PKS6_PKT0_illlliPT3_S5_iiiiPKf ; -- Begin function _ZN4vllm38concat_and_cache_mla_rope_fused_kernelIfN3c108BFloat16ELb0EttLNS_18Fp8KVCacheDataTypeE0EEEvPKlPT_S7_PKS6_PKT0_illlliPT3_S5_iiiiPKf
	.globl	_ZN4vllm38concat_and_cache_mla_rope_fused_kernelIfN3c108BFloat16ELb0EttLNS_18Fp8KVCacheDataTypeE0EEEvPKlPT_S7_PKS6_PKT0_illlliPT3_S5_iiiiPKf
	.p2align	8
	.type	_ZN4vllm38concat_and_cache_mla_rope_fused_kernelIfN3c108BFloat16ELb0EttLNS_18Fp8KVCacheDataTypeE0EEEvPKlPT_S7_PKS6_PKT0_illlliPT3_S5_iiiiPKf,@function
_ZN4vllm38concat_and_cache_mla_rope_fused_kernelIfN3c108BFloat16ELb0EttLNS_18Fp8KVCacheDataTypeE0EEEvPKlPT_S7_PKS6_PKT0_illlliPT3_S5_iiiiPKf: ; @_ZN4vllm38concat_and_cache_mla_rope_fused_kernelIfN3c108BFloat16ELb0EttLNS_18Fp8KVCacheDataTypeE0EEEvPKlPT_S7_PKS6_PKT0_illlliPT3_S5_iiiiPKf
; %bb.0:
	s_load_dwordx2 s[2:3], s[4:5], 0x60
	s_mov_b32 s7, 0
	s_lshl_b64 s[0:1], s[6:7], 3
	s_waitcnt lgkmcnt(0)
	s_add_u32 s2, s2, s0
	s_addc_u32 s3, s3, s1
	s_load_dwordx2 s[24:25], s[2:3], 0x0
	s_waitcnt lgkmcnt(0)
	v_cmp_lt_i64_e64 s[2:3], s[24:25], 0
	s_and_b64 vcc, exec, s[2:3]
	s_cbranch_vccnz .LBB23_13
; %bb.1:
	s_load_dword s7, s[4:5], 0x28
	s_load_dwordx2 s[2:3], s[4:5], 0x0
	s_load_dwordx4 s[16:19], s[4:5], 0x10
	v_lshlrev_b32_e32 v1, 1, v0
	s_waitcnt lgkmcnt(0)
	s_ashr_i32 s26, s7, 31
	s_add_u32 s0, s2, s0
	s_addc_u32 s1, s3, s1
	s_load_dwordx2 s[20:21], s[0:1], 0x0
	s_load_dwordx2 s[22:23], s[4:5], 0x20
	s_load_dwordx8 s[8:15], s[4:5], 0x30
	s_load_dwordx2 s[2:3], s[4:5], 0x58
	s_load_dword s28, s[4:5], 0x50
	s_waitcnt lgkmcnt(0)
	s_mul_i32 s0, s20, s26
	s_mul_hi_u32 s1, s20, s7
	s_mul_i32 s21, s21, s7
	s_add_i32 s0, s1, s0
	s_add_i32 s27, s0, s21
	s_lshr_b32 s0, s7, 31
	s_mul_i32 s26, s20, s7
	s_add_i32 s7, s7, s0
	s_ashr_i32 s20, s7, 1
	s_mul_i32 s7, s20, s28
	v_cmp_gt_i32_e32 vcc, s7, v0
	s_and_saveexec_b64 s[0:1], vcc
	s_cbranch_execz .LBB23_4
; %bb.2:
	s_lshl_b64 s[28:29], s[26:27], 1
	s_add_u32 s30, s22, s28
	s_addc_u32 s38, s23, s29
	s_load_dwordx2 s[28:29], s[4:5], 0x8
	s_load_dword s34, s[4:5], 0x8c
	s_mul_i32 s9, s6, s9
	s_mul_hi_u32 s31, s6, s8
	s_add_i32 s9, s31, s9
	s_mul_i32 s8, s6, s8
	s_ashr_i32 s21, s20, 31
	s_lshl_b64 s[8:9], s[8:9], 2
	s_waitcnt lgkmcnt(0)
	s_add_u32 s31, s28, s8
	s_addc_u32 s39, s29, s9
	s_abs_i32 s33, s20
	v_cvt_f32_u32_e32 v2, s33
	s_sub_i32 s8, 0, s33
	s_and_b32 s34, s34, 0xffff
	s_lshl_b64 s[28:29], s[20:21], 1
	v_rcp_iflag_f32_e32 v2, v2
	s_sub_i32 s35, 0, s20
	s_lshl_b32 s37, s34, 1
	v_mov_b32_e32 v5, s38
	v_mul_f32_e32 v2, 0x4f7ffffe, v2
	v_cvt_u32_f32_e32 v2, v2
	v_mov_b32_e32 v6, s29
	v_mov_b32_e32 v7, s39
	v_mov_b32_e32 v4, v0
	v_mul_lo_u32 v3, s8, v2
	v_mul_hi_u32 v3, v2, v3
	s_lshl_b32 s8, s20, 1
	v_add_u32_e32 v3, v2, v3
	s_sub_i32 s36, 0, s8
	s_mov_b64 s[8:9], 0
	v_mov_b32_e32 v2, v1
.LBB23_3:                               ; =>This Inner Loop Header: Depth=1
	v_sub_u32_e32 v9, 0, v4
	v_max_i32_e32 v9, v4, v9
	v_mul_hi_u32 v10, v9, v3
	v_mul_lo_u32 v11, v10, s33
	v_sub_u32_e32 v9, v9, v11
	v_add_u32_e32 v12, 1, v10
	v_cmp_le_u32_e32 vcc, s33, v9
	v_subrev_u32_e32 v11, s33, v9
	v_cndmask_b32_e32 v10, v10, v12, vcc
	v_cndmask_b32_e32 v9, v9, v11, vcc
	v_ashrrev_i32_e32 v8, 31, v4
	v_add_u32_e32 v11, 1, v10
	v_cmp_le_u32_e32 vcc, s33, v9
	v_xor_b32_e32 v8, s21, v8
	v_cndmask_b32_e32 v9, v10, v11, vcc
	v_xor_b32_e32 v9, v9, v8
	v_sub_u32_e32 v12, v9, v8
	v_mad_u64_u32 v[8:9], s[38:39], s35, v12, v[4:5]
	v_ashrrev_i32_e32 v9, 31, v8
	v_lshlrev_b64 v[8:9], 1, v[8:9]
	v_ashrrev_i32_e32 v14, 31, v12
	v_add_co_u32_e32 v8, vcc, s30, v8
	v_mul_lo_u32 v15, v12, s11
	v_mad_u64_u32 v[10:11], s[38:39], v12, s10, 0
	v_mul_lo_u32 v14, v14, s10
	v_addc_co_u32_e32 v9, vcc, v5, v9, vcc
	v_add3_u32 v11, v11, v15, v14
	v_add_co_u32_e32 v14, vcc, s28, v8
	v_mad_u64_u32 v[12:13], s[38:39], s36, v12, v[2:3]
	v_lshlrev_b64 v[10:11], 2, v[10:11]
	v_addc_co_u32_e32 v15, vcc, v9, v6, vcc
	v_ashrrev_i32_e32 v13, 31, v12
	v_add_co_u32_e32 v10, vcc, s31, v10
	v_lshlrev_b64 v[12:13], 2, v[12:13]
	v_addc_co_u32_e32 v11, vcc, v7, v11, vcc
	global_load_ushort v16, v[8:9], off
	global_load_ushort v17, v[14:15], off
	v_add_co_u32_e32 v8, vcc, v10, v12
	v_addc_co_u32_e32 v9, vcc, v11, v13, vcc
	global_load_dwordx2 v[10:11], v[8:9], off
	v_add_u32_e32 v4, s34, v4
	v_cmp_le_i32_e32 vcc, s7, v4
	v_add_u32_e32 v2, s37, v2
	s_or_b64 s[8:9], vcc, s[8:9]
	s_waitcnt vmcnt(2)
	v_lshlrev_b32_e32 v14, 16, v16
	s_waitcnt vmcnt(1)
	v_lshlrev_b32_e32 v12, 16, v17
	s_waitcnt vmcnt(0)
	v_mul_f32_e32 v15, v11, v12
	v_mul_f32_e32 v13, v10, v12
	v_fma_f32 v12, v10, v14, -v15
	v_fmac_f32_e32 v13, v11, v14
	global_store_dwordx2 v[8:9], v[12:13], off
	s_andn2_b64 exec, exec, s[8:9]
	s_cbranch_execnz .LBB23_3
.LBB23_4:
	s_or_b64 exec, exec, s[0:1]
	s_load_dwordx4 s[8:11], s[4:5], 0x68
	s_waitcnt lgkmcnt(0)
	s_ashr_i32 s29, s11, 31
	s_mov_b32 s28, s11
	s_or_b64 s[0:1], s[24:25], s[28:29]
	s_mov_b32 s0, 0
	s_cmp_lg_u64 s[0:1], 0
	s_cbranch_scc0 .LBB23_14
; %bb.5:
	s_add_u32 s0, s28, s29
	s_mov_b32 s34, s29
	s_mov_b32 s35, s29
	s_addc_u32 s1, s29, s29
	s_xor_b64 s[36:37], s[0:1], s[34:35]
	v_cvt_f32_u32_e32 v2, s36
	v_cvt_f32_u32_e32 v3, s37
	s_sub_u32 s0, 0, s36
	s_subb_u32 s1, 0, s37
	v_madmk_f32 v2, v3, 0x4f800000, v2
	v_rcp_f32_e32 v2, v2
	v_mul_f32_e32 v2, 0x5f7ffffc, v2
	v_mul_f32_e32 v3, 0x2f800000, v2
	v_trunc_f32_e32 v3, v3
	v_madmk_f32 v2, v3, 0xcf800000, v2
	v_cvt_u32_f32_e32 v3, v3
	v_cvt_u32_f32_e32 v2, v2
	v_readfirstlane_b32 s7, v3
	v_readfirstlane_b32 s11, v2
	s_mul_i32 s21, s0, s7
	s_mul_hi_u32 s38, s0, s11
	s_mul_i32 s33, s1, s11
	s_add_i32 s21, s38, s21
	s_add_i32 s21, s21, s33
	s_mul_i32 s39, s0, s11
	s_mul_hi_u32 s33, s11, s21
	s_mul_i32 s38, s11, s21
	s_mul_hi_u32 s11, s11, s39
	s_add_u32 s11, s11, s38
	s_addc_u32 s33, 0, s33
	s_mul_hi_u32 s40, s7, s39
	s_mul_i32 s39, s7, s39
	s_add_u32 s11, s11, s39
	s_mul_hi_u32 s38, s7, s21
	s_addc_u32 s11, s33, s40
	s_addc_u32 s33, s38, 0
	s_mul_i32 s21, s7, s21
	s_add_u32 s11, s11, s21
	s_addc_u32 s21, 0, s33
	v_add_co_u32_e32 v2, vcc, s11, v2
	s_cmp_lg_u64 vcc, 0
	s_addc_u32 s7, s7, s21
	v_readfirstlane_b32 s21, v2
	s_mul_i32 s11, s0, s7
	s_mul_hi_u32 s33, s0, s21
	s_add_i32 s11, s33, s11
	s_mul_i32 s1, s1, s21
	s_add_i32 s11, s11, s1
	s_mul_i32 s0, s0, s21
	s_mul_hi_u32 s33, s7, s0
	s_mul_i32 s38, s7, s0
	s_mul_i32 s40, s21, s11
	s_mul_hi_u32 s0, s21, s0
	s_mul_hi_u32 s39, s21, s11
	s_add_u32 s0, s0, s40
	s_addc_u32 s21, 0, s39
	s_add_u32 s0, s0, s38
	s_mul_hi_u32 s1, s7, s11
	s_addc_u32 s0, s21, s33
	s_addc_u32 s1, s1, 0
	s_mul_i32 s11, s7, s11
	s_add_u32 s0, s0, s11
	s_addc_u32 s1, 0, s1
	v_add_co_u32_e32 v2, vcc, s0, v2
	s_cmp_lg_u64 vcc, 0
	s_addc_u32 s7, s7, s1
	s_ashr_i32 s38, s25, 31
	s_add_u32 s0, s24, s38
	s_mov_b32 s39, s38
	s_addc_u32 s1, s25, s38
	s_xor_b64 s[40:41], s[0:1], s[38:39]
	v_readfirstlane_b32 s11, v2
	s_mul_i32 s1, s40, s7
	s_mul_hi_u32 s21, s40, s11
	s_mul_hi_u32 s0, s40, s7
	s_add_u32 s1, s21, s1
	s_addc_u32 s0, 0, s0
	s_mul_hi_u32 s33, s41, s11
	s_mul_i32 s11, s41, s11
	s_add_u32 s1, s1, s11
	s_mul_hi_u32 s21, s41, s7
	s_addc_u32 s0, s0, s33
	s_addc_u32 s1, s21, 0
	s_mul_i32 s7, s41, s7
	s_add_u32 s7, s0, s7
	s_addc_u32 s11, 0, s1
	s_mul_i32 s0, s36, s11
	s_mul_hi_u32 s1, s36, s7
	s_add_i32 s0, s1, s0
	s_mul_i32 s1, s37, s7
	s_add_i32 s21, s0, s1
	s_mul_i32 s1, s36, s7
	v_mov_b32_e32 v2, s1
	s_sub_i32 s0, s41, s21
	v_sub_co_u32_e32 v2, vcc, s40, v2
	s_cmp_lg_u64 vcc, 0
	s_subb_u32 s33, s0, s37
	v_subrev_co_u32_e64 v3, s[0:1], s36, v2
	s_cmp_lg_u64 s[0:1], 0
	s_subb_u32 s0, s33, 0
	s_cmp_ge_u32 s0, s37
	v_readfirstlane_b32 s33, v3
	s_cselect_b32 s1, -1, 0
	s_cmp_ge_u32 s33, s36
	s_cselect_b32 s33, -1, 0
	s_cmp_eq_u32 s0, s37
	s_cselect_b32 s0, s33, s1
	s_add_u32 s1, s7, 1
	s_addc_u32 s33, s11, 0
	s_add_u32 s40, s7, 2
	s_addc_u32 s42, s11, 0
	s_cmp_lg_u32 s0, 0
	s_cselect_b32 s0, s40, s1
	s_cselect_b32 s1, s42, s33
	s_cmp_lg_u64 vcc, 0
	s_subb_u32 s21, s41, s21
	s_cmp_ge_u32 s21, s37
	v_readfirstlane_b32 s40, v2
	s_cselect_b32 s33, -1, 0
	s_cmp_ge_u32 s40, s36
	s_cselect_b32 s36, -1, 0
	s_cmp_eq_u32 s21, s37
	s_cselect_b32 s21, s36, s33
	s_cmp_lg_u32 s21, 0
	s_cselect_b32 s1, s1, s11
	s_cselect_b32 s0, s0, s7
	s_xor_b64 s[34:35], s[38:39], s[34:35]
	s_xor_b64 s[0:1], s[0:1], s[34:35]
	s_sub_u32 s0, s0, s34
	s_subb_u32 s1, s1, s35
	s_cbranch_execnz .LBB23_7
.LBB23_6:
	v_cvt_f32_u32_e32 v2, s28
	s_sub_i32 s0, 0, s28
	s_mov_b32 s1, 0
	v_rcp_iflag_f32_e32 v2, v2
	v_mul_f32_e32 v2, 0x4f7ffffe, v2
	v_cvt_u32_f32_e32 v2, v2
	v_readfirstlane_b32 s7, v2
	s_mul_i32 s0, s0, s7
	s_mul_hi_u32 s0, s7, s0
	s_add_i32 s7, s7, s0
	s_mul_hi_u32 s0, s24, s7
	s_mul_i32 s11, s0, s28
	s_sub_i32 s11, s24, s11
	s_add_i32 s7, s0, 1
	s_sub_i32 s21, s11, s28
	s_cmp_ge_u32 s11, s28
	s_cselect_b32 s0, s7, s0
	s_cselect_b32 s11, s21, s11
	s_add_i32 s7, s0, 1
	s_cmp_ge_u32 s11, s28
	s_cselect_b32 s0, s7, s0
.LBB23_7:
	s_mul_i32 s7, s0, s29
	s_mul_hi_u32 s11, s0, s28
	s_add_i32 s7, s11, s7
	s_mul_i32 s11, s1, s28
	s_add_i32 s11, s7, s11
	s_mul_i32 s7, s0, s28
	s_sub_u32 s7, s24, s7
	s_subb_u32 s11, s25, s11
	v_cmp_gt_i32_e32 vcc, s20, v0
	s_mul_hi_u32 s34, s0, s8
	s_mul_i32 s35, s1, s8
	s_mul_i32 s28, s0, s8
	s_mul_hi_u32 s33, s7, s9
	s_mul_i32 s1, s11, s9
	s_mul_i32 s24, s7, s9
	s_and_saveexec_b64 s[30:31], vcc
	s_cbranch_execz .LBB23_10
; %bb.8:
	s_load_dword s25, s[4:5], 0x8c
	s_ashr_i32 s21, s20, 31
	s_ashr_i32 s29, s8, 31
	;; [unrolled: 1-line block ×4, first 2 shown]
	s_waitcnt lgkmcnt(0)
	s_and_b32 s36, s25, 0xffff
	s_lshl_b64 s[26:27], s[26:27], 1
	s_add_u32 s22, s22, s26
	s_addc_u32 s23, s23, s27
	v_mov_b32_e32 v3, s23
	v_add_co_u32_e32 v2, vcc, s22, v1
	s_lshl_b64 s[22:23], s[20:21], 1
	s_mul_i32 s13, s13, s6
	s_mul_hi_u32 s21, s12, s6
	s_add_i32 s13, s21, s13
	s_mul_i32 s12, s12, s6
	s_lshl_b32 s26, s36, 1
	s_lshl_b64 s[12:13], s[12:13], 2
	v_addc_co_u32_e32 v3, vcc, 0, v3, vcc
	v_lshlrev_b32_e32 v1, 3, v0
	s_add_u32 s12, s16, s12
	s_addc_u32 s13, s17, s13
	v_add_co_u32_e32 v1, vcc, s12, v1
	s_mul_i32 s12, s0, s29
	s_mul_i32 s17, s7, s37
	s_add_i32 s12, s34, s12
	s_add_i32 s17, s33, s17
	;; [unrolled: 1-line block ×4, first 2 shown]
	v_mov_b32_e32 v4, s13
	s_lshl_b32 s16, s36, 3
	s_lshl_b64 s[12:13], s[28:29], 1
	s_lshl_b64 s[38:39], s[24:25], 1
	s_add_u32 s17, s12, s38
	s_addc_u32 s25, s13, s39
	s_lshl_b64 s[12:13], s[10:11], 1
	s_add_u32 s11, s2, s12
	v_addc_co_u32_e32 v5, vcc, 0, v4, vcc
	s_addc_u32 s12, s3, s13
	v_add_co_u32_e32 v4, vcc, 4, v1
	s_add_u32 s11, s11, s17
	v_addc_co_u32_e32 v5, vcc, 0, v5, vcc
	v_lshlrev_b32_e32 v1, 2, v0
	s_addc_u32 s12, s12, s25
	s_mov_b32 s40, 0
	v_mov_b32_e32 v7, s12
	v_add_co_u32_e32 v6, vcc, s11, v1
	v_addc_co_u32_e32 v7, vcc, 0, v7, vcc
	s_lshl_b32 s11, s36, 2
	s_mov_b64 s[12:13], 0
	v_mov_b32_e32 v1, s23
	s_mov_b32 s17, 0x5040100
	v_mov_b32_e32 v8, s40
	v_mov_b32_e32 v9, s40
	;; [unrolled: 1-line block ×4, first 2 shown]
	s_mov_b32 s21, s40
	s_mov_b32 s25, s40
.LBB23_9:                               ; =>This Inner Loop Header: Depth=1
	v_add_co_u32_e32 v12, vcc, s22, v2
	global_load_ushort v16, v[2:3], off
	v_addc_co_u32_e32 v13, vcc, v3, v1, vcc
	global_load_ushort v17, v[12:13], off
	global_load_dwordx2 v[14:15], v[4:5], off offset:-4
	v_add_co_u32_e32 v2, vcc, s26, v2
	v_add_u32_e32 v11, s36, v11
	v_addc_co_u32_e32 v3, vcc, v3, v8, vcc
	v_cmp_le_i32_e32 vcc, s20, v11
	s_or_b64 s[12:13], vcc, s[12:13]
	s_waitcnt vmcnt(2)
	v_lshlrev_b32_e32 v12, 16, v16
	s_waitcnt vmcnt(1)
	v_lshlrev_b32_e32 v16, 16, v17
	s_waitcnt vmcnt(0)
	v_pk_mul_f32 v[16:17], v[14:15], v[16:17] op_sel_hi:[1,0]
	v_pk_fma_f32 v[18:19], v[14:15], v[12:13], v[16:17] op_sel:[0,0,1] op_sel_hi:[1,1,0] neg_lo:[0,0,1] neg_hi:[0,0,1]
	v_pk_fma_f32 v[12:13], v[14:15], v[12:13], v[16:17] op_sel:[0,0,1] op_sel_hi:[1,0,0]
	v_mov_b32_e32 v19, v13
	v_perm_b32 v12, v13, v18, s17
	global_store_dwordx2 v[4:5], v[18:19], off offset:-4
	global_store_dword v[6:7], v12, off
	v_add_co_u32_e32 v4, vcc, s16, v4
	v_addc_co_u32_e32 v5, vcc, v5, v9, vcc
	v_add_co_u32_e32 v6, vcc, s11, v6
	v_addc_co_u32_e32 v7, vcc, v7, v10, vcc
	s_andn2_b64 exec, exec, s[12:13]
	s_cbranch_execnz .LBB23_9
.LBB23_10:
	s_or_b64 exec, exec, s[30:31]
	v_cmp_gt_i32_e32 vcc, s10, v0
	s_and_saveexec_b64 s[12:13], vcc
	s_cbranch_execz .LBB23_13
; %bb.11:
	s_mul_i32 s11, s6, s15
	s_mul_hi_u32 s12, s6, s14
	s_add_i32 s13, s12, s11
	s_mul_i32 s12, s6, s14
	s_lshl_b64 s[12:13], s[12:13], 2
	s_add_u32 s6, s18, s12
	s_addc_u32 s11, s19, s13
	s_ashr_i32 s8, s8, 31
	s_mul_i32 s0, s0, s8
	s_add_i32 s0, s34, s0
	s_add_i32 s29, s0, s35
	s_lshl_b64 s[12:13], s[28:29], 1
	s_add_u32 s2, s2, s12
	s_addc_u32 s3, s3, s13
	s_ashr_i32 s0, s9, 31
	s_mul_i32 s7, s7, s0
	s_add_i32 s0, s33, s7
	s_load_dword s4, s[4:5], 0x8c
	s_add_i32 s25, s0, s1
	s_lshl_b64 s[0:1], s[24:25], 1
	s_add_u32 s2, s2, s0
	s_addc_u32 s5, s3, s1
	s_waitcnt lgkmcnt(0)
	s_and_b32 s3, s4, 0xffff
	s_mov_b64 s[0:1], 0
	v_mov_b32_e32 v2, s11
	v_mov_b32_e32 v3, s5
.LBB23_12:                              ; =>This Inner Loop Header: Depth=1
	v_ashrrev_i32_e32 v1, 31, v0
	v_lshlrev_b64 v[4:5], 2, v[0:1]
	v_add_co_u32_e32 v4, vcc, s6, v4
	v_addc_co_u32_e32 v5, vcc, v2, v5, vcc
	global_load_ushort v6, v[4:5], off
	v_lshlrev_b64 v[4:5], 1, v[0:1]
	v_add_co_u32_e32 v4, vcc, s2, v4
	v_addc_co_u32_e32 v5, vcc, v3, v5, vcc
	v_add_u32_e32 v0, s3, v0
	v_cmp_le_i32_e32 vcc, s10, v0
	s_or_b64 s[0:1], vcc, s[0:1]
	s_waitcnt vmcnt(0)
	global_store_short v[4:5], v6, off
	s_andn2_b64 exec, exec, s[0:1]
	s_cbranch_execnz .LBB23_12
.LBB23_13:
	s_endpgm
.LBB23_14:
                                        ; implicit-def: $sgpr0_sgpr1
	s_branch .LBB23_6
	.section	.rodata,"a",@progbits
	.p2align	6, 0x0
	.amdhsa_kernel _ZN4vllm38concat_and_cache_mla_rope_fused_kernelIfN3c108BFloat16ELb0EttLNS_18Fp8KVCacheDataTypeE0EEEvPKlPT_S7_PKS6_PKT0_illlliPT3_S5_iiiiPKf
		.amdhsa_group_segment_fixed_size 0
		.amdhsa_private_segment_fixed_size 0
		.amdhsa_kernarg_size 384
		.amdhsa_user_sgpr_count 6
		.amdhsa_user_sgpr_private_segment_buffer 1
		.amdhsa_user_sgpr_dispatch_ptr 0
		.amdhsa_user_sgpr_queue_ptr 0
		.amdhsa_user_sgpr_kernarg_segment_ptr 1
		.amdhsa_user_sgpr_dispatch_id 0
		.amdhsa_user_sgpr_flat_scratch_init 0
		.amdhsa_user_sgpr_kernarg_preload_length 0
		.amdhsa_user_sgpr_kernarg_preload_offset 0
		.amdhsa_user_sgpr_private_segment_size 0
		.amdhsa_uses_dynamic_stack 0
		.amdhsa_system_sgpr_private_segment_wavefront_offset 0
		.amdhsa_system_sgpr_workgroup_id_x 1
		.amdhsa_system_sgpr_workgroup_id_y 0
		.amdhsa_system_sgpr_workgroup_id_z 0
		.amdhsa_system_sgpr_workgroup_info 0
		.amdhsa_system_vgpr_workitem_id 0
		.amdhsa_next_free_vgpr 20
		.amdhsa_next_free_sgpr 43
		.amdhsa_accum_offset 20
		.amdhsa_reserve_vcc 1
		.amdhsa_reserve_flat_scratch 0
		.amdhsa_float_round_mode_32 0
		.amdhsa_float_round_mode_16_64 0
		.amdhsa_float_denorm_mode_32 3
		.amdhsa_float_denorm_mode_16_64 3
		.amdhsa_dx10_clamp 1
		.amdhsa_ieee_mode 1
		.amdhsa_fp16_overflow 0
		.amdhsa_tg_split 0
		.amdhsa_exception_fp_ieee_invalid_op 0
		.amdhsa_exception_fp_denorm_src 0
		.amdhsa_exception_fp_ieee_div_zero 0
		.amdhsa_exception_fp_ieee_overflow 0
		.amdhsa_exception_fp_ieee_underflow 0
		.amdhsa_exception_fp_ieee_inexact 0
		.amdhsa_exception_int_div_zero 0
	.end_amdhsa_kernel
	.section	.text._ZN4vllm38concat_and_cache_mla_rope_fused_kernelIfN3c108BFloat16ELb0EttLNS_18Fp8KVCacheDataTypeE0EEEvPKlPT_S7_PKS6_PKT0_illlliPT3_S5_iiiiPKf,"axG",@progbits,_ZN4vllm38concat_and_cache_mla_rope_fused_kernelIfN3c108BFloat16ELb0EttLNS_18Fp8KVCacheDataTypeE0EEEvPKlPT_S7_PKS6_PKT0_illlliPT3_S5_iiiiPKf,comdat
.Lfunc_end23:
	.size	_ZN4vllm38concat_and_cache_mla_rope_fused_kernelIfN3c108BFloat16ELb0EttLNS_18Fp8KVCacheDataTypeE0EEEvPKlPT_S7_PKS6_PKT0_illlliPT3_S5_iiiiPKf, .Lfunc_end23-_ZN4vllm38concat_and_cache_mla_rope_fused_kernelIfN3c108BFloat16ELb0EttLNS_18Fp8KVCacheDataTypeE0EEEvPKlPT_S7_PKS6_PKT0_illlliPT3_S5_iiiiPKf
                                        ; -- End function
	.section	.AMDGPU.csdata,"",@progbits
; Kernel info:
; codeLenInByte = 2008
; NumSgprs: 47
; NumVgprs: 20
; NumAgprs: 0
; TotalNumVgprs: 20
; ScratchSize: 0
; MemoryBound: 0
; FloatMode: 240
; IeeeMode: 1
; LDSByteSize: 0 bytes/workgroup (compile time only)
; SGPRBlocks: 5
; VGPRBlocks: 2
; NumSGPRsForWavesPerEU: 47
; NumVGPRsForWavesPerEU: 20
; AccumOffset: 20
; Occupancy: 8
; WaveLimiterHint : 1
; COMPUTE_PGM_RSRC2:SCRATCH_EN: 0
; COMPUTE_PGM_RSRC2:USER_SGPR: 6
; COMPUTE_PGM_RSRC2:TRAP_HANDLER: 0
; COMPUTE_PGM_RSRC2:TGID_X_EN: 1
; COMPUTE_PGM_RSRC2:TGID_Y_EN: 0
; COMPUTE_PGM_RSRC2:TGID_Z_EN: 0
; COMPUTE_PGM_RSRC2:TIDIG_COMP_CNT: 0
; COMPUTE_PGM_RSRC3_GFX90A:ACCUM_OFFSET: 4
; COMPUTE_PGM_RSRC3_GFX90A:TG_SPLIT: 0
	.section	.text._ZN4vllm38concat_and_cache_mla_rope_fused_kernelIN3c104HalfEfLb1EttLNS_18Fp8KVCacheDataTypeE0EEEvPKlPT_S7_PKS6_PKT0_illlliPT3_S5_iiiiPKf,"axG",@progbits,_ZN4vllm38concat_and_cache_mla_rope_fused_kernelIN3c104HalfEfLb1EttLNS_18Fp8KVCacheDataTypeE0EEEvPKlPT_S7_PKS6_PKT0_illlliPT3_S5_iiiiPKf,comdat
	.protected	_ZN4vllm38concat_and_cache_mla_rope_fused_kernelIN3c104HalfEfLb1EttLNS_18Fp8KVCacheDataTypeE0EEEvPKlPT_S7_PKS6_PKT0_illlliPT3_S5_iiiiPKf ; -- Begin function _ZN4vllm38concat_and_cache_mla_rope_fused_kernelIN3c104HalfEfLb1EttLNS_18Fp8KVCacheDataTypeE0EEEvPKlPT_S7_PKS6_PKT0_illlliPT3_S5_iiiiPKf
	.globl	_ZN4vllm38concat_and_cache_mla_rope_fused_kernelIN3c104HalfEfLb1EttLNS_18Fp8KVCacheDataTypeE0EEEvPKlPT_S7_PKS6_PKT0_illlliPT3_S5_iiiiPKf
	.p2align	8
	.type	_ZN4vllm38concat_and_cache_mla_rope_fused_kernelIN3c104HalfEfLb1EttLNS_18Fp8KVCacheDataTypeE0EEEvPKlPT_S7_PKS6_PKT0_illlliPT3_S5_iiiiPKf,@function
_ZN4vllm38concat_and_cache_mla_rope_fused_kernelIN3c104HalfEfLb1EttLNS_18Fp8KVCacheDataTypeE0EEEvPKlPT_S7_PKS6_PKT0_illlliPT3_S5_iiiiPKf: ; @_ZN4vllm38concat_and_cache_mla_rope_fused_kernelIN3c104HalfEfLb1EttLNS_18Fp8KVCacheDataTypeE0EEEvPKlPT_S7_PKS6_PKT0_illlliPT3_S5_iiiiPKf
; %bb.0:
	s_load_dwordx2 s[2:3], s[4:5], 0x60
	s_mov_b32 s7, 0
	s_lshl_b64 s[0:1], s[6:7], 3
	s_waitcnt lgkmcnt(0)
	s_add_u32 s2, s2, s0
	s_addc_u32 s3, s3, s1
	s_load_dwordx2 s[26:27], s[2:3], 0x0
	s_waitcnt lgkmcnt(0)
	v_cmp_lt_i64_e64 s[2:3], s[26:27], 0
	s_and_b64 vcc, exec, s[2:3]
	s_cbranch_vccnz .LBB24_13
; %bb.1:
	s_load_dword s7, s[4:5], 0x28
	s_load_dwordx2 s[2:3], s[4:5], 0x0
	s_load_dwordx4 s[16:19], s[4:5], 0x10
	s_waitcnt lgkmcnt(0)
	s_ashr_i32 s24, s7, 31
	s_add_u32 s0, s2, s0
	s_addc_u32 s1, s3, s1
	s_load_dwordx2 s[20:21], s[0:1], 0x0
	s_load_dwordx2 s[22:23], s[4:5], 0x20
	s_load_dwordx8 s[8:15], s[4:5], 0x30
	s_load_dwordx2 s[2:3], s[4:5], 0x58
	s_load_dword s28, s[4:5], 0x50
	s_waitcnt lgkmcnt(0)
	s_mul_i32 s0, s20, s24
	s_mul_hi_u32 s1, s20, s7
	s_mul_i32 s21, s21, s7
	s_add_i32 s0, s1, s0
	s_add_i32 s25, s0, s21
	s_lshr_b32 s0, s7, 31
	s_mul_i32 s24, s20, s7
	s_add_i32 s7, s7, s0
	s_ashr_i32 s20, s7, 1
	s_mul_i32 s7, s20, s28
	v_cmp_gt_i32_e32 vcc, s7, v0
	s_and_saveexec_b64 s[0:1], vcc
	s_cbranch_execz .LBB24_4
; %bb.2:
	s_lshl_b64 s[28:29], s[24:25], 2
	s_add_u32 s33, s22, s28
	s_addc_u32 s30, s23, s29
	s_load_dwordx2 s[28:29], s[4:5], 0x8
	s_mul_i32 s9, s6, s9
	s_mul_hi_u32 s31, s6, s8
	s_add_i32 s9, s31, s9
	s_load_dword s31, s[4:5], 0x8c
	s_mul_i32 s8, s6, s8
	s_ashr_i32 s21, s20, 31
	s_lshl_b64 s[8:9], s[8:9], 1
	s_waitcnt lgkmcnt(0)
	s_add_u32 s34, s28, s8
	s_addc_u32 s38, s29, s9
	s_abs_i32 s35, s20
	v_cvt_f32_u32_e32 v1, s35
	s_sub_i32 s8, 0, s35
	s_and_b32 s36, s31, 0xffff
	v_mov_b32_e32 v3, s30
	v_rcp_iflag_f32_e32 v1, v1
	s_lshl_b64 s[28:29], s[20:21], 2
	s_lshl_b64 s[30:31], s[20:21], 1
	s_sub_i32 s37, 0, s20
	v_mul_f32_e32 v1, 0x4f7ffffe, v1
	v_cvt_u32_f32_e32 v1, v1
	v_mov_b32_e32 v4, s29
	v_mov_b32_e32 v5, s38
	;; [unrolled: 1-line block ×3, first 2 shown]
	v_mul_lo_u32 v2, s8, v1
	v_mul_hi_u32 v2, v1, v2
	v_add_u32_e32 v1, v1, v2
	s_mov_b64 s[8:9], 0
	v_mov_b32_e32 v2, v0
.LBB24_3:                               ; =>This Inner Loop Header: Depth=1
	v_sub_u32_e32 v8, 0, v2
	v_max_i32_e32 v8, v2, v8
	v_mul_hi_u32 v9, v8, v1
	v_mul_lo_u32 v10, v9, s35
	v_sub_u32_e32 v8, v8, v10
	v_add_u32_e32 v11, 1, v9
	v_cmp_le_u32_e32 vcc, s35, v8
	v_subrev_u32_e32 v10, s35, v8
	v_cndmask_b32_e32 v9, v9, v11, vcc
	v_cndmask_b32_e32 v8, v8, v10, vcc
	v_ashrrev_i32_e32 v7, 31, v2
	v_add_u32_e32 v10, 1, v9
	v_cmp_le_u32_e32 vcc, s35, v8
	v_xor_b32_e32 v7, s21, v7
	v_cndmask_b32_e32 v8, v9, v10, vcc
	v_xor_b32_e32 v8, v8, v7
	v_sub_u32_e32 v7, v8, v7
	v_mad_u64_u32 v[8:9], s[38:39], s37, v7, v[2:3]
	v_ashrrev_i32_e32 v12, 31, v7
	v_ashrrev_i32_e32 v9, 31, v8
	v_mul_lo_u32 v14, v7, s11
	v_mad_u64_u32 v[10:11], s[38:39], v7, s10, 0
	v_mul_lo_u32 v7, v12, s10
	v_lshlrev_b64 v[12:13], 2, v[8:9]
	v_add_co_u32_e32 v12, vcc, s33, v12
	v_addc_co_u32_e32 v13, vcc, v3, v13, vcc
	v_add3_u32 v11, v11, v14, v7
	v_add_co_u32_e32 v14, vcc, s28, v12
	v_lshlrev_b64 v[10:11], 1, v[10:11]
	v_addc_co_u32_e32 v15, vcc, v13, v4, vcc
	v_add_co_u32_e32 v7, vcc, s34, v10
	v_lshlrev_b64 v[8:9], 1, v[8:9]
	v_addc_co_u32_e32 v10, vcc, v5, v11, vcc
	global_load_dword v16, v[12:13], off
	global_load_dword v17, v[14:15], off
	v_add_co_u32_e32 v8, vcc, v7, v8
	v_addc_co_u32_e32 v9, vcc, v10, v9, vcc
	v_add_co_u32_e32 v10, vcc, s30, v8
	v_addc_co_u32_e32 v11, vcc, v9, v6, vcc
	global_load_ushort v7, v[8:9], off
	global_load_ushort v12, v[10:11], off
	v_add_u32_e32 v2, s36, v2
	v_cmp_le_i32_e32 vcc, s7, v2
	s_or_b64 s[8:9], vcc, s[8:9]
	s_waitcnt vmcnt(3)
	v_cvt_f16_f32_e32 v13, v16
	s_waitcnt vmcnt(2)
	v_cvt_f16_f32_e32 v14, v17
	s_waitcnt vmcnt(0)
	v_mul_f16_e32 v15, v12, v13
	v_mul_f16_e32 v12, v12, v14
	v_fma_f16 v14, v7, v14, v15
	v_fma_f16 v7, v7, v13, -v12
	global_store_short v[8:9], v7, off
	global_store_short v[10:11], v14, off
	s_andn2_b64 exec, exec, s[8:9]
	s_cbranch_execnz .LBB24_3
.LBB24_4:
	s_or_b64 exec, exec, s[0:1]
	s_load_dwordx4 s[8:11], s[4:5], 0x68
	s_waitcnt lgkmcnt(0)
	s_ashr_i32 s31, s11, 31
	s_mov_b32 s30, s11
	s_or_b64 s[0:1], s[26:27], s[30:31]
	s_mov_b32 s0, 0
	s_cmp_lg_u64 s[0:1], 0
	s_cbranch_scc0 .LBB24_14
; %bb.5:
	s_add_u32 s0, s30, s31
	s_mov_b32 s28, s31
	s_mov_b32 s29, s31
	s_addc_u32 s1, s31, s31
	s_xor_b64 s[36:37], s[0:1], s[28:29]
	v_cvt_f32_u32_e32 v1, s36
	v_cvt_f32_u32_e32 v2, s37
	s_sub_u32 s0, 0, s36
	s_subb_u32 s1, 0, s37
	v_madmk_f32 v1, v2, 0x4f800000, v1
	v_rcp_f32_e32 v1, v1
	v_mul_f32_e32 v1, 0x5f7ffffc, v1
	v_mul_f32_e32 v2, 0x2f800000, v1
	v_trunc_f32_e32 v2, v2
	v_madmk_f32 v1, v2, 0xcf800000, v1
	v_cvt_u32_f32_e32 v2, v2
	v_cvt_u32_f32_e32 v1, v1
	v_readfirstlane_b32 s7, v2
	v_readfirstlane_b32 s11, v1
	s_mul_i32 s21, s0, s7
	s_mul_hi_u32 s38, s0, s11
	s_mul_i32 s33, s1, s11
	s_add_i32 s21, s38, s21
	s_add_i32 s21, s21, s33
	s_mul_i32 s39, s0, s11
	s_mul_hi_u32 s33, s11, s21
	s_mul_i32 s38, s11, s21
	s_mul_hi_u32 s11, s11, s39
	s_add_u32 s11, s11, s38
	s_addc_u32 s33, 0, s33
	s_mul_hi_u32 s40, s7, s39
	s_mul_i32 s39, s7, s39
	s_add_u32 s11, s11, s39
	s_mul_hi_u32 s38, s7, s21
	s_addc_u32 s11, s33, s40
	s_addc_u32 s33, s38, 0
	s_mul_i32 s21, s7, s21
	s_add_u32 s11, s11, s21
	s_addc_u32 s21, 0, s33
	v_add_co_u32_e32 v1, vcc, s11, v1
	s_cmp_lg_u64 vcc, 0
	s_addc_u32 s7, s7, s21
	v_readfirstlane_b32 s21, v1
	s_mul_i32 s11, s0, s7
	s_mul_hi_u32 s33, s0, s21
	s_add_i32 s11, s33, s11
	s_mul_i32 s1, s1, s21
	s_add_i32 s11, s11, s1
	s_mul_i32 s0, s0, s21
	s_mul_hi_u32 s33, s7, s0
	s_mul_i32 s38, s7, s0
	s_mul_i32 s40, s21, s11
	s_mul_hi_u32 s0, s21, s0
	s_mul_hi_u32 s39, s21, s11
	s_add_u32 s0, s0, s40
	s_addc_u32 s21, 0, s39
	s_add_u32 s0, s0, s38
	s_mul_hi_u32 s1, s7, s11
	s_addc_u32 s0, s21, s33
	s_addc_u32 s1, s1, 0
	s_mul_i32 s11, s7, s11
	s_add_u32 s0, s0, s11
	s_addc_u32 s1, 0, s1
	v_add_co_u32_e32 v1, vcc, s0, v1
	s_cmp_lg_u64 vcc, 0
	s_addc_u32 s7, s7, s1
	s_ashr_i32 s38, s27, 31
	s_add_u32 s0, s26, s38
	s_mov_b32 s39, s38
	s_addc_u32 s1, s27, s38
	s_xor_b64 s[40:41], s[0:1], s[38:39]
	v_readfirstlane_b32 s11, v1
	s_mul_i32 s1, s40, s7
	s_mul_hi_u32 s21, s40, s11
	s_mul_hi_u32 s0, s40, s7
	s_add_u32 s1, s21, s1
	s_addc_u32 s0, 0, s0
	s_mul_hi_u32 s33, s41, s11
	s_mul_i32 s11, s41, s11
	s_add_u32 s1, s1, s11
	s_mul_hi_u32 s21, s41, s7
	s_addc_u32 s0, s0, s33
	s_addc_u32 s1, s21, 0
	s_mul_i32 s7, s41, s7
	s_add_u32 s7, s0, s7
	s_addc_u32 s11, 0, s1
	s_mul_i32 s0, s36, s11
	s_mul_hi_u32 s1, s36, s7
	s_add_i32 s0, s1, s0
	s_mul_i32 s1, s37, s7
	s_add_i32 s21, s0, s1
	s_mul_i32 s1, s36, s7
	v_mov_b32_e32 v1, s1
	s_sub_i32 s0, s41, s21
	v_sub_co_u32_e32 v1, vcc, s40, v1
	s_cmp_lg_u64 vcc, 0
	s_subb_u32 s33, s0, s37
	v_subrev_co_u32_e64 v2, s[0:1], s36, v1
	s_cmp_lg_u64 s[0:1], 0
	s_subb_u32 s0, s33, 0
	s_cmp_ge_u32 s0, s37
	v_readfirstlane_b32 s33, v2
	s_cselect_b32 s1, -1, 0
	s_cmp_ge_u32 s33, s36
	s_cselect_b32 s33, -1, 0
	s_cmp_eq_u32 s0, s37
	s_cselect_b32 s0, s33, s1
	s_add_u32 s1, s7, 1
	s_addc_u32 s33, s11, 0
	s_add_u32 s40, s7, 2
	s_addc_u32 s42, s11, 0
	s_cmp_lg_u32 s0, 0
	s_cselect_b32 s0, s40, s1
	s_cselect_b32 s1, s42, s33
	s_cmp_lg_u64 vcc, 0
	s_subb_u32 s21, s41, s21
	s_cmp_ge_u32 s21, s37
	v_readfirstlane_b32 s40, v1
	s_cselect_b32 s33, -1, 0
	s_cmp_ge_u32 s40, s36
	s_cselect_b32 s36, -1, 0
	s_cmp_eq_u32 s21, s37
	s_cselect_b32 s21, s36, s33
	s_cmp_lg_u32 s21, 0
	s_cselect_b32 s1, s1, s11
	s_cselect_b32 s0, s0, s7
	s_xor_b64 s[28:29], s[38:39], s[28:29]
	s_xor_b64 s[0:1], s[0:1], s[28:29]
	s_sub_u32 s28, s0, s28
	s_subb_u32 s29, s1, s29
	s_cbranch_execnz .LBB24_7
.LBB24_6:
	v_cvt_f32_u32_e32 v1, s30
	s_sub_i32 s0, 0, s30
	s_mov_b32 s29, 0
	v_rcp_iflag_f32_e32 v1, v1
	v_mul_f32_e32 v1, 0x4f7ffffe, v1
	v_cvt_u32_f32_e32 v1, v1
	v_readfirstlane_b32 s1, v1
	s_mul_i32 s0, s0, s1
	s_mul_hi_u32 s0, s1, s0
	s_add_i32 s1, s1, s0
	s_mul_hi_u32 s0, s26, s1
	s_mul_i32 s7, s0, s30
	s_sub_i32 s7, s26, s7
	s_add_i32 s1, s0, 1
	s_sub_i32 s11, s7, s30
	s_cmp_ge_u32 s7, s30
	s_cselect_b32 s0, s1, s0
	s_cselect_b32 s7, s11, s7
	s_add_i32 s1, s0, 1
	s_cmp_ge_u32 s7, s30
	s_cselect_b32 s28, s1, s0
.LBB24_7:
	s_mul_i32 s0, s28, s31
	s_mul_hi_u32 s1, s28, s30
	s_add_i32 s0, s1, s0
	s_mul_i32 s1, s29, s30
	s_add_i32 s0, s0, s1
	s_mul_i32 s1, s28, s30
	s_sub_u32 s33, s26, s1
	s_subb_u32 s7, s27, s0
	v_cmp_gt_i32_e32 vcc, s20, v0
	s_mul_hi_u32 s36, s28, s8
	s_mul_i32 s37, s29, s8
	s_mul_i32 s30, s28, s8
	s_mul_hi_u32 s29, s33, s9
	s_mul_i32 s7, s7, s9
	s_mul_i32 s26, s33, s9
	s_and_saveexec_b64 s[34:35], vcc
	s_cbranch_execz .LBB24_10
; %bb.8:
	s_mul_i32 s0, s6, s13
	s_mul_hi_u32 s1, s6, s12
	s_add_i32 s1, s1, s0
	s_mul_i32 s0, s6, s12
	s_ashr_i32 s21, s20, 31
	s_lshl_b64 s[0:1], s[0:1], 1
	s_add_u32 s38, s16, s0
	s_addc_u32 s39, s17, s1
	s_ashr_i32 s11, s8, 31
	s_mul_i32 s11, s28, s11
	s_add_i32 s11, s36, s11
	s_add_i32 s31, s11, s37
	s_ashr_i32 s11, s9, 31
	s_mul_i32 s11, s33, s11
	s_add_i32 s11, s29, s11
	s_add_i32 s27, s11, s7
	s_lshl_b64 s[12:13], s[30:31], 1
	s_lshl_b64 s[40:41], s[26:27], 1
	s_add_u32 s44, s12, s40
	s_addc_u32 s45, s13, s41
	s_load_dword s31, s[4:5], 0x8c
	s_add_u32 s12, s44, s2
	s_addc_u32 s13, s45, s3
	s_ashr_i32 s11, s10, 31
	s_lshl_b64 s[40:41], s[10:11], 1
	s_add_u32 s11, s12, s40
	s_addc_u32 s27, s13, s41
	s_waitcnt lgkmcnt(0)
	s_and_b32 s31, s31, 0xffff
	s_lshl_b64 s[12:13], s[24:25], 2
	s_add_u32 s12, s22, s12
	v_lshlrev_b32_e32 v1, 2, v0
	s_addc_u32 s13, s23, s13
	v_mov_b32_e32 v3, s13
	v_add_co_u32_e32 v2, vcc, s12, v1
	s_lshl_b32 s22, s31, 2
	s_lshl_b64 s[12:13], s[20:21], 2
	s_lshl_b64 s[42:43], s[20:21], 1
	s_add_u32 s0, s0, s42
	s_addc_u32 s1, s1, s43
	s_add_u32 s21, s16, s0
	s_addc_u32 s23, s17, s1
	s_lshl_b32 s24, s31, 1
	s_add_u32 s0, s44, s42
	s_addc_u32 s1, s45, s43
	s_add_u32 s0, s0, s40
	s_addc_u32 s1, s1, s41
	s_mov_b32 s46, 0
	s_add_u32 s25, s2, s0
	v_addc_co_u32_e32 v3, vcc, 0, v3, vcc
	v_lshlrev_b32_e32 v4, 1, v0
	s_addc_u32 s40, s3, s1
	s_mov_b64 s[16:17], 0
	v_mov_b32_e32 v1, s13
	v_mov_b32_e32 v5, s46
	;; [unrolled: 1-line block ×3, first 2 shown]
.LBB24_9:                               ; =>This Inner Loop Header: Depth=1
	v_add_co_u32_e32 v8, vcc, s12, v2
	v_addc_co_u32_e32 v9, vcc, v3, v1, vcc
	global_load_dword v7, v[2:3], off
	global_load_dword v16, v[8:9], off
	v_mov_b32_e32 v11, s39
	v_mov_b32_e32 v14, s23
	v_add_co_u32_e32 v10, vcc, s21, v4
	v_add_co_u32_e64 v12, s[0:1], s38, v4
	v_addc_co_u32_e64 v13, s[0:1], 0, v11, s[0:1]
	v_addc_co_u32_e32 v11, vcc, 0, v14, vcc
	global_load_ushort v17, v[10:11], off
	global_load_ushort v18, v[12:13], off
	s_add_u32 s21, s21, s24
	s_addc_u32 s23, s23, 0
	s_add_u32 s38, s38, s24
	v_add_co_u32_e64 v2, s[0:1], s22, v2
	s_addc_u32 s39, s39, 0
	v_add_co_u32_e32 v8, vcc, s25, v4
	v_addc_co_u32_e64 v3, s[0:1], v3, v5, s[0:1]
	s_add_u32 s25, s25, s24
	v_mov_b32_e32 v9, s27
	v_mov_b32_e32 v19, s40
	v_add_co_u32_e64 v14, s[0:1], s11, v4
	s_addc_u32 s40, s40, 0
	v_add_u32_e32 v6, s31, v6
	v_addc_co_u32_e64 v15, s[0:1], 0, v9, s[0:1]
	v_addc_co_u32_e32 v9, vcc, 0, v19, vcc
	s_add_u32 s11, s11, s24
	v_cmp_le_i32_e32 vcc, s20, v6
	s_addc_u32 s27, s27, 0
	s_or_b64 s[16:17], vcc, s[16:17]
	s_waitcnt vmcnt(3)
	v_cvt_f16_f32_e32 v7, v7
	s_waitcnt vmcnt(2)
	v_cvt_f16_f32_e32 v16, v16
	s_waitcnt vmcnt(1)
	v_mul_f16_e32 v19, v17, v7
	v_mul_f16_e32 v17, v17, v16
	s_waitcnt vmcnt(0)
	v_fma_f16 v7, v18, v7, -v17
	v_fma_f16 v16, v18, v16, v19
	global_store_short v[12:13], v7, off
	global_store_short v[10:11], v16, off
	;; [unrolled: 1-line block ×4, first 2 shown]
	s_andn2_b64 exec, exec, s[16:17]
	s_cbranch_execnz .LBB24_9
.LBB24_10:
	s_or_b64 exec, exec, s[34:35]
	v_cmp_gt_i32_e32 vcc, s10, v0
	s_and_saveexec_b64 s[0:1], vcc
	s_cbranch_execz .LBB24_13
; %bb.11:
	s_mul_i32 s0, s6, s15
	s_mul_hi_u32 s1, s6, s14
	s_add_i32 s1, s1, s0
	s_mul_i32 s0, s6, s14
	s_lshl_b64 s[0:1], s[0:1], 1
	s_add_u32 s6, s18, s0
	s_addc_u32 s11, s19, s1
	s_ashr_i32 s0, s8, 31
	s_mul_i32 s0, s28, s0
	s_add_i32 s0, s36, s0
	s_add_i32 s31, s0, s37
	s_lshl_b64 s[0:1], s[30:31], 1
	s_add_u32 s2, s2, s0
	s_addc_u32 s3, s3, s1
	s_ashr_i32 s0, s9, 31
	s_mul_i32 s33, s33, s0
	s_add_i32 s0, s29, s33
	s_load_dword s4, s[4:5], 0x8c
	s_add_i32 s27, s0, s7
	s_lshl_b64 s[0:1], s[26:27], 1
	s_add_u32 s2, s2, s0
	s_addc_u32 s5, s3, s1
	s_waitcnt lgkmcnt(0)
	s_and_b32 s3, s4, 0xffff
	s_mov_b64 s[0:1], 0
	v_mov_b32_e32 v2, s11
	v_mov_b32_e32 v3, s5
.LBB24_12:                              ; =>This Inner Loop Header: Depth=1
	v_ashrrev_i32_e32 v1, 31, v0
	v_lshlrev_b64 v[4:5], 1, v[0:1]
	v_add_co_u32_e32 v6, vcc, s6, v4
	v_addc_co_u32_e32 v7, vcc, v2, v5, vcc
	global_load_ushort v1, v[6:7], off
	v_add_co_u32_e32 v4, vcc, s2, v4
	v_addc_co_u32_e32 v5, vcc, v3, v5, vcc
	v_add_u32_e32 v0, s3, v0
	v_cmp_le_i32_e32 vcc, s10, v0
	s_or_b64 s[0:1], vcc, s[0:1]
	s_waitcnt vmcnt(0)
	global_store_short v[4:5], v1, off
	s_andn2_b64 exec, exec, s[0:1]
	s_cbranch_execnz .LBB24_12
.LBB24_13:
	s_endpgm
.LBB24_14:
                                        ; implicit-def: $sgpr28_sgpr29
	s_branch .LBB24_6
	.section	.rodata,"a",@progbits
	.p2align	6, 0x0
	.amdhsa_kernel _ZN4vllm38concat_and_cache_mla_rope_fused_kernelIN3c104HalfEfLb1EttLNS_18Fp8KVCacheDataTypeE0EEEvPKlPT_S7_PKS6_PKT0_illlliPT3_S5_iiiiPKf
		.amdhsa_group_segment_fixed_size 0
		.amdhsa_private_segment_fixed_size 0
		.amdhsa_kernarg_size 384
		.amdhsa_user_sgpr_count 6
		.amdhsa_user_sgpr_private_segment_buffer 1
		.amdhsa_user_sgpr_dispatch_ptr 0
		.amdhsa_user_sgpr_queue_ptr 0
		.amdhsa_user_sgpr_kernarg_segment_ptr 1
		.amdhsa_user_sgpr_dispatch_id 0
		.amdhsa_user_sgpr_flat_scratch_init 0
		.amdhsa_user_sgpr_kernarg_preload_length 0
		.amdhsa_user_sgpr_kernarg_preload_offset 0
		.amdhsa_user_sgpr_private_segment_size 0
		.amdhsa_uses_dynamic_stack 0
		.amdhsa_system_sgpr_private_segment_wavefront_offset 0
		.amdhsa_system_sgpr_workgroup_id_x 1
		.amdhsa_system_sgpr_workgroup_id_y 0
		.amdhsa_system_sgpr_workgroup_id_z 0
		.amdhsa_system_sgpr_workgroup_info 0
		.amdhsa_system_vgpr_workitem_id 0
		.amdhsa_next_free_vgpr 20
		.amdhsa_next_free_sgpr 47
		.amdhsa_accum_offset 20
		.amdhsa_reserve_vcc 1
		.amdhsa_reserve_flat_scratch 0
		.amdhsa_float_round_mode_32 0
		.amdhsa_float_round_mode_16_64 0
		.amdhsa_float_denorm_mode_32 3
		.amdhsa_float_denorm_mode_16_64 3
		.amdhsa_dx10_clamp 1
		.amdhsa_ieee_mode 1
		.amdhsa_fp16_overflow 0
		.amdhsa_tg_split 0
		.amdhsa_exception_fp_ieee_invalid_op 0
		.amdhsa_exception_fp_denorm_src 0
		.amdhsa_exception_fp_ieee_div_zero 0
		.amdhsa_exception_fp_ieee_overflow 0
		.amdhsa_exception_fp_ieee_underflow 0
		.amdhsa_exception_fp_ieee_inexact 0
		.amdhsa_exception_int_div_zero 0
	.end_amdhsa_kernel
	.section	.text._ZN4vllm38concat_and_cache_mla_rope_fused_kernelIN3c104HalfEfLb1EttLNS_18Fp8KVCacheDataTypeE0EEEvPKlPT_S7_PKS6_PKT0_illlliPT3_S5_iiiiPKf,"axG",@progbits,_ZN4vllm38concat_and_cache_mla_rope_fused_kernelIN3c104HalfEfLb1EttLNS_18Fp8KVCacheDataTypeE0EEEvPKlPT_S7_PKS6_PKT0_illlliPT3_S5_iiiiPKf,comdat
.Lfunc_end24:
	.size	_ZN4vllm38concat_and_cache_mla_rope_fused_kernelIN3c104HalfEfLb1EttLNS_18Fp8KVCacheDataTypeE0EEEvPKlPT_S7_PKS6_PKT0_illlliPT3_S5_iiiiPKf, .Lfunc_end24-_ZN4vllm38concat_and_cache_mla_rope_fused_kernelIN3c104HalfEfLb1EttLNS_18Fp8KVCacheDataTypeE0EEEvPKlPT_S7_PKS6_PKT0_illlliPT3_S5_iiiiPKf
                                        ; -- End function
	.section	.AMDGPU.csdata,"",@progbits
; Kernel info:
; codeLenInByte = 2088
; NumSgprs: 51
; NumVgprs: 20
; NumAgprs: 0
; TotalNumVgprs: 20
; ScratchSize: 0
; MemoryBound: 0
; FloatMode: 240
; IeeeMode: 1
; LDSByteSize: 0 bytes/workgroup (compile time only)
; SGPRBlocks: 6
; VGPRBlocks: 2
; NumSGPRsForWavesPerEU: 51
; NumVGPRsForWavesPerEU: 20
; AccumOffset: 20
; Occupancy: 8
; WaveLimiterHint : 1
; COMPUTE_PGM_RSRC2:SCRATCH_EN: 0
; COMPUTE_PGM_RSRC2:USER_SGPR: 6
; COMPUTE_PGM_RSRC2:TRAP_HANDLER: 0
; COMPUTE_PGM_RSRC2:TGID_X_EN: 1
; COMPUTE_PGM_RSRC2:TGID_Y_EN: 0
; COMPUTE_PGM_RSRC2:TGID_Z_EN: 0
; COMPUTE_PGM_RSRC2:TIDIG_COMP_CNT: 0
; COMPUTE_PGM_RSRC3_GFX90A:ACCUM_OFFSET: 4
; COMPUTE_PGM_RSRC3_GFX90A:TG_SPLIT: 0
	.section	.text._ZN4vllm38concat_and_cache_mla_rope_fused_kernelIN3c104HalfEfLb0EttLNS_18Fp8KVCacheDataTypeE0EEEvPKlPT_S7_PKS6_PKT0_illlliPT3_S5_iiiiPKf,"axG",@progbits,_ZN4vllm38concat_and_cache_mla_rope_fused_kernelIN3c104HalfEfLb0EttLNS_18Fp8KVCacheDataTypeE0EEEvPKlPT_S7_PKS6_PKT0_illlliPT3_S5_iiiiPKf,comdat
	.protected	_ZN4vllm38concat_and_cache_mla_rope_fused_kernelIN3c104HalfEfLb0EttLNS_18Fp8KVCacheDataTypeE0EEEvPKlPT_S7_PKS6_PKT0_illlliPT3_S5_iiiiPKf ; -- Begin function _ZN4vllm38concat_and_cache_mla_rope_fused_kernelIN3c104HalfEfLb0EttLNS_18Fp8KVCacheDataTypeE0EEEvPKlPT_S7_PKS6_PKT0_illlliPT3_S5_iiiiPKf
	.globl	_ZN4vllm38concat_and_cache_mla_rope_fused_kernelIN3c104HalfEfLb0EttLNS_18Fp8KVCacheDataTypeE0EEEvPKlPT_S7_PKS6_PKT0_illlliPT3_S5_iiiiPKf
	.p2align	8
	.type	_ZN4vllm38concat_and_cache_mla_rope_fused_kernelIN3c104HalfEfLb0EttLNS_18Fp8KVCacheDataTypeE0EEEvPKlPT_S7_PKS6_PKT0_illlliPT3_S5_iiiiPKf,@function
_ZN4vllm38concat_and_cache_mla_rope_fused_kernelIN3c104HalfEfLb0EttLNS_18Fp8KVCacheDataTypeE0EEEvPKlPT_S7_PKS6_PKT0_illlliPT3_S5_iiiiPKf: ; @_ZN4vllm38concat_and_cache_mla_rope_fused_kernelIN3c104HalfEfLb0EttLNS_18Fp8KVCacheDataTypeE0EEEvPKlPT_S7_PKS6_PKT0_illlliPT3_S5_iiiiPKf
; %bb.0:
	s_load_dwordx2 s[2:3], s[4:5], 0x60
	s_mov_b32 s7, 0
	s_lshl_b64 s[0:1], s[6:7], 3
	s_waitcnt lgkmcnt(0)
	s_add_u32 s2, s2, s0
	s_addc_u32 s3, s3, s1
	s_load_dwordx2 s[24:25], s[2:3], 0x0
	s_waitcnt lgkmcnt(0)
	v_cmp_lt_i64_e64 s[2:3], s[24:25], 0
	s_and_b64 vcc, exec, s[2:3]
	s_cbranch_vccnz .LBB25_13
; %bb.1:
	s_load_dword s7, s[4:5], 0x28
	s_load_dwordx2 s[2:3], s[4:5], 0x0
	s_load_dwordx4 s[16:19], s[4:5], 0x10
	s_waitcnt lgkmcnt(0)
	s_ashr_i32 s26, s7, 31
	s_add_u32 s0, s2, s0
	s_addc_u32 s1, s3, s1
	s_load_dwordx2 s[22:23], s[0:1], 0x0
	s_load_dwordx2 s[2:3], s[4:5], 0x20
	s_load_dwordx8 s[8:15], s[4:5], 0x30
	s_load_dwordx2 s[20:21], s[4:5], 0x58
	s_load_dword s28, s[4:5], 0x50
	s_waitcnt lgkmcnt(0)
	s_mul_i32 s0, s22, s26
	s_mul_hi_u32 s1, s22, s7
	s_mul_i32 s23, s23, s7
	s_add_i32 s0, s1, s0
	s_add_i32 s27, s0, s23
	s_lshr_b32 s0, s7, 31
	s_mul_i32 s26, s22, s7
	s_add_i32 s7, s7, s0
	s_ashr_i32 s22, s7, 1
	s_mul_i32 s7, s22, s28
	v_cmp_gt_i32_e32 vcc, s7, v0
	s_and_saveexec_b64 s[0:1], vcc
	s_cbranch_execz .LBB25_4
; %bb.2:
	s_lshl_b64 s[28:29], s[26:27], 2
	s_add_u32 s30, s2, s28
	s_addc_u32 s38, s3, s29
	s_load_dwordx2 s[28:29], s[4:5], 0x8
	s_load_dword s34, s[4:5], 0x8c
	s_mul_i32 s9, s6, s9
	s_mul_hi_u32 s31, s6, s8
	s_add_i32 s9, s31, s9
	s_mul_i32 s8, s6, s8
	s_ashr_i32 s23, s22, 31
	s_lshl_b64 s[8:9], s[8:9], 1
	s_waitcnt lgkmcnt(0)
	s_add_u32 s31, s28, s8
	s_addc_u32 s39, s29, s9
	s_abs_i32 s33, s22
	v_cvt_f32_u32_e32 v1, s33
	s_sub_i32 s8, 0, s33
	s_and_b32 s34, s34, 0xffff
	s_lshl_b64 s[28:29], s[22:23], 2
	v_rcp_iflag_f32_e32 v1, v1
	s_sub_i32 s35, 0, s22
	s_lshl_b32 s37, s34, 1
	v_mov_b32_e32 v3, s38
	v_mul_f32_e32 v1, 0x4f7ffffe, v1
	v_cvt_u32_f32_e32 v1, v1
	v_mov_b32_e32 v5, s29
	v_mov_b32_e32 v6, s39
	;; [unrolled: 1-line block ×3, first 2 shown]
	v_mul_lo_u32 v2, s8, v1
	v_mul_hi_u32 v2, v1, v2
	s_lshl_b32 s8, s22, 1
	v_add_u32_e32 v1, v1, v2
	s_sub_i32 s36, 0, s8
	v_lshlrev_b32_e32 v2, 1, v0
	s_mov_b64 s[8:9], 0
.LBB25_3:                               ; =>This Inner Loop Header: Depth=1
	v_sub_u32_e32 v8, 0, v4
	v_max_i32_e32 v8, v4, v8
	v_mul_hi_u32 v9, v8, v1
	v_mul_lo_u32 v10, v9, s33
	v_sub_u32_e32 v8, v8, v10
	v_add_u32_e32 v11, 1, v9
	v_cmp_le_u32_e32 vcc, s33, v8
	v_subrev_u32_e32 v10, s33, v8
	v_cndmask_b32_e32 v9, v9, v11, vcc
	v_cndmask_b32_e32 v8, v8, v10, vcc
	v_ashrrev_i32_e32 v7, 31, v4
	v_add_u32_e32 v10, 1, v9
	v_cmp_le_u32_e32 vcc, s33, v8
	v_xor_b32_e32 v7, s23, v7
	v_cndmask_b32_e32 v8, v9, v10, vcc
	v_xor_b32_e32 v8, v8, v7
	v_sub_u32_e32 v7, v8, v7
	v_mad_u64_u32 v[8:9], s[38:39], s35, v7, v[4:5]
	v_ashrrev_i32_e32 v9, 31, v8
	v_lshlrev_b64 v[8:9], 2, v[8:9]
	v_ashrrev_i32_e32 v14, 31, v7
	v_add_co_u32_e32 v8, vcc, s30, v8
	v_mul_lo_u32 v15, v7, s11
	v_mad_u64_u32 v[10:11], s[38:39], v7, s10, 0
	v_mad_u64_u32 v[12:13], s[38:39], s36, v7, v[2:3]
	v_mul_lo_u32 v7, v14, s10
	v_addc_co_u32_e32 v9, vcc, v3, v9, vcc
	v_add3_u32 v11, v11, v15, v7
	v_add_co_u32_e32 v14, vcc, s28, v8
	v_lshlrev_b64 v[10:11], 1, v[10:11]
	v_addc_co_u32_e32 v15, vcc, v9, v5, vcc
	v_add_co_u32_e32 v7, vcc, s31, v10
	v_ashrrev_i32_e32 v13, 31, v12
	v_addc_co_u32_e32 v10, vcc, v6, v11, vcc
	global_load_dword v11, v[8:9], off
	global_load_dword v16, v[14:15], off
	v_lshlrev_b64 v[12:13], 1, v[12:13]
	v_add_co_u32_e32 v8, vcc, v7, v12
	v_addc_co_u32_e32 v9, vcc, v10, v13, vcc
	global_load_dword v7, v[8:9], off
	v_add_u32_e32 v4, s34, v4
	v_cmp_le_i32_e32 vcc, s7, v4
	v_add_u32_e32 v2, s37, v2
	s_or_b64 s[8:9], vcc, s[8:9]
	s_waitcnt vmcnt(2)
	v_cvt_f16_f32_e32 v10, v11
	s_waitcnt vmcnt(1)
	v_cvt_f16_f32_e32 v11, v16
	s_waitcnt vmcnt(0)
	v_mul_f16_sdwa v12, v7, v10 dst_sel:DWORD dst_unused:UNUSED_PAD src0_sel:WORD_1 src1_sel:DWORD
	v_mul_f16_sdwa v13, v7, v11 dst_sel:DWORD dst_unused:UNUSED_PAD src0_sel:WORD_1 src1_sel:DWORD
	v_fma_f16 v11, v7, v11, v12
	v_fma_f16 v7, v7, v10, -v13
	v_pack_b32_f16 v7, v7, v11
	global_store_dword v[8:9], v7, off
	s_andn2_b64 exec, exec, s[8:9]
	s_cbranch_execnz .LBB25_3
.LBB25_4:
	s_or_b64 exec, exec, s[0:1]
	s_load_dwordx4 s[8:11], s[4:5], 0x68
	s_waitcnt lgkmcnt(0)
	s_ashr_i32 s31, s11, 31
	s_mov_b32 s30, s11
	s_or_b64 s[0:1], s[24:25], s[30:31]
	s_mov_b32 s0, 0
	s_cmp_lg_u64 s[0:1], 0
	s_cbranch_scc0 .LBB25_14
; %bb.5:
	s_add_u32 s0, s30, s31
	s_mov_b32 s28, s31
	s_mov_b32 s29, s31
	s_addc_u32 s1, s31, s31
	s_xor_b64 s[36:37], s[0:1], s[28:29]
	v_cvt_f32_u32_e32 v1, s36
	v_cvt_f32_u32_e32 v2, s37
	s_sub_u32 s0, 0, s36
	s_subb_u32 s1, 0, s37
	v_madmk_f32 v1, v2, 0x4f800000, v1
	v_rcp_f32_e32 v1, v1
	v_mul_f32_e32 v1, 0x5f7ffffc, v1
	v_mul_f32_e32 v2, 0x2f800000, v1
	v_trunc_f32_e32 v2, v2
	v_madmk_f32 v1, v2, 0xcf800000, v1
	v_cvt_u32_f32_e32 v2, v2
	v_cvt_u32_f32_e32 v1, v1
	v_readfirstlane_b32 s7, v2
	v_readfirstlane_b32 s11, v1
	s_mul_i32 s23, s0, s7
	s_mul_hi_u32 s38, s0, s11
	s_mul_i32 s33, s1, s11
	s_add_i32 s23, s38, s23
	s_add_i32 s23, s23, s33
	s_mul_i32 s39, s0, s11
	s_mul_hi_u32 s33, s11, s23
	s_mul_i32 s38, s11, s23
	s_mul_hi_u32 s11, s11, s39
	s_add_u32 s11, s11, s38
	s_addc_u32 s33, 0, s33
	s_mul_hi_u32 s40, s7, s39
	s_mul_i32 s39, s7, s39
	s_add_u32 s11, s11, s39
	s_mul_hi_u32 s38, s7, s23
	s_addc_u32 s11, s33, s40
	s_addc_u32 s33, s38, 0
	s_mul_i32 s23, s7, s23
	s_add_u32 s11, s11, s23
	s_addc_u32 s23, 0, s33
	v_add_co_u32_e32 v1, vcc, s11, v1
	s_cmp_lg_u64 vcc, 0
	s_addc_u32 s7, s7, s23
	v_readfirstlane_b32 s23, v1
	s_mul_i32 s11, s0, s7
	s_mul_hi_u32 s33, s0, s23
	s_add_i32 s11, s33, s11
	s_mul_i32 s1, s1, s23
	s_add_i32 s11, s11, s1
	s_mul_i32 s0, s0, s23
	s_mul_hi_u32 s33, s7, s0
	s_mul_i32 s38, s7, s0
	s_mul_i32 s40, s23, s11
	s_mul_hi_u32 s0, s23, s0
	s_mul_hi_u32 s39, s23, s11
	s_add_u32 s0, s0, s40
	s_addc_u32 s23, 0, s39
	s_add_u32 s0, s0, s38
	s_mul_hi_u32 s1, s7, s11
	s_addc_u32 s0, s23, s33
	s_addc_u32 s1, s1, 0
	s_mul_i32 s11, s7, s11
	s_add_u32 s0, s0, s11
	s_addc_u32 s1, 0, s1
	v_add_co_u32_e32 v1, vcc, s0, v1
	s_cmp_lg_u64 vcc, 0
	s_addc_u32 s7, s7, s1
	s_ashr_i32 s38, s25, 31
	s_add_u32 s0, s24, s38
	s_mov_b32 s39, s38
	s_addc_u32 s1, s25, s38
	s_xor_b64 s[40:41], s[0:1], s[38:39]
	v_readfirstlane_b32 s11, v1
	s_mul_i32 s1, s40, s7
	s_mul_hi_u32 s23, s40, s11
	s_mul_hi_u32 s0, s40, s7
	s_add_u32 s1, s23, s1
	s_addc_u32 s0, 0, s0
	s_mul_hi_u32 s33, s41, s11
	s_mul_i32 s11, s41, s11
	s_add_u32 s1, s1, s11
	s_mul_hi_u32 s23, s41, s7
	s_addc_u32 s0, s0, s33
	s_addc_u32 s1, s23, 0
	s_mul_i32 s7, s41, s7
	s_add_u32 s7, s0, s7
	s_addc_u32 s11, 0, s1
	s_mul_i32 s0, s36, s11
	s_mul_hi_u32 s1, s36, s7
	s_add_i32 s0, s1, s0
	s_mul_i32 s1, s37, s7
	s_add_i32 s23, s0, s1
	s_mul_i32 s1, s36, s7
	v_mov_b32_e32 v1, s1
	s_sub_i32 s0, s41, s23
	v_sub_co_u32_e32 v1, vcc, s40, v1
	s_cmp_lg_u64 vcc, 0
	s_subb_u32 s33, s0, s37
	v_subrev_co_u32_e64 v2, s[0:1], s36, v1
	s_cmp_lg_u64 s[0:1], 0
	s_subb_u32 s0, s33, 0
	s_cmp_ge_u32 s0, s37
	v_readfirstlane_b32 s33, v2
	s_cselect_b32 s1, -1, 0
	s_cmp_ge_u32 s33, s36
	s_cselect_b32 s33, -1, 0
	s_cmp_eq_u32 s0, s37
	s_cselect_b32 s0, s33, s1
	s_add_u32 s1, s7, 1
	s_addc_u32 s33, s11, 0
	s_add_u32 s40, s7, 2
	s_addc_u32 s42, s11, 0
	s_cmp_lg_u32 s0, 0
	s_cselect_b32 s0, s40, s1
	s_cselect_b32 s1, s42, s33
	s_cmp_lg_u64 vcc, 0
	s_subb_u32 s23, s41, s23
	s_cmp_ge_u32 s23, s37
	v_readfirstlane_b32 s40, v1
	s_cselect_b32 s33, -1, 0
	s_cmp_ge_u32 s40, s36
	s_cselect_b32 s36, -1, 0
	s_cmp_eq_u32 s23, s37
	s_cselect_b32 s23, s36, s33
	s_cmp_lg_u32 s23, 0
	s_cselect_b32 s1, s1, s11
	s_cselect_b32 s0, s0, s7
	s_xor_b64 s[28:29], s[38:39], s[28:29]
	s_xor_b64 s[0:1], s[0:1], s[28:29]
	s_sub_u32 s28, s0, s28
	s_subb_u32 s29, s1, s29
	s_cbranch_execnz .LBB25_7
.LBB25_6:
	v_cvt_f32_u32_e32 v1, s30
	s_sub_i32 s0, 0, s30
	s_mov_b32 s29, 0
	v_rcp_iflag_f32_e32 v1, v1
	v_mul_f32_e32 v1, 0x4f7ffffe, v1
	v_cvt_u32_f32_e32 v1, v1
	v_readfirstlane_b32 s1, v1
	s_mul_i32 s0, s0, s1
	s_mul_hi_u32 s0, s1, s0
	s_add_i32 s1, s1, s0
	s_mul_hi_u32 s0, s24, s1
	s_mul_i32 s7, s0, s30
	s_sub_i32 s7, s24, s7
	s_add_i32 s1, s0, 1
	s_sub_i32 s11, s7, s30
	s_cmp_ge_u32 s7, s30
	s_cselect_b32 s0, s1, s0
	s_cselect_b32 s7, s11, s7
	s_add_i32 s1, s0, 1
	s_cmp_ge_u32 s7, s30
	s_cselect_b32 s28, s1, s0
.LBB25_7:
	s_mul_i32 s0, s28, s31
	s_mul_hi_u32 s1, s28, s30
	s_add_i32 s0, s1, s0
	s_mul_i32 s1, s29, s30
	s_add_i32 s0, s0, s1
	s_mul_i32 s1, s28, s30
	s_sub_u32 s33, s24, s1
	s_subb_u32 s7, s25, s0
	v_cmp_gt_i32_e32 vcc, s22, v0
	s_mul_hi_u32 s36, s28, s8
	s_mul_i32 s37, s29, s8
	s_mul_i32 s30, s28, s8
	s_mul_hi_u32 s29, s33, s9
	s_mul_i32 s7, s7, s9
	s_mul_i32 s24, s33, s9
	s_and_saveexec_b64 s[34:35], vcc
	s_cbranch_execz .LBB25_10
; %bb.8:
	s_load_dword s0, s[4:5], 0x8c
	s_ashr_i32 s23, s22, 31
	s_ashr_i32 s25, s8, 31
	s_ashr_i32 s39, s9, 31
	s_ashr_i32 s11, s10, 31
	s_waitcnt lgkmcnt(0)
	s_and_b32 s38, s0, 0xffff
	s_lshl_b64 s[0:1], s[26:27], 2
	s_add_u32 s0, s2, s0
	v_lshlrev_b32_e32 v7, 2, v0
	s_addc_u32 s1, s3, s1
	v_mov_b32_e32 v2, s1
	v_add_co_u32_e32 v1, vcc, s0, v7
	v_addc_co_u32_e32 v2, vcc, 0, v2, vcc
	s_lshl_b64 s[0:1], s[22:23], 2
	v_add_co_u32_e32 v3, vcc, s0, v1
	s_mul_i32 s0, s28, s25
	s_mul_i32 s2, s33, s39
	s_add_i32 s0, s36, s0
	s_add_i32 s2, s29, s2
	;; [unrolled: 1-line block ×4, first 2 shown]
	s_lshl_b32 s26, s38, 2
	v_mov_b32_e32 v4, s1
	s_lshl_b64 s[0:1], s[30:31], 1
	s_lshl_b64 s[2:3], s[24:25], 1
	s_add_u32 s2, s0, s2
	s_addc_u32 s3, s1, s3
	s_lshl_b64 s[0:1], s[10:11], 1
	s_add_u32 s0, s20, s0
	s_addc_u32 s1, s21, s1
	s_add_u32 s0, s0, s2
	v_addc_co_u32_e32 v4, vcc, v2, v4, vcc
	s_addc_u32 s1, s1, s3
	v_mov_b32_e32 v5, s1
	v_add_co_u32_e32 v6, vcc, s0, v7
	s_mul_i32 s0, s13, s6
	s_mul_hi_u32 s1, s12, s6
	s_add_i32 s1, s1, s0
	s_mul_i32 s0, s12, s6
	v_addc_co_u32_e32 v8, vcc, 0, v5, vcc
	s_lshl_b64 s[0:1], s[0:1], 1
	v_add_co_u32_e32 v5, vcc, 2, v6
	s_add_u32 s0, s16, s0
	v_addc_co_u32_e32 v6, vcc, 0, v8, vcc
	s_addc_u32 s1, s17, s1
	v_mov_b32_e32 v8, s1
	v_add_co_u32_e32 v7, vcc, s0, v7
	v_addc_co_u32_e32 v8, vcc, 0, v8, vcc
	s_mov_b64 s[12:13], 0
	s_mov_b64 s[16:17], 0
	v_mov_b32_e32 v9, v0
.LBB25_9:                               ; =>This Inner Loop Header: Depth=1
	v_mov_b32_e32 v16, s17
	v_add_co_u32_e32 v10, vcc, s16, v3
	v_add_co_u32_e64 v12, s[0:1], s16, v7
	v_add_co_u32_e64 v14, s[2:3], s16, v1
	v_addc_co_u32_e32 v11, vcc, v4, v16, vcc
	v_addc_co_u32_e64 v15, s[2:3], v2, v16, s[2:3]
	v_addc_co_u32_e64 v13, vcc, v8, v16, s[0:1]
	global_load_dword v17, v[10:11], off
	global_load_dword v18, v[14:15], off
	;; [unrolled: 1-line block ×3, first 2 shown]
	v_add_co_u32_e32 v10, vcc, s16, v5
	v_add_u32_e32 v9, s38, v9
	s_add_u32 s16, s16, s26
	v_addc_co_u32_e32 v11, vcc, v6, v16, vcc
	s_addc_u32 s17, s17, 0
	v_cmp_le_i32_e32 vcc, s22, v9
	s_or_b64 s[12:13], vcc, s[12:13]
	s_waitcnt vmcnt(2)
	v_cvt_f16_f32_e32 v14, v17
	s_waitcnt vmcnt(1)
	v_cvt_f16_f32_e32 v15, v18
	s_waitcnt vmcnt(0)
	v_mul_f16_sdwa v16, v19, v14 dst_sel:DWORD dst_unused:UNUSED_PAD src0_sel:WORD_1 src1_sel:DWORD
	v_mul_f16_sdwa v17, v19, v15 dst_sel:DWORD dst_unused:UNUSED_PAD src0_sel:WORD_1 src1_sel:DWORD
	v_fma_f16 v15, v19, v15, -v16
	v_fma_f16 v14, v19, v14, v17
	v_pack_b32_f16 v14, v15, v14
	global_store_dword v[12:13], v14, off
	global_store_dword v[10:11], v14, off offset:-2
	s_andn2_b64 exec, exec, s[12:13]
	s_cbranch_execnz .LBB25_9
.LBB25_10:
	s_or_b64 exec, exec, s[34:35]
	v_cmp_gt_i32_e32 vcc, s10, v0
	s_and_saveexec_b64 s[0:1], vcc
	s_cbranch_execz .LBB25_13
; %bb.11:
	s_mul_i32 s0, s6, s15
	s_mul_hi_u32 s1, s6, s14
	s_add_i32 s1, s1, s0
	s_mul_i32 s0, s6, s14
	s_lshl_b64 s[0:1], s[0:1], 1
	s_add_u32 s2, s18, s0
	s_addc_u32 s6, s19, s1
	s_ashr_i32 s0, s8, 31
	s_mul_i32 s0, s28, s0
	s_add_i32 s0, s36, s0
	s_add_i32 s31, s0, s37
	s_lshl_b64 s[0:1], s[30:31], 1
	s_add_u32 s3, s20, s0
	s_addc_u32 s8, s21, s1
	s_ashr_i32 s0, s9, 31
	s_mul_i32 s33, s33, s0
	s_add_i32 s0, s29, s33
	s_load_dword s4, s[4:5], 0x8c
	s_add_i32 s25, s0, s7
	s_lshl_b64 s[0:1], s[24:25], 1
	s_add_u32 s3, s3, s0
	s_addc_u32 s5, s8, s1
	s_waitcnt lgkmcnt(0)
	s_and_b32 s4, s4, 0xffff
	s_mov_b64 s[0:1], 0
	v_mov_b32_e32 v2, s6
	v_mov_b32_e32 v3, s5
.LBB25_12:                              ; =>This Inner Loop Header: Depth=1
	v_ashrrev_i32_e32 v1, 31, v0
	v_lshlrev_b64 v[4:5], 1, v[0:1]
	v_add_co_u32_e32 v6, vcc, s2, v4
	v_addc_co_u32_e32 v7, vcc, v2, v5, vcc
	global_load_ushort v1, v[6:7], off
	v_add_co_u32_e32 v4, vcc, s3, v4
	v_addc_co_u32_e32 v5, vcc, v3, v5, vcc
	v_add_u32_e32 v0, s4, v0
	v_cmp_le_i32_e32 vcc, s10, v0
	s_or_b64 s[0:1], vcc, s[0:1]
	s_waitcnt vmcnt(0)
	global_store_short v[4:5], v1, off
	s_andn2_b64 exec, exec, s[0:1]
	s_cbranch_execnz .LBB25_12
.LBB25_13:
	s_endpgm
.LBB25_14:
                                        ; implicit-def: $sgpr28_sgpr29
	s_branch .LBB25_6
	.section	.rodata,"a",@progbits
	.p2align	6, 0x0
	.amdhsa_kernel _ZN4vllm38concat_and_cache_mla_rope_fused_kernelIN3c104HalfEfLb0EttLNS_18Fp8KVCacheDataTypeE0EEEvPKlPT_S7_PKS6_PKT0_illlliPT3_S5_iiiiPKf
		.amdhsa_group_segment_fixed_size 0
		.amdhsa_private_segment_fixed_size 0
		.amdhsa_kernarg_size 384
		.amdhsa_user_sgpr_count 6
		.amdhsa_user_sgpr_private_segment_buffer 1
		.amdhsa_user_sgpr_dispatch_ptr 0
		.amdhsa_user_sgpr_queue_ptr 0
		.amdhsa_user_sgpr_kernarg_segment_ptr 1
		.amdhsa_user_sgpr_dispatch_id 0
		.amdhsa_user_sgpr_flat_scratch_init 0
		.amdhsa_user_sgpr_kernarg_preload_length 0
		.amdhsa_user_sgpr_kernarg_preload_offset 0
		.amdhsa_user_sgpr_private_segment_size 0
		.amdhsa_uses_dynamic_stack 0
		.amdhsa_system_sgpr_private_segment_wavefront_offset 0
		.amdhsa_system_sgpr_workgroup_id_x 1
		.amdhsa_system_sgpr_workgroup_id_y 0
		.amdhsa_system_sgpr_workgroup_id_z 0
		.amdhsa_system_sgpr_workgroup_info 0
		.amdhsa_system_vgpr_workitem_id 0
		.amdhsa_next_free_vgpr 20
		.amdhsa_next_free_sgpr 43
		.amdhsa_accum_offset 20
		.amdhsa_reserve_vcc 1
		.amdhsa_reserve_flat_scratch 0
		.amdhsa_float_round_mode_32 0
		.amdhsa_float_round_mode_16_64 0
		.amdhsa_float_denorm_mode_32 3
		.amdhsa_float_denorm_mode_16_64 3
		.amdhsa_dx10_clamp 1
		.amdhsa_ieee_mode 1
		.amdhsa_fp16_overflow 0
		.amdhsa_tg_split 0
		.amdhsa_exception_fp_ieee_invalid_op 0
		.amdhsa_exception_fp_denorm_src 0
		.amdhsa_exception_fp_ieee_div_zero 0
		.amdhsa_exception_fp_ieee_overflow 0
		.amdhsa_exception_fp_ieee_underflow 0
		.amdhsa_exception_fp_ieee_inexact 0
		.amdhsa_exception_int_div_zero 0
	.end_amdhsa_kernel
	.section	.text._ZN4vllm38concat_and_cache_mla_rope_fused_kernelIN3c104HalfEfLb0EttLNS_18Fp8KVCacheDataTypeE0EEEvPKlPT_S7_PKS6_PKT0_illlliPT3_S5_iiiiPKf,"axG",@progbits,_ZN4vllm38concat_and_cache_mla_rope_fused_kernelIN3c104HalfEfLb0EttLNS_18Fp8KVCacheDataTypeE0EEEvPKlPT_S7_PKS6_PKT0_illlliPT3_S5_iiiiPKf,comdat
.Lfunc_end25:
	.size	_ZN4vllm38concat_and_cache_mla_rope_fused_kernelIN3c104HalfEfLb0EttLNS_18Fp8KVCacheDataTypeE0EEEvPKlPT_S7_PKS6_PKT0_illlliPT3_S5_iiiiPKf, .Lfunc_end25-_ZN4vllm38concat_and_cache_mla_rope_fused_kernelIN3c104HalfEfLb0EttLNS_18Fp8KVCacheDataTypeE0EEEvPKlPT_S7_PKS6_PKT0_illlliPT3_S5_iiiiPKf
                                        ; -- End function
	.section	.AMDGPU.csdata,"",@progbits
; Kernel info:
; codeLenInByte = 2016
; NumSgprs: 47
; NumVgprs: 20
; NumAgprs: 0
; TotalNumVgprs: 20
; ScratchSize: 0
; MemoryBound: 0
; FloatMode: 240
; IeeeMode: 1
; LDSByteSize: 0 bytes/workgroup (compile time only)
; SGPRBlocks: 5
; VGPRBlocks: 2
; NumSGPRsForWavesPerEU: 47
; NumVGPRsForWavesPerEU: 20
; AccumOffset: 20
; Occupancy: 8
; WaveLimiterHint : 1
; COMPUTE_PGM_RSRC2:SCRATCH_EN: 0
; COMPUTE_PGM_RSRC2:USER_SGPR: 6
; COMPUTE_PGM_RSRC2:TRAP_HANDLER: 0
; COMPUTE_PGM_RSRC2:TGID_X_EN: 1
; COMPUTE_PGM_RSRC2:TGID_Y_EN: 0
; COMPUTE_PGM_RSRC2:TGID_Z_EN: 0
; COMPUTE_PGM_RSRC2:TIDIG_COMP_CNT: 0
; COMPUTE_PGM_RSRC3_GFX90A:ACCUM_OFFSET: 4
; COMPUTE_PGM_RSRC3_GFX90A:TG_SPLIT: 0
	.section	.text._ZN4vllm38concat_and_cache_mla_rope_fused_kernelIN3c104HalfES2_Lb1EttLNS_18Fp8KVCacheDataTypeE0EEEvPKlPT_S7_PKS6_PKT0_illlliPT3_S5_iiiiPKf,"axG",@progbits,_ZN4vllm38concat_and_cache_mla_rope_fused_kernelIN3c104HalfES2_Lb1EttLNS_18Fp8KVCacheDataTypeE0EEEvPKlPT_S7_PKS6_PKT0_illlliPT3_S5_iiiiPKf,comdat
	.protected	_ZN4vllm38concat_and_cache_mla_rope_fused_kernelIN3c104HalfES2_Lb1EttLNS_18Fp8KVCacheDataTypeE0EEEvPKlPT_S7_PKS6_PKT0_illlliPT3_S5_iiiiPKf ; -- Begin function _ZN4vllm38concat_and_cache_mla_rope_fused_kernelIN3c104HalfES2_Lb1EttLNS_18Fp8KVCacheDataTypeE0EEEvPKlPT_S7_PKS6_PKT0_illlliPT3_S5_iiiiPKf
	.globl	_ZN4vllm38concat_and_cache_mla_rope_fused_kernelIN3c104HalfES2_Lb1EttLNS_18Fp8KVCacheDataTypeE0EEEvPKlPT_S7_PKS6_PKT0_illlliPT3_S5_iiiiPKf
	.p2align	8
	.type	_ZN4vllm38concat_and_cache_mla_rope_fused_kernelIN3c104HalfES2_Lb1EttLNS_18Fp8KVCacheDataTypeE0EEEvPKlPT_S7_PKS6_PKT0_illlliPT3_S5_iiiiPKf,@function
_ZN4vllm38concat_and_cache_mla_rope_fused_kernelIN3c104HalfES2_Lb1EttLNS_18Fp8KVCacheDataTypeE0EEEvPKlPT_S7_PKS6_PKT0_illlliPT3_S5_iiiiPKf: ; @_ZN4vllm38concat_and_cache_mla_rope_fused_kernelIN3c104HalfES2_Lb1EttLNS_18Fp8KVCacheDataTypeE0EEEvPKlPT_S7_PKS6_PKT0_illlliPT3_S5_iiiiPKf
; %bb.0:
	s_load_dwordx2 s[2:3], s[4:5], 0x60
	s_mov_b32 s7, 0
	s_lshl_b64 s[0:1], s[6:7], 3
	s_waitcnt lgkmcnt(0)
	s_add_u32 s2, s2, s0
	s_addc_u32 s3, s3, s1
	s_load_dwordx2 s[30:31], s[2:3], 0x0
	s_waitcnt lgkmcnt(0)
	v_cmp_lt_i64_e64 s[2:3], s[30:31], 0
	s_and_b64 vcc, exec, s[2:3]
	s_cbranch_vccnz .LBB26_13
; %bb.1:
	s_load_dword s22, s[4:5], 0x28
	s_load_dwordx2 s[2:3], s[4:5], 0x0
	s_load_dwordx4 s[16:19], s[4:5], 0x10
	s_waitcnt lgkmcnt(0)
	s_ashr_i32 s7, s22, 31
	s_add_u32 s0, s2, s0
	s_addc_u32 s1, s3, s1
	s_load_dwordx2 s[20:21], s[0:1], 0x0
	s_load_dwordx2 s[2:3], s[4:5], 0x20
	s_load_dwordx8 s[8:15], s[4:5], 0x30
	s_load_dwordx2 s[24:25], s[4:5], 0x58
	s_load_dword s23, s[4:5], 0x50
	s_waitcnt lgkmcnt(0)
	s_mul_i32 s0, s20, s7
	s_mul_hi_u32 s1, s20, s22
	s_mul_i32 s7, s21, s22
	s_add_i32 s0, s1, s0
	s_add_i32 s1, s0, s7
	s_mul_i32 s0, s20, s22
	s_lshl_b64 s[28:29], s[0:1], 1
	s_add_u32 s7, s2, s28
	s_addc_u32 s33, s3, s29
	s_lshr_b32 s0, s22, 31
	s_add_i32 s22, s22, s0
	s_ashr_i32 s26, s22, 1
	s_mul_i32 s22, s26, s23
	v_cmp_gt_i32_e32 vcc, s22, v0
	s_and_saveexec_b64 s[0:1], vcc
	s_cbranch_execz .LBB26_4
; %bb.2:
	s_load_dwordx2 s[20:21], s[4:5], 0x8
	s_load_dword s35, s[4:5], 0x8c
	s_mul_i32 s9, s6, s9
	s_mul_hi_u32 s23, s6, s8
	s_add_i32 s9, s23, s9
	s_mul_i32 s8, s6, s8
	s_ashr_i32 s27, s26, 31
	s_lshl_b64 s[8:9], s[8:9], 1
	s_waitcnt lgkmcnt(0)
	s_add_u32 s23, s20, s8
	s_addc_u32 s37, s21, s9
	s_abs_i32 s34, s26
	v_cvt_f32_u32_e32 v1, s34
	s_sub_i32 s20, 0, s34
	s_mov_b64 s[8:9], 0
	s_and_b32 s35, s35, 0xffff
	v_rcp_iflag_f32_e32 v2, v1
	v_mov_b32_e32 v1, s33
	s_sub_i32 s36, 0, s26
	v_mov_b32_e32 v5, s37
	v_mul_f32_e32 v2, 0x4f7ffffe, v2
	v_cvt_u32_f32_e32 v2, v2
	v_mul_lo_u32 v3, s20, v2
	v_mul_hi_u32 v3, v2, v3
	s_lshl_b64 s[20:21], s[26:27], 1
	v_add_u32_e32 v3, v2, v3
	v_mov_b32_e32 v4, s21
	v_mov_b32_e32 v2, v0
.LBB26_3:                               ; =>This Inner Loop Header: Depth=1
	v_sub_u32_e32 v7, 0, v2
	v_max_i32_e32 v7, v2, v7
	v_mul_hi_u32 v8, v7, v3
	v_mul_lo_u32 v9, v8, s34
	v_sub_u32_e32 v7, v7, v9
	v_add_u32_e32 v10, 1, v8
	v_cmp_le_u32_e32 vcc, s34, v7
	v_subrev_u32_e32 v9, s34, v7
	v_cndmask_b32_e32 v8, v8, v10, vcc
	v_cndmask_b32_e32 v7, v7, v9, vcc
	v_ashrrev_i32_e32 v6, 31, v2
	v_add_u32_e32 v9, 1, v8
	v_cmp_le_u32_e32 vcc, s34, v7
	v_xor_b32_e32 v6, s27, v6
	v_cndmask_b32_e32 v7, v8, v9, vcc
	v_xor_b32_e32 v7, v7, v6
	v_sub_u32_e32 v8, v7, v6
	v_mad_u64_u32 v[6:7], s[38:39], s36, v8, v[2:3]
	v_ashrrev_i32_e32 v10, 31, v8
	v_ashrrev_i32_e32 v7, 31, v6
	v_mul_lo_u32 v11, v8, s11
	v_mad_u64_u32 v[8:9], s[38:39], v8, s10, 0
	v_mul_lo_u32 v10, v10, s10
	v_lshlrev_b64 v[6:7], 1, v[6:7]
	v_add3_u32 v9, v9, v11, v10
	v_add_co_u32_e32 v10, vcc, s7, v6
	v_addc_co_u32_e32 v11, vcc, v1, v7, vcc
	v_add_co_u32_e32 v12, vcc, s20, v10
	v_lshlrev_b64 v[8:9], 1, v[8:9]
	v_addc_co_u32_e32 v13, vcc, v11, v4, vcc
	v_add_co_u32_e32 v8, vcc, s23, v8
	v_addc_co_u32_e32 v9, vcc, v5, v9, vcc
	v_add_co_u32_e32 v6, vcc, v8, v6
	;; [unrolled: 2-line block ×3, first 2 shown]
	global_load_ushort v14, v[10:11], off
	global_load_ushort v15, v[12:13], off
	v_addc_co_u32_e32 v9, vcc, v7, v4, vcc
	global_load_ushort v10, v[6:7], off
	global_load_ushort v11, v[8:9], off
	v_add_u32_e32 v2, s35, v2
	v_cmp_le_i32_e32 vcc, s22, v2
	s_or_b64 s[8:9], vcc, s[8:9]
	s_waitcnt vmcnt(0)
	v_mul_f16_e32 v12, v15, v11
	v_mul_f16_e32 v11, v14, v11
	v_fma_f16 v12, v14, v10, -v12
	v_fma_f16 v10, v15, v10, v11
	global_store_short v[6:7], v12, off
	global_store_short v[8:9], v10, off
	s_andn2_b64 exec, exec, s[8:9]
	s_cbranch_execnz .LBB26_3
.LBB26_4:
	s_or_b64 exec, exec, s[0:1]
	s_load_dwordx4 s[20:23], s[4:5], 0x68
	s_waitcnt lgkmcnt(0)
	s_ashr_i32 s9, s23, 31
	s_mov_b32 s8, s23
	s_or_b64 s[0:1], s[30:31], s[8:9]
	s_mov_b32 s0, 0
	s_cmp_lg_u64 s[0:1], 0
	s_cbranch_scc0 .LBB26_14
; %bb.5:
	s_add_u32 s0, s8, s9
	s_mov_b32 s10, s9
	s_mov_b32 s11, s9
	s_addc_u32 s1, s9, s9
	s_xor_b64 s[36:37], s[0:1], s[10:11]
	v_cvt_f32_u32_e32 v1, s36
	v_cvt_f32_u32_e32 v2, s37
	s_sub_u32 s0, 0, s36
	s_subb_u32 s1, 0, s37
	v_madmk_f32 v1, v2, 0x4f800000, v1
	v_rcp_f32_e32 v1, v1
	v_mul_f32_e32 v1, 0x5f7ffffc, v1
	v_mul_f32_e32 v2, 0x2f800000, v1
	v_trunc_f32_e32 v2, v2
	v_madmk_f32 v1, v2, 0xcf800000, v1
	v_cvt_u32_f32_e32 v2, v2
	v_cvt_u32_f32_e32 v1, v1
	v_readfirstlane_b32 s23, v2
	v_readfirstlane_b32 s27, v1
	s_mul_i32 s38, s0, s23
	s_mul_hi_u32 s40, s0, s27
	s_mul_i32 s39, s1, s27
	s_add_i32 s38, s40, s38
	s_add_i32 s38, s38, s39
	s_mul_i32 s41, s0, s27
	s_mul_hi_u32 s39, s27, s38
	s_mul_i32 s40, s27, s38
	s_mul_hi_u32 s27, s27, s41
	s_add_u32 s27, s27, s40
	s_addc_u32 s39, 0, s39
	s_mul_hi_u32 s42, s23, s41
	s_mul_i32 s41, s23, s41
	s_add_u32 s27, s27, s41
	s_mul_hi_u32 s40, s23, s38
	s_addc_u32 s27, s39, s42
	s_addc_u32 s39, s40, 0
	s_mul_i32 s38, s23, s38
	s_add_u32 s27, s27, s38
	s_addc_u32 s38, 0, s39
	v_add_co_u32_e32 v1, vcc, s27, v1
	s_cmp_lg_u64 vcc, 0
	s_addc_u32 s23, s23, s38
	v_readfirstlane_b32 s38, v1
	s_mul_i32 s27, s0, s23
	s_mul_hi_u32 s39, s0, s38
	s_add_i32 s27, s39, s27
	s_mul_i32 s1, s1, s38
	s_add_i32 s27, s27, s1
	s_mul_i32 s0, s0, s38
	s_mul_hi_u32 s39, s23, s0
	s_mul_i32 s40, s23, s0
	s_mul_i32 s42, s38, s27
	s_mul_hi_u32 s0, s38, s0
	s_mul_hi_u32 s41, s38, s27
	s_add_u32 s0, s0, s42
	s_addc_u32 s38, 0, s41
	s_add_u32 s0, s0, s40
	s_mul_hi_u32 s1, s23, s27
	s_addc_u32 s0, s38, s39
	s_addc_u32 s1, s1, 0
	s_mul_i32 s27, s23, s27
	s_add_u32 s0, s0, s27
	s_addc_u32 s1, 0, s1
	v_add_co_u32_e32 v1, vcc, s0, v1
	s_cmp_lg_u64 vcc, 0
	s_addc_u32 s23, s23, s1
	s_ashr_i32 s38, s31, 31
	s_add_u32 s0, s30, s38
	s_mov_b32 s39, s38
	s_addc_u32 s1, s31, s38
	s_xor_b64 s[40:41], s[0:1], s[38:39]
	v_readfirstlane_b32 s27, v1
	s_mul_i32 s1, s40, s23
	s_mul_hi_u32 s42, s40, s27
	s_mul_hi_u32 s0, s40, s23
	s_add_u32 s1, s42, s1
	s_addc_u32 s0, 0, s0
	s_mul_hi_u32 s43, s41, s27
	s_mul_i32 s27, s41, s27
	s_add_u32 s1, s1, s27
	s_mul_hi_u32 s42, s41, s23
	s_addc_u32 s0, s0, s43
	s_addc_u32 s1, s42, 0
	s_mul_i32 s23, s41, s23
	s_add_u32 s23, s0, s23
	s_addc_u32 s27, 0, s1
	s_mul_i32 s0, s36, s27
	s_mul_hi_u32 s1, s36, s23
	s_add_i32 s0, s1, s0
	s_mul_i32 s1, s37, s23
	s_add_i32 s42, s0, s1
	s_mul_i32 s1, s36, s23
	v_mov_b32_e32 v1, s1
	s_sub_i32 s0, s41, s42
	v_sub_co_u32_e32 v1, vcc, s40, v1
	s_cmp_lg_u64 vcc, 0
	s_subb_u32 s40, s0, s37
	v_subrev_co_u32_e64 v2, s[0:1], s36, v1
	s_cmp_lg_u64 s[0:1], 0
	s_subb_u32 s0, s40, 0
	s_cmp_ge_u32 s0, s37
	v_readfirstlane_b32 s40, v2
	s_cselect_b32 s1, -1, 0
	s_cmp_ge_u32 s40, s36
	s_cselect_b32 s40, -1, 0
	s_cmp_eq_u32 s0, s37
	s_cselect_b32 s0, s40, s1
	s_add_u32 s1, s23, 1
	s_addc_u32 s40, s27, 0
	s_add_u32 s43, s23, 2
	s_addc_u32 s44, s27, 0
	s_cmp_lg_u32 s0, 0
	s_cselect_b32 s0, s43, s1
	s_cselect_b32 s1, s44, s40
	s_cmp_lg_u64 vcc, 0
	s_subb_u32 s40, s41, s42
	s_cmp_ge_u32 s40, s37
	v_readfirstlane_b32 s42, v1
	s_cselect_b32 s41, -1, 0
	s_cmp_ge_u32 s42, s36
	s_cselect_b32 s36, -1, 0
	s_cmp_eq_u32 s40, s37
	s_cselect_b32 s36, s36, s41
	s_cmp_lg_u32 s36, 0
	s_cselect_b32 s1, s1, s27
	s_cselect_b32 s0, s0, s23
	s_xor_b64 s[10:11], s[38:39], s[10:11]
	s_xor_b64 s[0:1], s[0:1], s[10:11]
	s_sub_u32 s10, s0, s10
	s_subb_u32 s11, s1, s11
	s_cbranch_execnz .LBB26_7
.LBB26_6:
	v_cvt_f32_u32_e32 v1, s8
	s_sub_i32 s0, 0, s8
	s_mov_b32 s11, 0
	v_rcp_iflag_f32_e32 v1, v1
	v_mul_f32_e32 v1, 0x4f7ffffe, v1
	v_cvt_u32_f32_e32 v1, v1
	v_readfirstlane_b32 s1, v1
	s_mul_i32 s0, s0, s1
	s_mul_hi_u32 s0, s1, s0
	s_add_i32 s1, s1, s0
	s_mul_hi_u32 s0, s30, s1
	s_mul_i32 s10, s0, s8
	s_sub_i32 s10, s30, s10
	s_add_i32 s1, s0, 1
	s_sub_i32 s23, s10, s8
	s_cmp_ge_u32 s10, s8
	s_cselect_b32 s0, s1, s0
	s_cselect_b32 s10, s23, s10
	s_add_i32 s1, s0, 1
	s_cmp_ge_u32 s10, s8
	s_cselect_b32 s10, s1, s0
.LBB26_7:
	s_mul_i32 s0, s10, s9
	s_mul_hi_u32 s1, s10, s8
	s_add_i32 s0, s1, s0
	s_mul_i32 s1, s11, s8
	s_add_i32 s0, s0, s1
	s_mul_i32 s1, s10, s8
	s_sub_u32 s38, s30, s1
	s_subb_u32 s0, s31, s0
	v_cmp_gt_i32_e32 vcc, s26, v0
	s_mul_hi_u32 s40, s10, s20
	s_mul_i32 s41, s11, s20
	s_mul_i32 s34, s10, s20
	s_mul_hi_u32 s39, s38, s21
	s_mul_i32 s11, s0, s21
	s_mul_i32 s30, s38, s21
	s_and_saveexec_b64 s[36:37], vcc
	s_cbranch_execz .LBB26_10
; %bb.8:
	s_mul_i32 s0, s6, s13
	s_mul_hi_u32 s1, s6, s12
	s_add_i32 s1, s1, s0
	s_mul_i32 s0, s6, s12
	s_ashr_i32 s27, s26, 31
	s_lshl_b64 s[0:1], s[0:1], 1
	s_add_u32 s42, s16, s0
	s_addc_u32 s43, s17, s1
	s_ashr_i32 s8, s20, 31
	s_mul_i32 s8, s10, s8
	s_add_i32 s8, s40, s8
	s_add_i32 s35, s8, s41
	s_ashr_i32 s8, s21, 31
	s_mul_i32 s8, s38, s8
	s_add_i32 s8, s39, s8
	s_add_i32 s31, s8, s11
	s_lshl_b64 s[8:9], s[34:35], 1
	s_lshl_b64 s[12:13], s[30:31], 1
	s_add_u32 s45, s8, s12
	s_addc_u32 s46, s9, s13
	s_load_dword s35, s[4:5], 0x8c
	s_add_u32 s12, s45, s24
	s_addc_u32 s13, s46, s25
	s_ashr_i32 s23, s22, 31
	s_lshl_b64 s[8:9], s[22:23], 1
	s_add_u32 s23, s12, s8
	s_addc_u32 s31, s13, s9
	s_waitcnt lgkmcnt(0)
	s_and_b32 s35, s35, 0xffff
	s_lshl_b32 s44, s35, 1
	s_lshl_b64 s[12:13], s[26:27], 1
	s_add_u32 s27, s28, s12
	s_addc_u32 s28, s29, s13
	s_add_u32 s27, s2, s27
	s_addc_u32 s28, s3, s28
	s_add_u32 s0, s0, s12
	s_addc_u32 s1, s1, s13
	s_add_u32 s16, s16, s0
	s_addc_u32 s17, s17, s1
	s_add_u32 s0, s45, s12
	s_addc_u32 s1, s46, s13
	s_add_u32 s0, s0, s8
	s_addc_u32 s1, s1, s9
	s_add_u32 s29, s24, s0
	v_lshlrev_b32_e32 v2, 1, v0
	s_addc_u32 s45, s25, s1
	s_mov_b64 s[12:13], 0
	v_mov_b32_e32 v1, v0
.LBB26_9:                               ; =>This Inner Loop Header: Depth=1
	v_mov_b32_e32 v5, s28
	v_add_co_u32_e32 v4, vcc, s27, v2
	v_mov_b32_e32 v3, s33
	v_mov_b32_e32 v7, s43
	v_add_co_u32_e64 v6, s[0:1], s42, v2
	v_mov_b32_e32 v9, s17
	v_add_co_u32_e64 v8, s[2:3], s16, v2
	v_add_co_u32_e64 v10, s[8:9], s7, v2
	v_addc_co_u32_e32 v5, vcc, 0, v5, vcc
	v_addc_co_u32_e64 v11, s[8:9], 0, v3, s[8:9]
	v_addc_co_u32_e64 v7, vcc, 0, v7, s[0:1]
	v_addc_co_u32_e64 v9, vcc, 0, v9, s[2:3]
	global_load_ushort v3, v[4:5], off
	global_load_ushort v12, v[8:9], off
	;; [unrolled: 1-line block ×4, first 2 shown]
	s_add_u32 s7, s7, s44
	s_addc_u32 s33, s33, 0
	s_add_u32 s27, s27, s44
	s_addc_u32 s28, s28, 0
	;; [unrolled: 2-line block ×4, first 2 shown]
	v_add_co_u32_e32 v4, vcc, s29, v2
	s_add_u32 s29, s29, s44
	v_mov_b32_e32 v5, s31
	v_mov_b32_e32 v15, s45
	v_add_co_u32_e64 v10, s[0:1], s23, v2
	s_addc_u32 s45, s45, 0
	v_add_u32_e32 v1, s35, v1
	v_addc_co_u32_e64 v11, s[0:1], 0, v5, s[0:1]
	v_addc_co_u32_e32 v5, vcc, 0, v15, vcc
	s_add_u32 s23, s23, s44
	v_cmp_le_i32_e32 vcc, s26, v1
	s_addc_u32 s31, s31, 0
	s_or_b64 s[12:13], vcc, s[12:13]
	s_waitcnt vmcnt(2)
	v_mul_f16_e32 v15, v3, v12
	s_waitcnt vmcnt(1)
	v_mul_f16_e32 v12, v13, v12
	s_waitcnt vmcnt(0)
	v_fma_f16 v13, v13, v14, -v15
	v_fma_f16 v3, v3, v14, v12
	global_store_short v[6:7], v13, off
	global_store_short v[8:9], v3, off
	;; [unrolled: 1-line block ×4, first 2 shown]
	s_andn2_b64 exec, exec, s[12:13]
	s_cbranch_execnz .LBB26_9
.LBB26_10:
	s_or_b64 exec, exec, s[36:37]
	v_cmp_gt_i32_e32 vcc, s22, v0
	s_and_saveexec_b64 s[0:1], vcc
	s_cbranch_execz .LBB26_13
; %bb.11:
	s_mul_i32 s0, s6, s15
	s_mul_hi_u32 s1, s6, s14
	s_add_i32 s1, s1, s0
	s_mul_i32 s0, s6, s14
	s_lshl_b64 s[0:1], s[0:1], 1
	s_add_u32 s2, s18, s0
	s_addc_u32 s6, s19, s1
	s_ashr_i32 s0, s20, 31
	s_mul_i32 s0, s10, s0
	s_add_i32 s0, s40, s0
	s_add_i32 s35, s0, s41
	s_lshl_b64 s[0:1], s[34:35], 1
	s_add_u32 s3, s24, s0
	s_addc_u32 s7, s25, s1
	s_ashr_i32 s0, s21, 31
	s_mul_i32 s38, s38, s0
	s_add_i32 s0, s39, s38
	s_load_dword s4, s[4:5], 0x8c
	s_add_i32 s31, s0, s11
	s_lshl_b64 s[0:1], s[30:31], 1
	s_add_u32 s3, s3, s0
	s_addc_u32 s5, s7, s1
	s_waitcnt lgkmcnt(0)
	s_and_b32 s4, s4, 0xffff
	s_mov_b64 s[0:1], 0
	v_mov_b32_e32 v2, s6
	v_mov_b32_e32 v3, s5
.LBB26_12:                              ; =>This Inner Loop Header: Depth=1
	v_ashrrev_i32_e32 v1, 31, v0
	v_lshlrev_b64 v[4:5], 1, v[0:1]
	v_add_co_u32_e32 v6, vcc, s2, v4
	v_addc_co_u32_e32 v7, vcc, v2, v5, vcc
	global_load_ushort v1, v[6:7], off
	v_add_co_u32_e32 v4, vcc, s3, v4
	v_addc_co_u32_e32 v5, vcc, v3, v5, vcc
	v_add_u32_e32 v0, s4, v0
	v_cmp_le_i32_e32 vcc, s22, v0
	s_or_b64 s[0:1], vcc, s[0:1]
	s_waitcnt vmcnt(0)
	global_store_short v[4:5], v1, off
	s_andn2_b64 exec, exec, s[0:1]
	s_cbranch_execnz .LBB26_12
.LBB26_13:
	s_endpgm
.LBB26_14:
                                        ; implicit-def: $sgpr10_sgpr11
	s_branch .LBB26_6
	.section	.rodata,"a",@progbits
	.p2align	6, 0x0
	.amdhsa_kernel _ZN4vllm38concat_and_cache_mla_rope_fused_kernelIN3c104HalfES2_Lb1EttLNS_18Fp8KVCacheDataTypeE0EEEvPKlPT_S7_PKS6_PKT0_illlliPT3_S5_iiiiPKf
		.amdhsa_group_segment_fixed_size 0
		.amdhsa_private_segment_fixed_size 0
		.amdhsa_kernarg_size 384
		.amdhsa_user_sgpr_count 6
		.amdhsa_user_sgpr_private_segment_buffer 1
		.amdhsa_user_sgpr_dispatch_ptr 0
		.amdhsa_user_sgpr_queue_ptr 0
		.amdhsa_user_sgpr_kernarg_segment_ptr 1
		.amdhsa_user_sgpr_dispatch_id 0
		.amdhsa_user_sgpr_flat_scratch_init 0
		.amdhsa_user_sgpr_kernarg_preload_length 0
		.amdhsa_user_sgpr_kernarg_preload_offset 0
		.amdhsa_user_sgpr_private_segment_size 0
		.amdhsa_uses_dynamic_stack 0
		.amdhsa_system_sgpr_private_segment_wavefront_offset 0
		.amdhsa_system_sgpr_workgroup_id_x 1
		.amdhsa_system_sgpr_workgroup_id_y 0
		.amdhsa_system_sgpr_workgroup_id_z 0
		.amdhsa_system_sgpr_workgroup_info 0
		.amdhsa_system_vgpr_workitem_id 0
		.amdhsa_next_free_vgpr 16
		.amdhsa_next_free_sgpr 47
		.amdhsa_accum_offset 16
		.amdhsa_reserve_vcc 1
		.amdhsa_reserve_flat_scratch 0
		.amdhsa_float_round_mode_32 0
		.amdhsa_float_round_mode_16_64 0
		.amdhsa_float_denorm_mode_32 3
		.amdhsa_float_denorm_mode_16_64 3
		.amdhsa_dx10_clamp 1
		.amdhsa_ieee_mode 1
		.amdhsa_fp16_overflow 0
		.amdhsa_tg_split 0
		.amdhsa_exception_fp_ieee_invalid_op 0
		.amdhsa_exception_fp_denorm_src 0
		.amdhsa_exception_fp_ieee_div_zero 0
		.amdhsa_exception_fp_ieee_overflow 0
		.amdhsa_exception_fp_ieee_underflow 0
		.amdhsa_exception_fp_ieee_inexact 0
		.amdhsa_exception_int_div_zero 0
	.end_amdhsa_kernel
	.section	.text._ZN4vllm38concat_and_cache_mla_rope_fused_kernelIN3c104HalfES2_Lb1EttLNS_18Fp8KVCacheDataTypeE0EEEvPKlPT_S7_PKS6_PKT0_illlliPT3_S5_iiiiPKf,"axG",@progbits,_ZN4vllm38concat_and_cache_mla_rope_fused_kernelIN3c104HalfES2_Lb1EttLNS_18Fp8KVCacheDataTypeE0EEEvPKlPT_S7_PKS6_PKT0_illlliPT3_S5_iiiiPKf,comdat
.Lfunc_end26:
	.size	_ZN4vllm38concat_and_cache_mla_rope_fused_kernelIN3c104HalfES2_Lb1EttLNS_18Fp8KVCacheDataTypeE0EEEvPKlPT_S7_PKS6_PKT0_illlliPT3_S5_iiiiPKf, .Lfunc_end26-_ZN4vllm38concat_and_cache_mla_rope_fused_kernelIN3c104HalfES2_Lb1EttLNS_18Fp8KVCacheDataTypeE0EEEvPKlPT_S7_PKS6_PKT0_illlliPT3_S5_iiiiPKf
                                        ; -- End function
	.section	.AMDGPU.csdata,"",@progbits
; Kernel info:
; codeLenInByte = 2044
; NumSgprs: 51
; NumVgprs: 16
; NumAgprs: 0
; TotalNumVgprs: 16
; ScratchSize: 0
; MemoryBound: 0
; FloatMode: 240
; IeeeMode: 1
; LDSByteSize: 0 bytes/workgroup (compile time only)
; SGPRBlocks: 6
; VGPRBlocks: 1
; NumSGPRsForWavesPerEU: 51
; NumVGPRsForWavesPerEU: 16
; AccumOffset: 16
; Occupancy: 8
; WaveLimiterHint : 1
; COMPUTE_PGM_RSRC2:SCRATCH_EN: 0
; COMPUTE_PGM_RSRC2:USER_SGPR: 6
; COMPUTE_PGM_RSRC2:TRAP_HANDLER: 0
; COMPUTE_PGM_RSRC2:TGID_X_EN: 1
; COMPUTE_PGM_RSRC2:TGID_Y_EN: 0
; COMPUTE_PGM_RSRC2:TGID_Z_EN: 0
; COMPUTE_PGM_RSRC2:TIDIG_COMP_CNT: 0
; COMPUTE_PGM_RSRC3_GFX90A:ACCUM_OFFSET: 3
; COMPUTE_PGM_RSRC3_GFX90A:TG_SPLIT: 0
	.section	.text._ZN4vllm38concat_and_cache_mla_rope_fused_kernelIN3c104HalfES2_Lb0EttLNS_18Fp8KVCacheDataTypeE0EEEvPKlPT_S7_PKS6_PKT0_illlliPT3_S5_iiiiPKf,"axG",@progbits,_ZN4vllm38concat_and_cache_mla_rope_fused_kernelIN3c104HalfES2_Lb0EttLNS_18Fp8KVCacheDataTypeE0EEEvPKlPT_S7_PKS6_PKT0_illlliPT3_S5_iiiiPKf,comdat
	.protected	_ZN4vllm38concat_and_cache_mla_rope_fused_kernelIN3c104HalfES2_Lb0EttLNS_18Fp8KVCacheDataTypeE0EEEvPKlPT_S7_PKS6_PKT0_illlliPT3_S5_iiiiPKf ; -- Begin function _ZN4vllm38concat_and_cache_mla_rope_fused_kernelIN3c104HalfES2_Lb0EttLNS_18Fp8KVCacheDataTypeE0EEEvPKlPT_S7_PKS6_PKT0_illlliPT3_S5_iiiiPKf
	.globl	_ZN4vllm38concat_and_cache_mla_rope_fused_kernelIN3c104HalfES2_Lb0EttLNS_18Fp8KVCacheDataTypeE0EEEvPKlPT_S7_PKS6_PKT0_illlliPT3_S5_iiiiPKf
	.p2align	8
	.type	_ZN4vllm38concat_and_cache_mla_rope_fused_kernelIN3c104HalfES2_Lb0EttLNS_18Fp8KVCacheDataTypeE0EEEvPKlPT_S7_PKS6_PKT0_illlliPT3_S5_iiiiPKf,@function
_ZN4vllm38concat_and_cache_mla_rope_fused_kernelIN3c104HalfES2_Lb0EttLNS_18Fp8KVCacheDataTypeE0EEEvPKlPT_S7_PKS6_PKT0_illlliPT3_S5_iiiiPKf: ; @_ZN4vllm38concat_and_cache_mla_rope_fused_kernelIN3c104HalfES2_Lb0EttLNS_18Fp8KVCacheDataTypeE0EEEvPKlPT_S7_PKS6_PKT0_illlliPT3_S5_iiiiPKf
; %bb.0:
	s_load_dwordx2 s[2:3], s[4:5], 0x60
	s_mov_b32 s7, 0
	s_lshl_b64 s[0:1], s[6:7], 3
	s_waitcnt lgkmcnt(0)
	s_add_u32 s2, s2, s0
	s_addc_u32 s3, s3, s1
	s_load_dwordx2 s[24:25], s[2:3], 0x0
	s_waitcnt lgkmcnt(0)
	v_cmp_lt_i64_e64 s[2:3], s[24:25], 0
	s_and_b64 vcc, exec, s[2:3]
	s_cbranch_vccnz .LBB27_13
; %bb.1:
	s_load_dword s7, s[4:5], 0x28
	s_load_dwordx2 s[2:3], s[4:5], 0x0
	s_load_dwordx4 s[16:19], s[4:5], 0x10
	v_lshlrev_b32_e32 v1, 1, v0
	s_waitcnt lgkmcnt(0)
	s_ashr_i32 s26, s7, 31
	s_add_u32 s0, s2, s0
	s_addc_u32 s1, s3, s1
	s_load_dwordx2 s[20:21], s[0:1], 0x0
	s_load_dwordx2 s[22:23], s[4:5], 0x20
	s_load_dwordx8 s[8:15], s[4:5], 0x30
	s_load_dwordx2 s[2:3], s[4:5], 0x58
	s_load_dword s28, s[4:5], 0x50
	s_waitcnt lgkmcnt(0)
	s_mul_i32 s0, s20, s26
	s_mul_hi_u32 s1, s20, s7
	s_mul_i32 s21, s21, s7
	s_add_i32 s0, s1, s0
	s_add_i32 s27, s0, s21
	s_lshr_b32 s0, s7, 31
	s_mul_i32 s26, s20, s7
	s_add_i32 s7, s7, s0
	s_ashr_i32 s20, s7, 1
	s_mul_i32 s7, s20, s28
	v_cmp_gt_i32_e32 vcc, s7, v0
	s_and_saveexec_b64 s[0:1], vcc
	s_cbranch_execz .LBB27_4
; %bb.2:
	s_lshl_b64 s[28:29], s[26:27], 1
	s_add_u32 s30, s22, s28
	s_addc_u32 s38, s23, s29
	s_load_dwordx2 s[28:29], s[4:5], 0x8
	s_load_dword s34, s[4:5], 0x8c
	s_mul_i32 s9, s6, s9
	s_mul_hi_u32 s31, s6, s8
	s_add_i32 s9, s31, s9
	s_mul_i32 s8, s6, s8
	s_ashr_i32 s21, s20, 31
	s_lshl_b64 s[8:9], s[8:9], 1
	s_waitcnt lgkmcnt(0)
	s_add_u32 s31, s28, s8
	s_addc_u32 s39, s29, s9
	s_abs_i32 s33, s20
	v_cvt_f32_u32_e32 v2, s33
	s_sub_i32 s8, 0, s33
	s_and_b32 s34, s34, 0xffff
	s_lshl_b64 s[28:29], s[20:21], 1
	v_rcp_iflag_f32_e32 v2, v2
	s_sub_i32 s35, 0, s20
	s_lshl_b32 s37, s34, 1
	v_mov_b32_e32 v5, s38
	v_mul_f32_e32 v2, 0x4f7ffffe, v2
	v_cvt_u32_f32_e32 v2, v2
	v_mov_b32_e32 v6, s29
	v_mov_b32_e32 v7, s39
	;; [unrolled: 1-line block ×3, first 2 shown]
	v_mul_lo_u32 v3, s8, v2
	v_mul_hi_u32 v3, v2, v3
	s_lshl_b32 s8, s20, 1
	v_add_u32_e32 v3, v2, v3
	s_sub_i32 s36, 0, s8
	s_mov_b64 s[8:9], 0
	v_mov_b32_e32 v2, v1
.LBB27_3:                               ; =>This Inner Loop Header: Depth=1
	v_sub_u32_e32 v9, 0, v4
	v_max_i32_e32 v9, v4, v9
	v_mul_hi_u32 v10, v9, v3
	v_mul_lo_u32 v11, v10, s33
	v_sub_u32_e32 v9, v9, v11
	v_add_u32_e32 v12, 1, v10
	v_cmp_le_u32_e32 vcc, s33, v9
	v_subrev_u32_e32 v11, s33, v9
	v_cndmask_b32_e32 v10, v10, v12, vcc
	v_cndmask_b32_e32 v9, v9, v11, vcc
	v_ashrrev_i32_e32 v8, 31, v4
	v_add_u32_e32 v11, 1, v10
	v_cmp_le_u32_e32 vcc, s33, v9
	v_xor_b32_e32 v8, s21, v8
	v_cndmask_b32_e32 v9, v10, v11, vcc
	v_xor_b32_e32 v9, v9, v8
	v_sub_u32_e32 v12, v9, v8
	v_mad_u64_u32 v[8:9], s[38:39], s35, v12, v[4:5]
	v_ashrrev_i32_e32 v9, 31, v8
	v_lshlrev_b64 v[8:9], 1, v[8:9]
	v_ashrrev_i32_e32 v14, 31, v12
	v_add_co_u32_e32 v8, vcc, s30, v8
	v_mul_lo_u32 v15, v12, s11
	v_mad_u64_u32 v[10:11], s[38:39], v12, s10, 0
	v_mul_lo_u32 v14, v14, s10
	v_addc_co_u32_e32 v9, vcc, v5, v9, vcc
	v_add3_u32 v11, v11, v15, v14
	v_add_co_u32_e32 v14, vcc, s28, v8
	v_mad_u64_u32 v[12:13], s[38:39], s36, v12, v[2:3]
	v_lshlrev_b64 v[10:11], 1, v[10:11]
	v_addc_co_u32_e32 v15, vcc, v9, v6, vcc
	v_ashrrev_i32_e32 v13, 31, v12
	v_add_co_u32_e32 v10, vcc, s31, v10
	v_lshlrev_b64 v[12:13], 1, v[12:13]
	v_addc_co_u32_e32 v11, vcc, v7, v11, vcc
	global_load_ushort v16, v[8:9], off
	global_load_ushort v17, v[14:15], off
	v_add_co_u32_e32 v8, vcc, v10, v12
	v_addc_co_u32_e32 v9, vcc, v11, v13, vcc
	global_load_dword v10, v[8:9], off
	v_add_u32_e32 v4, s34, v4
	v_cmp_le_i32_e32 vcc, s7, v4
	v_add_u32_e32 v2, s37, v2
	s_or_b64 s[8:9], vcc, s[8:9]
	s_waitcnt vmcnt(0)
	v_mul_f16_sdwa v11, v17, v10 dst_sel:DWORD dst_unused:UNUSED_PAD src0_sel:DWORD src1_sel:WORD_1
	v_mul_f16_sdwa v12, v16, v10 dst_sel:DWORD dst_unused:UNUSED_PAD src0_sel:DWORD src1_sel:WORD_1
	v_fma_f16 v11, v16, v10, -v11
	v_fma_f16 v10, v17, v10, v12
	v_pack_b32_f16 v10, v11, v10
	global_store_dword v[8:9], v10, off
	s_andn2_b64 exec, exec, s[8:9]
	s_cbranch_execnz .LBB27_3
.LBB27_4:
	s_or_b64 exec, exec, s[0:1]
	s_load_dwordx4 s[8:11], s[4:5], 0x68
	s_waitcnt lgkmcnt(0)
	s_ashr_i32 s29, s11, 31
	s_mov_b32 s28, s11
	s_or_b64 s[0:1], s[24:25], s[28:29]
	s_mov_b32 s0, 0
	s_cmp_lg_u64 s[0:1], 0
	s_cbranch_scc0 .LBB27_14
; %bb.5:
	s_add_u32 s0, s28, s29
	s_mov_b32 s34, s29
	s_mov_b32 s35, s29
	s_addc_u32 s1, s29, s29
	s_xor_b64 s[36:37], s[0:1], s[34:35]
	v_cvt_f32_u32_e32 v2, s36
	v_cvt_f32_u32_e32 v3, s37
	s_sub_u32 s0, 0, s36
	s_subb_u32 s1, 0, s37
	v_madmk_f32 v2, v3, 0x4f800000, v2
	v_rcp_f32_e32 v2, v2
	v_mul_f32_e32 v2, 0x5f7ffffc, v2
	v_mul_f32_e32 v3, 0x2f800000, v2
	v_trunc_f32_e32 v3, v3
	v_madmk_f32 v2, v3, 0xcf800000, v2
	v_cvt_u32_f32_e32 v3, v3
	v_cvt_u32_f32_e32 v2, v2
	v_readfirstlane_b32 s7, v3
	v_readfirstlane_b32 s11, v2
	s_mul_i32 s21, s0, s7
	s_mul_hi_u32 s38, s0, s11
	s_mul_i32 s33, s1, s11
	s_add_i32 s21, s38, s21
	s_add_i32 s21, s21, s33
	s_mul_i32 s39, s0, s11
	s_mul_hi_u32 s33, s11, s21
	s_mul_i32 s38, s11, s21
	s_mul_hi_u32 s11, s11, s39
	s_add_u32 s11, s11, s38
	s_addc_u32 s33, 0, s33
	s_mul_hi_u32 s40, s7, s39
	s_mul_i32 s39, s7, s39
	s_add_u32 s11, s11, s39
	s_mul_hi_u32 s38, s7, s21
	s_addc_u32 s11, s33, s40
	s_addc_u32 s33, s38, 0
	s_mul_i32 s21, s7, s21
	s_add_u32 s11, s11, s21
	s_addc_u32 s21, 0, s33
	v_add_co_u32_e32 v2, vcc, s11, v2
	s_cmp_lg_u64 vcc, 0
	s_addc_u32 s7, s7, s21
	v_readfirstlane_b32 s21, v2
	s_mul_i32 s11, s0, s7
	s_mul_hi_u32 s33, s0, s21
	s_add_i32 s11, s33, s11
	s_mul_i32 s1, s1, s21
	s_add_i32 s11, s11, s1
	s_mul_i32 s0, s0, s21
	s_mul_hi_u32 s33, s7, s0
	s_mul_i32 s38, s7, s0
	s_mul_i32 s40, s21, s11
	s_mul_hi_u32 s0, s21, s0
	s_mul_hi_u32 s39, s21, s11
	s_add_u32 s0, s0, s40
	s_addc_u32 s21, 0, s39
	s_add_u32 s0, s0, s38
	s_mul_hi_u32 s1, s7, s11
	s_addc_u32 s0, s21, s33
	s_addc_u32 s1, s1, 0
	s_mul_i32 s11, s7, s11
	s_add_u32 s0, s0, s11
	s_addc_u32 s1, 0, s1
	v_add_co_u32_e32 v2, vcc, s0, v2
	s_cmp_lg_u64 vcc, 0
	s_addc_u32 s7, s7, s1
	s_ashr_i32 s38, s25, 31
	s_add_u32 s0, s24, s38
	s_mov_b32 s39, s38
	s_addc_u32 s1, s25, s38
	s_xor_b64 s[40:41], s[0:1], s[38:39]
	v_readfirstlane_b32 s11, v2
	s_mul_i32 s1, s40, s7
	s_mul_hi_u32 s21, s40, s11
	s_mul_hi_u32 s0, s40, s7
	s_add_u32 s1, s21, s1
	s_addc_u32 s0, 0, s0
	s_mul_hi_u32 s33, s41, s11
	s_mul_i32 s11, s41, s11
	s_add_u32 s1, s1, s11
	s_mul_hi_u32 s21, s41, s7
	s_addc_u32 s0, s0, s33
	s_addc_u32 s1, s21, 0
	s_mul_i32 s7, s41, s7
	s_add_u32 s7, s0, s7
	s_addc_u32 s11, 0, s1
	s_mul_i32 s0, s36, s11
	s_mul_hi_u32 s1, s36, s7
	s_add_i32 s0, s1, s0
	s_mul_i32 s1, s37, s7
	s_add_i32 s21, s0, s1
	s_mul_i32 s1, s36, s7
	v_mov_b32_e32 v2, s1
	s_sub_i32 s0, s41, s21
	v_sub_co_u32_e32 v2, vcc, s40, v2
	s_cmp_lg_u64 vcc, 0
	s_subb_u32 s33, s0, s37
	v_subrev_co_u32_e64 v3, s[0:1], s36, v2
	s_cmp_lg_u64 s[0:1], 0
	s_subb_u32 s0, s33, 0
	s_cmp_ge_u32 s0, s37
	v_readfirstlane_b32 s33, v3
	s_cselect_b32 s1, -1, 0
	s_cmp_ge_u32 s33, s36
	s_cselect_b32 s33, -1, 0
	s_cmp_eq_u32 s0, s37
	s_cselect_b32 s0, s33, s1
	s_add_u32 s1, s7, 1
	s_addc_u32 s33, s11, 0
	s_add_u32 s40, s7, 2
	s_addc_u32 s42, s11, 0
	s_cmp_lg_u32 s0, 0
	s_cselect_b32 s0, s40, s1
	s_cselect_b32 s1, s42, s33
	s_cmp_lg_u64 vcc, 0
	s_subb_u32 s21, s41, s21
	s_cmp_ge_u32 s21, s37
	v_readfirstlane_b32 s40, v2
	s_cselect_b32 s33, -1, 0
	s_cmp_ge_u32 s40, s36
	s_cselect_b32 s36, -1, 0
	s_cmp_eq_u32 s21, s37
	s_cselect_b32 s21, s36, s33
	s_cmp_lg_u32 s21, 0
	s_cselect_b32 s1, s1, s11
	s_cselect_b32 s0, s0, s7
	s_xor_b64 s[34:35], s[38:39], s[34:35]
	s_xor_b64 s[0:1], s[0:1], s[34:35]
	s_sub_u32 s0, s0, s34
	s_subb_u32 s1, s1, s35
	s_cbranch_execnz .LBB27_7
.LBB27_6:
	v_cvt_f32_u32_e32 v2, s28
	s_sub_i32 s0, 0, s28
	s_mov_b32 s1, 0
	v_rcp_iflag_f32_e32 v2, v2
	v_mul_f32_e32 v2, 0x4f7ffffe, v2
	v_cvt_u32_f32_e32 v2, v2
	v_readfirstlane_b32 s7, v2
	s_mul_i32 s0, s0, s7
	s_mul_hi_u32 s0, s7, s0
	s_add_i32 s7, s7, s0
	s_mul_hi_u32 s0, s24, s7
	s_mul_i32 s11, s0, s28
	s_sub_i32 s11, s24, s11
	s_add_i32 s7, s0, 1
	s_sub_i32 s21, s11, s28
	s_cmp_ge_u32 s11, s28
	s_cselect_b32 s0, s7, s0
	s_cselect_b32 s11, s21, s11
	s_add_i32 s7, s0, 1
	s_cmp_ge_u32 s11, s28
	s_cselect_b32 s0, s7, s0
.LBB27_7:
	s_mul_i32 s7, s0, s29
	s_mul_hi_u32 s11, s0, s28
	s_add_i32 s7, s11, s7
	s_mul_i32 s11, s1, s28
	s_add_i32 s11, s7, s11
	s_mul_i32 s7, s0, s28
	s_sub_u32 s7, s24, s7
	s_subb_u32 s11, s25, s11
	v_cmp_gt_i32_e32 vcc, s20, v0
	s_mul_hi_u32 s34, s0, s8
	s_mul_i32 s35, s1, s8
	s_mul_i32 s28, s0, s8
	s_mul_hi_u32 s33, s7, s9
	s_mul_i32 s1, s11, s9
	s_mul_i32 s24, s7, s9
	s_and_saveexec_b64 s[30:31], vcc
	s_cbranch_execz .LBB27_10
; %bb.8:
	s_load_dword s25, s[4:5], 0x8c
	s_ashr_i32 s21, s20, 31
	s_ashr_i32 s29, s8, 31
	;; [unrolled: 1-line block ×4, first 2 shown]
	s_waitcnt lgkmcnt(0)
	s_and_b32 s36, s25, 0xffff
	s_lshl_b64 s[26:27], s[26:27], 1
	s_add_u32 s22, s22, s26
	s_addc_u32 s23, s23, s27
	v_mov_b32_e32 v3, s23
	v_add_co_u32_e32 v2, vcc, s22, v1
	s_lshl_b64 s[22:23], s[20:21], 1
	s_mul_i32 s21, s0, s29
	s_add_i32 s21, s34, s21
	s_add_i32 s29, s21, s35
	s_mul_i32 s21, s7, s37
	s_add_i32 s21, s33, s21
	s_add_i32 s25, s21, s1
	s_lshl_b32 s26, s36, 1
	s_lshl_b64 s[38:39], s[28:29], 1
	s_lshl_b64 s[40:41], s[24:25], 1
	s_add_u32 s21, s38, s40
	s_addc_u32 s25, s39, s41
	s_lshl_b64 s[38:39], s[10:11], 1
	s_add_u32 s11, s2, s38
	s_addc_u32 s27, s3, s39
	s_add_u32 s11, s11, s21
	s_addc_u32 s21, s27, s25
	v_addc_co_u32_e32 v3, vcc, 0, v3, vcc
	v_lshlrev_b32_e32 v5, 2, v0
	v_mov_b32_e32 v1, s21
	s_mul_i32 s13, s13, s6
	s_mul_hi_u32 s21, s12, s6
	v_add_co_u32_e32 v4, vcc, s11, v5
	s_add_i32 s13, s21, s13
	s_mul_i32 s12, s12, s6
	v_addc_co_u32_e32 v6, vcc, 0, v1, vcc
	s_lshl_b32 s11, s36, 2
	s_lshl_b64 s[12:13], s[12:13], 1
	v_add_co_u32_e32 v1, vcc, 2, v4
	s_add_u32 s12, s16, s12
	v_addc_co_u32_e32 v4, vcc, 0, v6, vcc
	s_addc_u32 s13, s17, s13
	s_mov_b32 s42, 0
	v_mov_b32_e32 v6, s13
	v_add_co_u32_e32 v5, vcc, s12, v5
	v_addc_co_u32_e32 v6, vcc, 0, v6, vcc
	s_mov_b64 s[12:13], 0
	v_mov_b32_e32 v7, s23
	v_mov_b32_e32 v8, s42
	s_mov_b64 s[16:17], 0
	v_mov_b32_e32 v9, v0
.LBB27_9:                               ; =>This Inner Loop Header: Depth=1
	v_add_co_u32_e32 v10, vcc, s22, v2
	v_addc_co_u32_e32 v11, vcc, v3, v7, vcc
	v_mov_b32_e32 v15, s17
	v_add_co_u32_e32 v12, vcc, s16, v5
	v_addc_co_u32_e32 v13, vcc, v6, v15, vcc
	global_load_ushort v14, v[2:3], off
	global_load_ushort v16, v[10:11], off
	global_load_dword v17, v[12:13], off
	v_add_co_u32_e32 v2, vcc, s26, v2
	v_addc_co_u32_e32 v3, vcc, v3, v8, vcc
	v_add_co_u32_e32 v10, vcc, s16, v1
	v_add_u32_e32 v9, s36, v9
	s_add_u32 s16, s16, s11
	v_addc_co_u32_e32 v11, vcc, v4, v15, vcc
	s_addc_u32 s17, s17, 0
	v_cmp_le_i32_e32 vcc, s20, v9
	s_or_b64 s[12:13], vcc, s[12:13]
	s_waitcnt vmcnt(0)
	v_mul_f16_sdwa v15, v16, v17 dst_sel:DWORD dst_unused:UNUSED_PAD src0_sel:DWORD src1_sel:WORD_1
	v_mul_f16_sdwa v18, v14, v17 dst_sel:DWORD dst_unused:UNUSED_PAD src0_sel:DWORD src1_sel:WORD_1
	v_fma_f16 v14, v14, v17, -v15
	v_fma_f16 v15, v16, v17, v18
	v_pack_b32_f16 v14, v14, v15
	global_store_dword v[12:13], v14, off
	global_store_dword v[10:11], v14, off offset:-2
	s_andn2_b64 exec, exec, s[12:13]
	s_cbranch_execnz .LBB27_9
.LBB27_10:
	s_or_b64 exec, exec, s[30:31]
	v_cmp_gt_i32_e32 vcc, s10, v0
	s_and_saveexec_b64 s[12:13], vcc
	s_cbranch_execz .LBB27_13
; %bb.11:
	s_mul_i32 s11, s6, s15
	s_mul_hi_u32 s12, s6, s14
	s_add_i32 s13, s12, s11
	s_mul_i32 s12, s6, s14
	s_lshl_b64 s[12:13], s[12:13], 1
	s_add_u32 s6, s18, s12
	s_addc_u32 s11, s19, s13
	s_ashr_i32 s8, s8, 31
	s_mul_i32 s0, s0, s8
	s_add_i32 s0, s34, s0
	s_add_i32 s29, s0, s35
	s_lshl_b64 s[12:13], s[28:29], 1
	s_add_u32 s2, s2, s12
	s_addc_u32 s3, s3, s13
	s_ashr_i32 s0, s9, 31
	s_mul_i32 s7, s7, s0
	s_add_i32 s0, s33, s7
	s_load_dword s4, s[4:5], 0x8c
	s_add_i32 s25, s0, s1
	s_lshl_b64 s[0:1], s[24:25], 1
	s_add_u32 s2, s2, s0
	s_addc_u32 s5, s3, s1
	s_waitcnt lgkmcnt(0)
	s_and_b32 s3, s4, 0xffff
	s_mov_b64 s[0:1], 0
	v_mov_b32_e32 v2, s11
	v_mov_b32_e32 v3, s5
.LBB27_12:                              ; =>This Inner Loop Header: Depth=1
	v_ashrrev_i32_e32 v1, 31, v0
	v_lshlrev_b64 v[4:5], 1, v[0:1]
	v_add_co_u32_e32 v6, vcc, s6, v4
	v_addc_co_u32_e32 v7, vcc, v2, v5, vcc
	global_load_ushort v1, v[6:7], off
	v_add_co_u32_e32 v4, vcc, s2, v4
	v_addc_co_u32_e32 v5, vcc, v3, v5, vcc
	v_add_u32_e32 v0, s3, v0
	v_cmp_le_i32_e32 vcc, s10, v0
	s_or_b64 s[0:1], vcc, s[0:1]
	s_waitcnt vmcnt(0)
	global_store_short v[4:5], v1, off
	s_andn2_b64 exec, exec, s[0:1]
	s_cbranch_execnz .LBB27_12
.LBB27_13:
	s_endpgm
.LBB27_14:
                                        ; implicit-def: $sgpr0_sgpr1
	s_branch .LBB27_6
	.section	.rodata,"a",@progbits
	.p2align	6, 0x0
	.amdhsa_kernel _ZN4vllm38concat_and_cache_mla_rope_fused_kernelIN3c104HalfES2_Lb0EttLNS_18Fp8KVCacheDataTypeE0EEEvPKlPT_S7_PKS6_PKT0_illlliPT3_S5_iiiiPKf
		.amdhsa_group_segment_fixed_size 0
		.amdhsa_private_segment_fixed_size 0
		.amdhsa_kernarg_size 384
		.amdhsa_user_sgpr_count 6
		.amdhsa_user_sgpr_private_segment_buffer 1
		.amdhsa_user_sgpr_dispatch_ptr 0
		.amdhsa_user_sgpr_queue_ptr 0
		.amdhsa_user_sgpr_kernarg_segment_ptr 1
		.amdhsa_user_sgpr_dispatch_id 0
		.amdhsa_user_sgpr_flat_scratch_init 0
		.amdhsa_user_sgpr_kernarg_preload_length 0
		.amdhsa_user_sgpr_kernarg_preload_offset 0
		.amdhsa_user_sgpr_private_segment_size 0
		.amdhsa_uses_dynamic_stack 0
		.amdhsa_system_sgpr_private_segment_wavefront_offset 0
		.amdhsa_system_sgpr_workgroup_id_x 1
		.amdhsa_system_sgpr_workgroup_id_y 0
		.amdhsa_system_sgpr_workgroup_id_z 0
		.amdhsa_system_sgpr_workgroup_info 0
		.amdhsa_system_vgpr_workitem_id 0
		.amdhsa_next_free_vgpr 19
		.amdhsa_next_free_sgpr 43
		.amdhsa_accum_offset 20
		.amdhsa_reserve_vcc 1
		.amdhsa_reserve_flat_scratch 0
		.amdhsa_float_round_mode_32 0
		.amdhsa_float_round_mode_16_64 0
		.amdhsa_float_denorm_mode_32 3
		.amdhsa_float_denorm_mode_16_64 3
		.amdhsa_dx10_clamp 1
		.amdhsa_ieee_mode 1
		.amdhsa_fp16_overflow 0
		.amdhsa_tg_split 0
		.amdhsa_exception_fp_ieee_invalid_op 0
		.amdhsa_exception_fp_denorm_src 0
		.amdhsa_exception_fp_ieee_div_zero 0
		.amdhsa_exception_fp_ieee_overflow 0
		.amdhsa_exception_fp_ieee_underflow 0
		.amdhsa_exception_fp_ieee_inexact 0
		.amdhsa_exception_int_div_zero 0
	.end_amdhsa_kernel
	.section	.text._ZN4vllm38concat_and_cache_mla_rope_fused_kernelIN3c104HalfES2_Lb0EttLNS_18Fp8KVCacheDataTypeE0EEEvPKlPT_S7_PKS6_PKT0_illlliPT3_S5_iiiiPKf,"axG",@progbits,_ZN4vllm38concat_and_cache_mla_rope_fused_kernelIN3c104HalfES2_Lb0EttLNS_18Fp8KVCacheDataTypeE0EEEvPKlPT_S7_PKS6_PKT0_illlliPT3_S5_iiiiPKf,comdat
.Lfunc_end27:
	.size	_ZN4vllm38concat_and_cache_mla_rope_fused_kernelIN3c104HalfES2_Lb0EttLNS_18Fp8KVCacheDataTypeE0EEEvPKlPT_S7_PKS6_PKT0_illlliPT3_S5_iiiiPKf, .Lfunc_end27-_ZN4vllm38concat_and_cache_mla_rope_fused_kernelIN3c104HalfES2_Lb0EttLNS_18Fp8KVCacheDataTypeE0EEEvPKlPT_S7_PKS6_PKT0_illlliPT3_S5_iiiiPKf
                                        ; -- End function
	.section	.AMDGPU.csdata,"",@progbits
; Kernel info:
; codeLenInByte = 1976
; NumSgprs: 47
; NumVgprs: 19
; NumAgprs: 0
; TotalNumVgprs: 19
; ScratchSize: 0
; MemoryBound: 0
; FloatMode: 240
; IeeeMode: 1
; LDSByteSize: 0 bytes/workgroup (compile time only)
; SGPRBlocks: 5
; VGPRBlocks: 2
; NumSGPRsForWavesPerEU: 47
; NumVGPRsForWavesPerEU: 19
; AccumOffset: 20
; Occupancy: 8
; WaveLimiterHint : 1
; COMPUTE_PGM_RSRC2:SCRATCH_EN: 0
; COMPUTE_PGM_RSRC2:USER_SGPR: 6
; COMPUTE_PGM_RSRC2:TRAP_HANDLER: 0
; COMPUTE_PGM_RSRC2:TGID_X_EN: 1
; COMPUTE_PGM_RSRC2:TGID_Y_EN: 0
; COMPUTE_PGM_RSRC2:TGID_Z_EN: 0
; COMPUTE_PGM_RSRC2:TIDIG_COMP_CNT: 0
; COMPUTE_PGM_RSRC3_GFX90A:ACCUM_OFFSET: 4
; COMPUTE_PGM_RSRC3_GFX90A:TG_SPLIT: 0
	.section	.text._ZN4vllm38concat_and_cache_mla_rope_fused_kernelIN3c104HalfENS1_8BFloat16ELb1EttLNS_18Fp8KVCacheDataTypeE0EEEvPKlPT_S8_PKS7_PKT0_illlliPT3_S6_iiiiPKf,"axG",@progbits,_ZN4vllm38concat_and_cache_mla_rope_fused_kernelIN3c104HalfENS1_8BFloat16ELb1EttLNS_18Fp8KVCacheDataTypeE0EEEvPKlPT_S8_PKS7_PKT0_illlliPT3_S6_iiiiPKf,comdat
	.protected	_ZN4vllm38concat_and_cache_mla_rope_fused_kernelIN3c104HalfENS1_8BFloat16ELb1EttLNS_18Fp8KVCacheDataTypeE0EEEvPKlPT_S8_PKS7_PKT0_illlliPT3_S6_iiiiPKf ; -- Begin function _ZN4vllm38concat_and_cache_mla_rope_fused_kernelIN3c104HalfENS1_8BFloat16ELb1EttLNS_18Fp8KVCacheDataTypeE0EEEvPKlPT_S8_PKS7_PKT0_illlliPT3_S6_iiiiPKf
	.globl	_ZN4vllm38concat_and_cache_mla_rope_fused_kernelIN3c104HalfENS1_8BFloat16ELb1EttLNS_18Fp8KVCacheDataTypeE0EEEvPKlPT_S8_PKS7_PKT0_illlliPT3_S6_iiiiPKf
	.p2align	8
	.type	_ZN4vllm38concat_and_cache_mla_rope_fused_kernelIN3c104HalfENS1_8BFloat16ELb1EttLNS_18Fp8KVCacheDataTypeE0EEEvPKlPT_S8_PKS7_PKT0_illlliPT3_S6_iiiiPKf,@function
_ZN4vllm38concat_and_cache_mla_rope_fused_kernelIN3c104HalfENS1_8BFloat16ELb1EttLNS_18Fp8KVCacheDataTypeE0EEEvPKlPT_S8_PKS7_PKT0_illlliPT3_S6_iiiiPKf: ; @_ZN4vllm38concat_and_cache_mla_rope_fused_kernelIN3c104HalfENS1_8BFloat16ELb1EttLNS_18Fp8KVCacheDataTypeE0EEEvPKlPT_S8_PKS7_PKT0_illlliPT3_S6_iiiiPKf
; %bb.0:
	s_load_dwordx2 s[2:3], s[4:5], 0x60
	s_mov_b32 s7, 0
	s_lshl_b64 s[0:1], s[6:7], 3
	s_waitcnt lgkmcnt(0)
	s_add_u32 s2, s2, s0
	s_addc_u32 s3, s3, s1
	s_load_dwordx2 s[30:31], s[2:3], 0x0
	s_waitcnt lgkmcnt(0)
	v_cmp_lt_i64_e64 s[2:3], s[30:31], 0
	s_and_b64 vcc, exec, s[2:3]
	s_cbranch_vccnz .LBB28_13
; %bb.1:
	s_load_dword s22, s[4:5], 0x28
	s_load_dwordx2 s[2:3], s[4:5], 0x0
	s_load_dwordx4 s[16:19], s[4:5], 0x10
	s_waitcnt lgkmcnt(0)
	s_ashr_i32 s7, s22, 31
	s_add_u32 s0, s2, s0
	s_addc_u32 s1, s3, s1
	s_load_dwordx2 s[20:21], s[0:1], 0x0
	s_load_dwordx2 s[2:3], s[4:5], 0x20
	s_load_dwordx8 s[8:15], s[4:5], 0x30
	s_load_dwordx2 s[24:25], s[4:5], 0x58
	s_load_dword s23, s[4:5], 0x50
	s_waitcnt lgkmcnt(0)
	s_mul_i32 s0, s20, s7
	s_mul_hi_u32 s1, s20, s22
	s_mul_i32 s7, s21, s22
	s_add_i32 s0, s1, s0
	s_add_i32 s1, s0, s7
	s_mul_i32 s0, s20, s22
	s_lshl_b64 s[28:29], s[0:1], 1
	s_add_u32 s7, s2, s28
	s_addc_u32 s33, s3, s29
	s_lshr_b32 s0, s22, 31
	s_add_i32 s22, s22, s0
	s_ashr_i32 s26, s22, 1
	s_mul_i32 s22, s26, s23
	v_cmp_gt_i32_e32 vcc, s22, v0
	s_and_saveexec_b64 s[0:1], vcc
	s_cbranch_execz .LBB28_4
; %bb.2:
	s_load_dwordx2 s[20:21], s[4:5], 0x8
	s_load_dword s35, s[4:5], 0x8c
	s_mul_i32 s9, s6, s9
	s_mul_hi_u32 s23, s6, s8
	s_add_i32 s9, s23, s9
	s_mul_i32 s8, s6, s8
	s_ashr_i32 s27, s26, 31
	s_lshl_b64 s[8:9], s[8:9], 1
	s_waitcnt lgkmcnt(0)
	s_add_u32 s23, s20, s8
	s_addc_u32 s37, s21, s9
	s_abs_i32 s34, s26
	v_cvt_f32_u32_e32 v1, s34
	s_sub_i32 s20, 0, s34
	s_mov_b64 s[8:9], 0
	s_and_b32 s35, s35, 0xffff
	v_rcp_iflag_f32_e32 v2, v1
	v_mov_b32_e32 v1, s33
	s_sub_i32 s36, 0, s26
	v_mov_b32_e32 v5, s37
	v_mul_f32_e32 v2, 0x4f7ffffe, v2
	v_cvt_u32_f32_e32 v2, v2
	v_mul_lo_u32 v3, s20, v2
	v_mul_hi_u32 v3, v2, v3
	s_lshl_b64 s[20:21], s[26:27], 1
	v_add_u32_e32 v3, v2, v3
	v_mov_b32_e32 v4, s21
	v_mov_b32_e32 v2, v0
.LBB28_3:                               ; =>This Inner Loop Header: Depth=1
	v_sub_u32_e32 v7, 0, v2
	v_max_i32_e32 v7, v2, v7
	v_mul_hi_u32 v8, v7, v3
	v_mul_lo_u32 v9, v8, s34
	v_sub_u32_e32 v7, v7, v9
	v_add_u32_e32 v10, 1, v8
	v_cmp_le_u32_e32 vcc, s34, v7
	v_subrev_u32_e32 v9, s34, v7
	v_cndmask_b32_e32 v8, v8, v10, vcc
	v_cndmask_b32_e32 v7, v7, v9, vcc
	v_ashrrev_i32_e32 v6, 31, v2
	v_add_u32_e32 v9, 1, v8
	v_cmp_le_u32_e32 vcc, s34, v7
	v_xor_b32_e32 v6, s27, v6
	v_cndmask_b32_e32 v7, v8, v9, vcc
	v_xor_b32_e32 v7, v7, v6
	v_sub_u32_e32 v8, v7, v6
	v_mad_u64_u32 v[6:7], s[38:39], s36, v8, v[2:3]
	v_ashrrev_i32_e32 v10, 31, v8
	v_ashrrev_i32_e32 v7, 31, v6
	v_mul_lo_u32 v11, v8, s11
	v_mad_u64_u32 v[8:9], s[38:39], v8, s10, 0
	v_mul_lo_u32 v10, v10, s10
	v_lshlrev_b64 v[6:7], 1, v[6:7]
	v_add3_u32 v9, v9, v11, v10
	v_add_co_u32_e32 v10, vcc, s7, v6
	v_addc_co_u32_e32 v11, vcc, v1, v7, vcc
	v_add_co_u32_e32 v12, vcc, s20, v10
	v_lshlrev_b64 v[8:9], 1, v[8:9]
	v_addc_co_u32_e32 v13, vcc, v11, v4, vcc
	v_add_co_u32_e32 v8, vcc, s23, v8
	global_load_ushort v14, v[10:11], off
	global_load_ushort v15, v[12:13], off
	v_addc_co_u32_e32 v9, vcc, v5, v9, vcc
	v_add_co_u32_e32 v6, vcc, v8, v6
	v_addc_co_u32_e32 v7, vcc, v9, v7, vcc
	v_add_co_u32_e32 v8, vcc, s20, v6
	v_addc_co_u32_e32 v9, vcc, v7, v4, vcc
	global_load_ushort v10, v[6:7], off
	global_load_ushort v11, v[8:9], off
	v_add_u32_e32 v2, s35, v2
	v_cmp_le_i32_e32 vcc, s22, v2
	s_or_b64 s[8:9], vcc, s[8:9]
	s_waitcnt vmcnt(3)
	v_lshlrev_b32_e32 v12, 16, v14
	s_waitcnt vmcnt(2)
	v_lshlrev_b32_e32 v13, 16, v15
	v_cvt_f16_f32_e32 v13, v13
	v_cvt_f16_f32_e32 v12, v12
	s_waitcnt vmcnt(0)
	v_mul_f16_e32 v14, v11, v13
	v_mul_f16_e32 v13, v10, v13
	v_fma_f16 v10, v10, v12, -v14
	v_fma_f16 v11, v11, v12, v13
	global_store_short v[6:7], v10, off
	global_store_short v[8:9], v11, off
	s_andn2_b64 exec, exec, s[8:9]
	s_cbranch_execnz .LBB28_3
.LBB28_4:
	s_or_b64 exec, exec, s[0:1]
	s_load_dwordx4 s[20:23], s[4:5], 0x68
	s_waitcnt lgkmcnt(0)
	s_ashr_i32 s9, s23, 31
	s_mov_b32 s8, s23
	s_or_b64 s[0:1], s[30:31], s[8:9]
	s_mov_b32 s0, 0
	s_cmp_lg_u64 s[0:1], 0
	s_cbranch_scc0 .LBB28_14
; %bb.5:
	s_add_u32 s0, s8, s9
	s_mov_b32 s10, s9
	s_mov_b32 s11, s9
	s_addc_u32 s1, s9, s9
	s_xor_b64 s[36:37], s[0:1], s[10:11]
	v_cvt_f32_u32_e32 v1, s36
	v_cvt_f32_u32_e32 v2, s37
	s_sub_u32 s0, 0, s36
	s_subb_u32 s1, 0, s37
	v_madmk_f32 v1, v2, 0x4f800000, v1
	v_rcp_f32_e32 v1, v1
	v_mul_f32_e32 v1, 0x5f7ffffc, v1
	v_mul_f32_e32 v2, 0x2f800000, v1
	v_trunc_f32_e32 v2, v2
	v_madmk_f32 v1, v2, 0xcf800000, v1
	v_cvt_u32_f32_e32 v2, v2
	v_cvt_u32_f32_e32 v1, v1
	v_readfirstlane_b32 s23, v2
	v_readfirstlane_b32 s27, v1
	s_mul_i32 s38, s0, s23
	s_mul_hi_u32 s40, s0, s27
	s_mul_i32 s39, s1, s27
	s_add_i32 s38, s40, s38
	s_add_i32 s38, s38, s39
	s_mul_i32 s41, s0, s27
	s_mul_hi_u32 s39, s27, s38
	s_mul_i32 s40, s27, s38
	s_mul_hi_u32 s27, s27, s41
	s_add_u32 s27, s27, s40
	s_addc_u32 s39, 0, s39
	s_mul_hi_u32 s42, s23, s41
	s_mul_i32 s41, s23, s41
	s_add_u32 s27, s27, s41
	s_mul_hi_u32 s40, s23, s38
	s_addc_u32 s27, s39, s42
	s_addc_u32 s39, s40, 0
	s_mul_i32 s38, s23, s38
	s_add_u32 s27, s27, s38
	s_addc_u32 s38, 0, s39
	v_add_co_u32_e32 v1, vcc, s27, v1
	s_cmp_lg_u64 vcc, 0
	s_addc_u32 s23, s23, s38
	v_readfirstlane_b32 s38, v1
	s_mul_i32 s27, s0, s23
	s_mul_hi_u32 s39, s0, s38
	s_add_i32 s27, s39, s27
	s_mul_i32 s1, s1, s38
	s_add_i32 s27, s27, s1
	s_mul_i32 s0, s0, s38
	s_mul_hi_u32 s39, s23, s0
	s_mul_i32 s40, s23, s0
	s_mul_i32 s42, s38, s27
	s_mul_hi_u32 s0, s38, s0
	s_mul_hi_u32 s41, s38, s27
	s_add_u32 s0, s0, s42
	s_addc_u32 s38, 0, s41
	s_add_u32 s0, s0, s40
	s_mul_hi_u32 s1, s23, s27
	s_addc_u32 s0, s38, s39
	s_addc_u32 s1, s1, 0
	s_mul_i32 s27, s23, s27
	s_add_u32 s0, s0, s27
	s_addc_u32 s1, 0, s1
	v_add_co_u32_e32 v1, vcc, s0, v1
	s_cmp_lg_u64 vcc, 0
	s_addc_u32 s23, s23, s1
	s_ashr_i32 s38, s31, 31
	s_add_u32 s0, s30, s38
	s_mov_b32 s39, s38
	s_addc_u32 s1, s31, s38
	s_xor_b64 s[40:41], s[0:1], s[38:39]
	v_readfirstlane_b32 s27, v1
	s_mul_i32 s1, s40, s23
	s_mul_hi_u32 s42, s40, s27
	s_mul_hi_u32 s0, s40, s23
	s_add_u32 s1, s42, s1
	s_addc_u32 s0, 0, s0
	s_mul_hi_u32 s43, s41, s27
	s_mul_i32 s27, s41, s27
	s_add_u32 s1, s1, s27
	s_mul_hi_u32 s42, s41, s23
	s_addc_u32 s0, s0, s43
	s_addc_u32 s1, s42, 0
	s_mul_i32 s23, s41, s23
	s_add_u32 s23, s0, s23
	s_addc_u32 s27, 0, s1
	s_mul_i32 s0, s36, s27
	s_mul_hi_u32 s1, s36, s23
	s_add_i32 s0, s1, s0
	s_mul_i32 s1, s37, s23
	s_add_i32 s42, s0, s1
	s_mul_i32 s1, s36, s23
	v_mov_b32_e32 v1, s1
	s_sub_i32 s0, s41, s42
	v_sub_co_u32_e32 v1, vcc, s40, v1
	s_cmp_lg_u64 vcc, 0
	s_subb_u32 s40, s0, s37
	v_subrev_co_u32_e64 v2, s[0:1], s36, v1
	s_cmp_lg_u64 s[0:1], 0
	s_subb_u32 s0, s40, 0
	s_cmp_ge_u32 s0, s37
	v_readfirstlane_b32 s40, v2
	s_cselect_b32 s1, -1, 0
	s_cmp_ge_u32 s40, s36
	s_cselect_b32 s40, -1, 0
	s_cmp_eq_u32 s0, s37
	s_cselect_b32 s0, s40, s1
	s_add_u32 s1, s23, 1
	s_addc_u32 s40, s27, 0
	s_add_u32 s43, s23, 2
	s_addc_u32 s44, s27, 0
	s_cmp_lg_u32 s0, 0
	s_cselect_b32 s0, s43, s1
	s_cselect_b32 s1, s44, s40
	s_cmp_lg_u64 vcc, 0
	s_subb_u32 s40, s41, s42
	s_cmp_ge_u32 s40, s37
	v_readfirstlane_b32 s42, v1
	s_cselect_b32 s41, -1, 0
	s_cmp_ge_u32 s42, s36
	s_cselect_b32 s36, -1, 0
	s_cmp_eq_u32 s40, s37
	s_cselect_b32 s36, s36, s41
	s_cmp_lg_u32 s36, 0
	s_cselect_b32 s1, s1, s27
	s_cselect_b32 s0, s0, s23
	s_xor_b64 s[10:11], s[38:39], s[10:11]
	s_xor_b64 s[0:1], s[0:1], s[10:11]
	s_sub_u32 s10, s0, s10
	s_subb_u32 s11, s1, s11
	s_cbranch_execnz .LBB28_7
.LBB28_6:
	v_cvt_f32_u32_e32 v1, s8
	s_sub_i32 s0, 0, s8
	s_mov_b32 s11, 0
	v_rcp_iflag_f32_e32 v1, v1
	v_mul_f32_e32 v1, 0x4f7ffffe, v1
	v_cvt_u32_f32_e32 v1, v1
	v_readfirstlane_b32 s1, v1
	s_mul_i32 s0, s0, s1
	s_mul_hi_u32 s0, s1, s0
	s_add_i32 s1, s1, s0
	s_mul_hi_u32 s0, s30, s1
	s_mul_i32 s10, s0, s8
	s_sub_i32 s10, s30, s10
	s_add_i32 s1, s0, 1
	s_sub_i32 s23, s10, s8
	s_cmp_ge_u32 s10, s8
	s_cselect_b32 s0, s1, s0
	s_cselect_b32 s10, s23, s10
	s_add_i32 s1, s0, 1
	s_cmp_ge_u32 s10, s8
	s_cselect_b32 s10, s1, s0
.LBB28_7:
	s_mul_i32 s0, s10, s9
	s_mul_hi_u32 s1, s10, s8
	s_add_i32 s0, s1, s0
	s_mul_i32 s1, s11, s8
	s_add_i32 s0, s0, s1
	s_mul_i32 s1, s10, s8
	s_sub_u32 s38, s30, s1
	s_subb_u32 s0, s31, s0
	v_cmp_gt_i32_e32 vcc, s26, v0
	s_mul_hi_u32 s40, s10, s20
	s_mul_i32 s41, s11, s20
	s_mul_i32 s34, s10, s20
	s_mul_hi_u32 s39, s38, s21
	s_mul_i32 s11, s0, s21
	s_mul_i32 s30, s38, s21
	s_and_saveexec_b64 s[36:37], vcc
	s_cbranch_execz .LBB28_10
; %bb.8:
	s_mul_i32 s0, s6, s13
	s_mul_hi_u32 s1, s6, s12
	s_add_i32 s1, s1, s0
	s_mul_i32 s0, s6, s12
	s_ashr_i32 s27, s26, 31
	s_lshl_b64 s[0:1], s[0:1], 1
	s_add_u32 s42, s16, s0
	s_addc_u32 s43, s17, s1
	s_ashr_i32 s8, s20, 31
	s_mul_i32 s8, s10, s8
	s_add_i32 s8, s40, s8
	s_add_i32 s35, s8, s41
	s_ashr_i32 s8, s21, 31
	s_mul_i32 s8, s38, s8
	s_add_i32 s8, s39, s8
	s_add_i32 s31, s8, s11
	s_lshl_b64 s[8:9], s[34:35], 1
	s_lshl_b64 s[12:13], s[30:31], 1
	s_add_u32 s45, s8, s12
	s_addc_u32 s46, s9, s13
	s_load_dword s35, s[4:5], 0x8c
	s_add_u32 s12, s45, s24
	s_addc_u32 s13, s46, s25
	s_ashr_i32 s23, s22, 31
	s_lshl_b64 s[8:9], s[22:23], 1
	s_add_u32 s23, s12, s8
	s_addc_u32 s31, s13, s9
	s_waitcnt lgkmcnt(0)
	s_and_b32 s35, s35, 0xffff
	s_lshl_b32 s44, s35, 1
	s_lshl_b64 s[12:13], s[26:27], 1
	s_add_u32 s27, s28, s12
	s_addc_u32 s28, s29, s13
	s_add_u32 s27, s2, s27
	s_addc_u32 s28, s3, s28
	;; [unrolled: 2-line block ×6, first 2 shown]
	s_add_u32 s29, s24, s0
	v_lshlrev_b32_e32 v2, 1, v0
	s_addc_u32 s45, s25, s1
	s_mov_b64 s[12:13], 0
	v_mov_b32_e32 v1, v0
.LBB28_9:                               ; =>This Inner Loop Header: Depth=1
	v_mov_b32_e32 v3, s33
	v_add_co_u32_e64 v10, s[8:9], s7, v2
	v_mov_b32_e32 v5, s28
	v_add_co_u32_e32 v4, vcc, s27, v2
	v_mov_b32_e32 v7, s43
	v_add_co_u32_e64 v6, s[0:1], s42, v2
	v_mov_b32_e32 v9, s17
	v_add_co_u32_e64 v8, s[2:3], s16, v2
	v_addc_co_u32_e64 v11, s[8:9], 0, v3, s[8:9]
	v_addc_co_u32_e32 v5, vcc, 0, v5, vcc
	v_addc_co_u32_e64 v7, vcc, 0, v7, s[0:1]
	v_addc_co_u32_e64 v9, vcc, 0, v9, s[2:3]
	global_load_ushort v3, v[10:11], off
	global_load_ushort v12, v[4:5], off
	;; [unrolled: 1-line block ×4, first 2 shown]
	s_add_u32 s7, s7, s44
	s_addc_u32 s33, s33, 0
	s_add_u32 s27, s27, s44
	s_addc_u32 s28, s28, 0
	;; [unrolled: 2-line block ×4, first 2 shown]
	v_add_co_u32_e32 v4, vcc, s29, v2
	s_add_u32 s29, s29, s44
	v_mov_b32_e32 v5, s31
	v_mov_b32_e32 v15, s45
	v_add_co_u32_e64 v10, s[0:1], s23, v2
	s_addc_u32 s45, s45, 0
	v_add_u32_e32 v1, s35, v1
	v_addc_co_u32_e64 v11, s[0:1], 0, v5, s[0:1]
	v_addc_co_u32_e32 v5, vcc, 0, v15, vcc
	s_add_u32 s23, s23, s44
	v_cmp_le_i32_e32 vcc, s26, v1
	s_addc_u32 s31, s31, 0
	s_or_b64 s[12:13], vcc, s[12:13]
	s_waitcnt vmcnt(3)
	v_lshlrev_b32_e32 v3, 16, v3
	s_waitcnt vmcnt(2)
	v_lshlrev_b32_e32 v12, 16, v12
	v_cvt_f16_f32_e32 v12, v12
	v_cvt_f16_f32_e32 v3, v3
	s_waitcnt vmcnt(1)
	v_mul_f16_e32 v15, v13, v12
	s_waitcnt vmcnt(0)
	v_mul_f16_e32 v12, v14, v12
	v_fma_f16 v14, v14, v3, -v15
	v_fma_f16 v3, v13, v3, v12
	global_store_short v[6:7], v14, off
	global_store_short v[8:9], v3, off
	;; [unrolled: 1-line block ×4, first 2 shown]
	s_andn2_b64 exec, exec, s[12:13]
	s_cbranch_execnz .LBB28_9
.LBB28_10:
	s_or_b64 exec, exec, s[36:37]
	v_cmp_gt_i32_e32 vcc, s22, v0
	s_and_saveexec_b64 s[0:1], vcc
	s_cbranch_execz .LBB28_13
; %bb.11:
	s_mul_i32 s0, s6, s15
	s_mul_hi_u32 s1, s6, s14
	s_add_i32 s1, s1, s0
	s_mul_i32 s0, s6, s14
	s_lshl_b64 s[0:1], s[0:1], 1
	s_add_u32 s2, s18, s0
	s_addc_u32 s6, s19, s1
	s_ashr_i32 s0, s20, 31
	s_mul_i32 s0, s10, s0
	s_add_i32 s0, s40, s0
	s_add_i32 s35, s0, s41
	s_lshl_b64 s[0:1], s[34:35], 1
	s_add_u32 s3, s24, s0
	s_addc_u32 s7, s25, s1
	s_ashr_i32 s0, s21, 31
	s_mul_i32 s38, s38, s0
	s_add_i32 s0, s39, s38
	s_load_dword s4, s[4:5], 0x8c
	s_add_i32 s31, s0, s11
	s_lshl_b64 s[0:1], s[30:31], 1
	s_add_u32 s3, s3, s0
	s_addc_u32 s5, s7, s1
	s_waitcnt lgkmcnt(0)
	s_and_b32 s4, s4, 0xffff
	s_mov_b64 s[0:1], 0
	v_mov_b32_e32 v2, s6
	v_mov_b32_e32 v3, s5
.LBB28_12:                              ; =>This Inner Loop Header: Depth=1
	v_ashrrev_i32_e32 v1, 31, v0
	v_lshlrev_b64 v[4:5], 1, v[0:1]
	v_add_co_u32_e32 v6, vcc, s2, v4
	v_addc_co_u32_e32 v7, vcc, v2, v5, vcc
	global_load_ushort v1, v[6:7], off
	v_add_co_u32_e32 v4, vcc, s3, v4
	v_addc_co_u32_e32 v5, vcc, v3, v5, vcc
	v_add_u32_e32 v0, s4, v0
	v_cmp_le_i32_e32 vcc, s22, v0
	s_or_b64 s[0:1], vcc, s[0:1]
	s_waitcnt vmcnt(0)
	global_store_short v[4:5], v1, off
	s_andn2_b64 exec, exec, s[0:1]
	s_cbranch_execnz .LBB28_12
.LBB28_13:
	s_endpgm
.LBB28_14:
                                        ; implicit-def: $sgpr10_sgpr11
	s_branch .LBB28_6
	.section	.rodata,"a",@progbits
	.p2align	6, 0x0
	.amdhsa_kernel _ZN4vllm38concat_and_cache_mla_rope_fused_kernelIN3c104HalfENS1_8BFloat16ELb1EttLNS_18Fp8KVCacheDataTypeE0EEEvPKlPT_S8_PKS7_PKT0_illlliPT3_S6_iiiiPKf
		.amdhsa_group_segment_fixed_size 0
		.amdhsa_private_segment_fixed_size 0
		.amdhsa_kernarg_size 384
		.amdhsa_user_sgpr_count 6
		.amdhsa_user_sgpr_private_segment_buffer 1
		.amdhsa_user_sgpr_dispatch_ptr 0
		.amdhsa_user_sgpr_queue_ptr 0
		.amdhsa_user_sgpr_kernarg_segment_ptr 1
		.amdhsa_user_sgpr_dispatch_id 0
		.amdhsa_user_sgpr_flat_scratch_init 0
		.amdhsa_user_sgpr_kernarg_preload_length 0
		.amdhsa_user_sgpr_kernarg_preload_offset 0
		.amdhsa_user_sgpr_private_segment_size 0
		.amdhsa_uses_dynamic_stack 0
		.amdhsa_system_sgpr_private_segment_wavefront_offset 0
		.amdhsa_system_sgpr_workgroup_id_x 1
		.amdhsa_system_sgpr_workgroup_id_y 0
		.amdhsa_system_sgpr_workgroup_id_z 0
		.amdhsa_system_sgpr_workgroup_info 0
		.amdhsa_system_vgpr_workitem_id 0
		.amdhsa_next_free_vgpr 16
		.amdhsa_next_free_sgpr 47
		.amdhsa_accum_offset 16
		.amdhsa_reserve_vcc 1
		.amdhsa_reserve_flat_scratch 0
		.amdhsa_float_round_mode_32 0
		.amdhsa_float_round_mode_16_64 0
		.amdhsa_float_denorm_mode_32 3
		.amdhsa_float_denorm_mode_16_64 3
		.amdhsa_dx10_clamp 1
		.amdhsa_ieee_mode 1
		.amdhsa_fp16_overflow 0
		.amdhsa_tg_split 0
		.amdhsa_exception_fp_ieee_invalid_op 0
		.amdhsa_exception_fp_denorm_src 0
		.amdhsa_exception_fp_ieee_div_zero 0
		.amdhsa_exception_fp_ieee_overflow 0
		.amdhsa_exception_fp_ieee_underflow 0
		.amdhsa_exception_fp_ieee_inexact 0
		.amdhsa_exception_int_div_zero 0
	.end_amdhsa_kernel
	.section	.text._ZN4vllm38concat_and_cache_mla_rope_fused_kernelIN3c104HalfENS1_8BFloat16ELb1EttLNS_18Fp8KVCacheDataTypeE0EEEvPKlPT_S8_PKS7_PKT0_illlliPT3_S6_iiiiPKf,"axG",@progbits,_ZN4vllm38concat_and_cache_mla_rope_fused_kernelIN3c104HalfENS1_8BFloat16ELb1EttLNS_18Fp8KVCacheDataTypeE0EEEvPKlPT_S8_PKS7_PKT0_illlliPT3_S6_iiiiPKf,comdat
.Lfunc_end28:
	.size	_ZN4vllm38concat_and_cache_mla_rope_fused_kernelIN3c104HalfENS1_8BFloat16ELb1EttLNS_18Fp8KVCacheDataTypeE0EEEvPKlPT_S8_PKS7_PKT0_illlliPT3_S6_iiiiPKf, .Lfunc_end28-_ZN4vllm38concat_and_cache_mla_rope_fused_kernelIN3c104HalfENS1_8BFloat16ELb1EttLNS_18Fp8KVCacheDataTypeE0EEEvPKlPT_S8_PKS7_PKT0_illlliPT3_S6_iiiiPKf
                                        ; -- End function
	.section	.AMDGPU.csdata,"",@progbits
; Kernel info:
; codeLenInByte = 2088
; NumSgprs: 51
; NumVgprs: 16
; NumAgprs: 0
; TotalNumVgprs: 16
; ScratchSize: 0
; MemoryBound: 0
; FloatMode: 240
; IeeeMode: 1
; LDSByteSize: 0 bytes/workgroup (compile time only)
; SGPRBlocks: 6
; VGPRBlocks: 1
; NumSGPRsForWavesPerEU: 51
; NumVGPRsForWavesPerEU: 16
; AccumOffset: 16
; Occupancy: 8
; WaveLimiterHint : 1
; COMPUTE_PGM_RSRC2:SCRATCH_EN: 0
; COMPUTE_PGM_RSRC2:USER_SGPR: 6
; COMPUTE_PGM_RSRC2:TRAP_HANDLER: 0
; COMPUTE_PGM_RSRC2:TGID_X_EN: 1
; COMPUTE_PGM_RSRC2:TGID_Y_EN: 0
; COMPUTE_PGM_RSRC2:TGID_Z_EN: 0
; COMPUTE_PGM_RSRC2:TIDIG_COMP_CNT: 0
; COMPUTE_PGM_RSRC3_GFX90A:ACCUM_OFFSET: 3
; COMPUTE_PGM_RSRC3_GFX90A:TG_SPLIT: 0
	.section	.text._ZN4vllm38concat_and_cache_mla_rope_fused_kernelIN3c104HalfENS1_8BFloat16ELb0EttLNS_18Fp8KVCacheDataTypeE0EEEvPKlPT_S8_PKS7_PKT0_illlliPT3_S6_iiiiPKf,"axG",@progbits,_ZN4vllm38concat_and_cache_mla_rope_fused_kernelIN3c104HalfENS1_8BFloat16ELb0EttLNS_18Fp8KVCacheDataTypeE0EEEvPKlPT_S8_PKS7_PKT0_illlliPT3_S6_iiiiPKf,comdat
	.protected	_ZN4vllm38concat_and_cache_mla_rope_fused_kernelIN3c104HalfENS1_8BFloat16ELb0EttLNS_18Fp8KVCacheDataTypeE0EEEvPKlPT_S8_PKS7_PKT0_illlliPT3_S6_iiiiPKf ; -- Begin function _ZN4vllm38concat_and_cache_mla_rope_fused_kernelIN3c104HalfENS1_8BFloat16ELb0EttLNS_18Fp8KVCacheDataTypeE0EEEvPKlPT_S8_PKS7_PKT0_illlliPT3_S6_iiiiPKf
	.globl	_ZN4vllm38concat_and_cache_mla_rope_fused_kernelIN3c104HalfENS1_8BFloat16ELb0EttLNS_18Fp8KVCacheDataTypeE0EEEvPKlPT_S8_PKS7_PKT0_illlliPT3_S6_iiiiPKf
	.p2align	8
	.type	_ZN4vllm38concat_and_cache_mla_rope_fused_kernelIN3c104HalfENS1_8BFloat16ELb0EttLNS_18Fp8KVCacheDataTypeE0EEEvPKlPT_S8_PKS7_PKT0_illlliPT3_S6_iiiiPKf,@function
_ZN4vllm38concat_and_cache_mla_rope_fused_kernelIN3c104HalfENS1_8BFloat16ELb0EttLNS_18Fp8KVCacheDataTypeE0EEEvPKlPT_S8_PKS7_PKT0_illlliPT3_S6_iiiiPKf: ; @_ZN4vllm38concat_and_cache_mla_rope_fused_kernelIN3c104HalfENS1_8BFloat16ELb0EttLNS_18Fp8KVCacheDataTypeE0EEEvPKlPT_S8_PKS7_PKT0_illlliPT3_S6_iiiiPKf
; %bb.0:
	s_load_dwordx2 s[2:3], s[4:5], 0x60
	s_mov_b32 s7, 0
	s_lshl_b64 s[0:1], s[6:7], 3
	s_waitcnt lgkmcnt(0)
	s_add_u32 s2, s2, s0
	s_addc_u32 s3, s3, s1
	s_load_dwordx2 s[24:25], s[2:3], 0x0
	s_waitcnt lgkmcnt(0)
	v_cmp_lt_i64_e64 s[2:3], s[24:25], 0
	s_and_b64 vcc, exec, s[2:3]
	s_cbranch_vccnz .LBB29_13
; %bb.1:
	s_load_dword s7, s[4:5], 0x28
	s_load_dwordx2 s[2:3], s[4:5], 0x0
	s_load_dwordx4 s[16:19], s[4:5], 0x10
	v_lshlrev_b32_e32 v1, 1, v0
	s_waitcnt lgkmcnt(0)
	s_ashr_i32 s26, s7, 31
	s_add_u32 s0, s2, s0
	s_addc_u32 s1, s3, s1
	s_load_dwordx2 s[20:21], s[0:1], 0x0
	s_load_dwordx2 s[22:23], s[4:5], 0x20
	s_load_dwordx8 s[8:15], s[4:5], 0x30
	s_load_dwordx2 s[2:3], s[4:5], 0x58
	s_load_dword s28, s[4:5], 0x50
	s_waitcnt lgkmcnt(0)
	s_mul_i32 s0, s20, s26
	s_mul_hi_u32 s1, s20, s7
	s_mul_i32 s21, s21, s7
	s_add_i32 s0, s1, s0
	s_add_i32 s27, s0, s21
	s_lshr_b32 s0, s7, 31
	s_mul_i32 s26, s20, s7
	s_add_i32 s7, s7, s0
	s_ashr_i32 s20, s7, 1
	s_mul_i32 s7, s20, s28
	v_cmp_gt_i32_e32 vcc, s7, v0
	s_and_saveexec_b64 s[0:1], vcc
	s_cbranch_execz .LBB29_4
; %bb.2:
	s_lshl_b64 s[28:29], s[26:27], 1
	s_add_u32 s30, s22, s28
	s_addc_u32 s38, s23, s29
	s_load_dwordx2 s[28:29], s[4:5], 0x8
	s_load_dword s34, s[4:5], 0x8c
	s_mul_i32 s9, s6, s9
	s_mul_hi_u32 s31, s6, s8
	s_add_i32 s9, s31, s9
	s_mul_i32 s8, s6, s8
	s_ashr_i32 s21, s20, 31
	s_lshl_b64 s[8:9], s[8:9], 1
	s_waitcnt lgkmcnt(0)
	s_add_u32 s31, s28, s8
	s_addc_u32 s39, s29, s9
	s_abs_i32 s33, s20
	v_cvt_f32_u32_e32 v2, s33
	s_sub_i32 s8, 0, s33
	s_and_b32 s34, s34, 0xffff
	s_lshl_b64 s[28:29], s[20:21], 1
	v_rcp_iflag_f32_e32 v2, v2
	s_sub_i32 s35, 0, s20
	s_lshl_b32 s37, s34, 1
	v_mov_b32_e32 v5, s38
	v_mul_f32_e32 v2, 0x4f7ffffe, v2
	v_cvt_u32_f32_e32 v2, v2
	v_mov_b32_e32 v6, s29
	v_mov_b32_e32 v7, s39
	;; [unrolled: 1-line block ×3, first 2 shown]
	v_mul_lo_u32 v3, s8, v2
	v_mul_hi_u32 v3, v2, v3
	s_lshl_b32 s8, s20, 1
	v_add_u32_e32 v3, v2, v3
	s_sub_i32 s36, 0, s8
	s_mov_b64 s[8:9], 0
	v_mov_b32_e32 v2, v1
.LBB29_3:                               ; =>This Inner Loop Header: Depth=1
	v_sub_u32_e32 v9, 0, v4
	v_max_i32_e32 v9, v4, v9
	v_mul_hi_u32 v10, v9, v3
	v_mul_lo_u32 v11, v10, s33
	v_sub_u32_e32 v9, v9, v11
	v_add_u32_e32 v12, 1, v10
	v_cmp_le_u32_e32 vcc, s33, v9
	v_subrev_u32_e32 v11, s33, v9
	v_cndmask_b32_e32 v10, v10, v12, vcc
	v_cndmask_b32_e32 v9, v9, v11, vcc
	v_ashrrev_i32_e32 v8, 31, v4
	v_add_u32_e32 v11, 1, v10
	v_cmp_le_u32_e32 vcc, s33, v9
	v_xor_b32_e32 v8, s21, v8
	v_cndmask_b32_e32 v9, v10, v11, vcc
	v_xor_b32_e32 v9, v9, v8
	v_sub_u32_e32 v12, v9, v8
	v_mad_u64_u32 v[8:9], s[38:39], s35, v12, v[4:5]
	v_ashrrev_i32_e32 v9, 31, v8
	v_lshlrev_b64 v[8:9], 1, v[8:9]
	v_ashrrev_i32_e32 v14, 31, v12
	v_add_co_u32_e32 v8, vcc, s30, v8
	v_mul_lo_u32 v15, v12, s11
	v_mad_u64_u32 v[10:11], s[38:39], v12, s10, 0
	v_mul_lo_u32 v14, v14, s10
	v_addc_co_u32_e32 v9, vcc, v5, v9, vcc
	v_add3_u32 v11, v11, v15, v14
	v_add_co_u32_e32 v14, vcc, s28, v8
	v_mad_u64_u32 v[12:13], s[38:39], s36, v12, v[2:3]
	v_lshlrev_b64 v[10:11], 1, v[10:11]
	v_addc_co_u32_e32 v15, vcc, v9, v6, vcc
	v_ashrrev_i32_e32 v13, 31, v12
	v_add_co_u32_e32 v10, vcc, s31, v10
	global_load_ushort v16, v[8:9], off
	global_load_ushort v17, v[14:15], off
	v_lshlrev_b64 v[12:13], 1, v[12:13]
	v_addc_co_u32_e32 v11, vcc, v7, v11, vcc
	v_add_co_u32_e32 v8, vcc, v10, v12
	v_addc_co_u32_e32 v9, vcc, v11, v13, vcc
	global_load_dword v10, v[8:9], off
	v_add_u32_e32 v4, s34, v4
	v_cmp_le_i32_e32 vcc, s7, v4
	v_add_u32_e32 v2, s37, v2
	s_or_b64 s[8:9], vcc, s[8:9]
	s_waitcnt vmcnt(2)
	v_lshlrev_b32_e32 v11, 16, v16
	s_waitcnt vmcnt(1)
	v_lshlrev_b32_e32 v12, 16, v17
	v_cvt_f16_f32_e32 v12, v12
	v_cvt_f16_f32_e32 v11, v11
	s_waitcnt vmcnt(0)
	v_lshrrev_b32_e32 v13, 16, v10
	v_mul_f16_e32 v14, v13, v12
	v_mul_f16_e32 v12, v10, v12
	v_fma_f16 v10, v10, v11, -v14
	v_fma_f16 v11, v13, v11, v12
	v_pack_b32_f16 v10, v10, v11
	global_store_dword v[8:9], v10, off
	s_andn2_b64 exec, exec, s[8:9]
	s_cbranch_execnz .LBB29_3
.LBB29_4:
	s_or_b64 exec, exec, s[0:1]
	s_load_dwordx4 s[8:11], s[4:5], 0x68
	s_waitcnt lgkmcnt(0)
	s_ashr_i32 s29, s11, 31
	s_mov_b32 s28, s11
	s_or_b64 s[0:1], s[24:25], s[28:29]
	s_mov_b32 s0, 0
	s_cmp_lg_u64 s[0:1], 0
	s_cbranch_scc0 .LBB29_14
; %bb.5:
	s_add_u32 s0, s28, s29
	s_mov_b32 s34, s29
	s_mov_b32 s35, s29
	s_addc_u32 s1, s29, s29
	s_xor_b64 s[36:37], s[0:1], s[34:35]
	v_cvt_f32_u32_e32 v2, s36
	v_cvt_f32_u32_e32 v3, s37
	s_sub_u32 s0, 0, s36
	s_subb_u32 s1, 0, s37
	v_madmk_f32 v2, v3, 0x4f800000, v2
	v_rcp_f32_e32 v2, v2
	v_mul_f32_e32 v2, 0x5f7ffffc, v2
	v_mul_f32_e32 v3, 0x2f800000, v2
	v_trunc_f32_e32 v3, v3
	v_madmk_f32 v2, v3, 0xcf800000, v2
	v_cvt_u32_f32_e32 v3, v3
	v_cvt_u32_f32_e32 v2, v2
	v_readfirstlane_b32 s7, v3
	v_readfirstlane_b32 s11, v2
	s_mul_i32 s21, s0, s7
	s_mul_hi_u32 s38, s0, s11
	s_mul_i32 s33, s1, s11
	s_add_i32 s21, s38, s21
	s_add_i32 s21, s21, s33
	s_mul_i32 s39, s0, s11
	s_mul_hi_u32 s33, s11, s21
	s_mul_i32 s38, s11, s21
	s_mul_hi_u32 s11, s11, s39
	s_add_u32 s11, s11, s38
	s_addc_u32 s33, 0, s33
	s_mul_hi_u32 s40, s7, s39
	s_mul_i32 s39, s7, s39
	s_add_u32 s11, s11, s39
	s_mul_hi_u32 s38, s7, s21
	s_addc_u32 s11, s33, s40
	s_addc_u32 s33, s38, 0
	s_mul_i32 s21, s7, s21
	s_add_u32 s11, s11, s21
	s_addc_u32 s21, 0, s33
	v_add_co_u32_e32 v2, vcc, s11, v2
	s_cmp_lg_u64 vcc, 0
	s_addc_u32 s7, s7, s21
	v_readfirstlane_b32 s21, v2
	s_mul_i32 s11, s0, s7
	s_mul_hi_u32 s33, s0, s21
	s_add_i32 s11, s33, s11
	s_mul_i32 s1, s1, s21
	s_add_i32 s11, s11, s1
	s_mul_i32 s0, s0, s21
	s_mul_hi_u32 s33, s7, s0
	s_mul_i32 s38, s7, s0
	s_mul_i32 s40, s21, s11
	s_mul_hi_u32 s0, s21, s0
	s_mul_hi_u32 s39, s21, s11
	s_add_u32 s0, s0, s40
	s_addc_u32 s21, 0, s39
	s_add_u32 s0, s0, s38
	s_mul_hi_u32 s1, s7, s11
	s_addc_u32 s0, s21, s33
	s_addc_u32 s1, s1, 0
	s_mul_i32 s11, s7, s11
	s_add_u32 s0, s0, s11
	s_addc_u32 s1, 0, s1
	v_add_co_u32_e32 v2, vcc, s0, v2
	s_cmp_lg_u64 vcc, 0
	s_addc_u32 s7, s7, s1
	s_ashr_i32 s38, s25, 31
	s_add_u32 s0, s24, s38
	s_mov_b32 s39, s38
	s_addc_u32 s1, s25, s38
	s_xor_b64 s[40:41], s[0:1], s[38:39]
	v_readfirstlane_b32 s11, v2
	s_mul_i32 s1, s40, s7
	s_mul_hi_u32 s21, s40, s11
	s_mul_hi_u32 s0, s40, s7
	s_add_u32 s1, s21, s1
	s_addc_u32 s0, 0, s0
	s_mul_hi_u32 s33, s41, s11
	s_mul_i32 s11, s41, s11
	s_add_u32 s1, s1, s11
	s_mul_hi_u32 s21, s41, s7
	s_addc_u32 s0, s0, s33
	s_addc_u32 s1, s21, 0
	s_mul_i32 s7, s41, s7
	s_add_u32 s7, s0, s7
	s_addc_u32 s11, 0, s1
	s_mul_i32 s0, s36, s11
	s_mul_hi_u32 s1, s36, s7
	s_add_i32 s0, s1, s0
	s_mul_i32 s1, s37, s7
	s_add_i32 s21, s0, s1
	s_mul_i32 s1, s36, s7
	v_mov_b32_e32 v2, s1
	s_sub_i32 s0, s41, s21
	v_sub_co_u32_e32 v2, vcc, s40, v2
	s_cmp_lg_u64 vcc, 0
	s_subb_u32 s33, s0, s37
	v_subrev_co_u32_e64 v3, s[0:1], s36, v2
	s_cmp_lg_u64 s[0:1], 0
	s_subb_u32 s0, s33, 0
	s_cmp_ge_u32 s0, s37
	v_readfirstlane_b32 s33, v3
	s_cselect_b32 s1, -1, 0
	s_cmp_ge_u32 s33, s36
	s_cselect_b32 s33, -1, 0
	s_cmp_eq_u32 s0, s37
	s_cselect_b32 s0, s33, s1
	s_add_u32 s1, s7, 1
	s_addc_u32 s33, s11, 0
	s_add_u32 s40, s7, 2
	s_addc_u32 s42, s11, 0
	s_cmp_lg_u32 s0, 0
	s_cselect_b32 s0, s40, s1
	s_cselect_b32 s1, s42, s33
	s_cmp_lg_u64 vcc, 0
	s_subb_u32 s21, s41, s21
	s_cmp_ge_u32 s21, s37
	v_readfirstlane_b32 s40, v2
	s_cselect_b32 s33, -1, 0
	s_cmp_ge_u32 s40, s36
	s_cselect_b32 s36, -1, 0
	s_cmp_eq_u32 s21, s37
	s_cselect_b32 s21, s36, s33
	s_cmp_lg_u32 s21, 0
	s_cselect_b32 s1, s1, s11
	s_cselect_b32 s0, s0, s7
	s_xor_b64 s[34:35], s[38:39], s[34:35]
	s_xor_b64 s[0:1], s[0:1], s[34:35]
	s_sub_u32 s0, s0, s34
	s_subb_u32 s1, s1, s35
	s_cbranch_execnz .LBB29_7
.LBB29_6:
	v_cvt_f32_u32_e32 v2, s28
	s_sub_i32 s0, 0, s28
	s_mov_b32 s1, 0
	v_rcp_iflag_f32_e32 v2, v2
	v_mul_f32_e32 v2, 0x4f7ffffe, v2
	v_cvt_u32_f32_e32 v2, v2
	v_readfirstlane_b32 s7, v2
	s_mul_i32 s0, s0, s7
	s_mul_hi_u32 s0, s7, s0
	s_add_i32 s7, s7, s0
	s_mul_hi_u32 s0, s24, s7
	s_mul_i32 s11, s0, s28
	s_sub_i32 s11, s24, s11
	s_add_i32 s7, s0, 1
	s_sub_i32 s21, s11, s28
	s_cmp_ge_u32 s11, s28
	s_cselect_b32 s0, s7, s0
	s_cselect_b32 s11, s21, s11
	s_add_i32 s7, s0, 1
	s_cmp_ge_u32 s11, s28
	s_cselect_b32 s0, s7, s0
.LBB29_7:
	s_mul_i32 s7, s0, s29
	s_mul_hi_u32 s11, s0, s28
	s_add_i32 s7, s11, s7
	s_mul_i32 s11, s1, s28
	s_add_i32 s11, s7, s11
	s_mul_i32 s7, s0, s28
	s_sub_u32 s7, s24, s7
	s_subb_u32 s11, s25, s11
	v_cmp_gt_i32_e32 vcc, s20, v0
	s_mul_hi_u32 s34, s0, s8
	s_mul_i32 s35, s1, s8
	s_mul_i32 s28, s0, s8
	s_mul_hi_u32 s33, s7, s9
	s_mul_i32 s1, s11, s9
	s_mul_i32 s24, s7, s9
	s_and_saveexec_b64 s[30:31], vcc
	s_cbranch_execz .LBB29_10
; %bb.8:
	s_load_dword s25, s[4:5], 0x8c
	s_ashr_i32 s21, s20, 31
	s_ashr_i32 s29, s8, 31
	;; [unrolled: 1-line block ×4, first 2 shown]
	s_waitcnt lgkmcnt(0)
	s_and_b32 s36, s25, 0xffff
	s_lshl_b64 s[26:27], s[26:27], 1
	s_add_u32 s22, s22, s26
	s_addc_u32 s23, s23, s27
	v_mov_b32_e32 v3, s23
	v_add_co_u32_e32 v2, vcc, s22, v1
	s_lshl_b64 s[22:23], s[20:21], 1
	s_mul_i32 s21, s0, s29
	s_add_i32 s21, s34, s21
	s_add_i32 s29, s21, s35
	s_mul_i32 s21, s7, s37
	s_add_i32 s21, s33, s21
	s_add_i32 s25, s21, s1
	s_lshl_b32 s26, s36, 1
	s_lshl_b64 s[38:39], s[28:29], 1
	s_lshl_b64 s[40:41], s[24:25], 1
	s_add_u32 s21, s38, s40
	s_addc_u32 s25, s39, s41
	s_lshl_b64 s[38:39], s[10:11], 1
	s_add_u32 s11, s2, s38
	s_addc_u32 s27, s3, s39
	s_add_u32 s11, s11, s21
	s_addc_u32 s21, s27, s25
	v_addc_co_u32_e32 v3, vcc, 0, v3, vcc
	v_lshlrev_b32_e32 v5, 2, v0
	v_mov_b32_e32 v1, s21
	s_mul_i32 s13, s13, s6
	s_mul_hi_u32 s21, s12, s6
	v_add_co_u32_e32 v4, vcc, s11, v5
	s_add_i32 s13, s21, s13
	s_mul_i32 s12, s12, s6
	v_addc_co_u32_e32 v6, vcc, 0, v1, vcc
	s_lshl_b32 s11, s36, 2
	s_lshl_b64 s[12:13], s[12:13], 1
	v_add_co_u32_e32 v1, vcc, 2, v4
	s_add_u32 s12, s16, s12
	v_addc_co_u32_e32 v4, vcc, 0, v6, vcc
	s_addc_u32 s13, s17, s13
	s_mov_b32 s42, 0
	v_mov_b32_e32 v6, s13
	v_add_co_u32_e32 v5, vcc, s12, v5
	v_addc_co_u32_e32 v6, vcc, 0, v6, vcc
	s_mov_b64 s[12:13], 0
	v_mov_b32_e32 v7, s23
	v_mov_b32_e32 v8, s42
	s_mov_b64 s[16:17], 0
	v_mov_b32_e32 v9, v0
.LBB29_9:                               ; =>This Inner Loop Header: Depth=1
	v_add_co_u32_e32 v10, vcc, s22, v2
	v_addc_co_u32_e32 v11, vcc, v3, v7, vcc
	global_load_ushort v14, v[2:3], off
	global_load_ushort v16, v[10:11], off
	v_mov_b32_e32 v15, s17
	v_add_co_u32_e32 v12, vcc, s16, v5
	v_addc_co_u32_e32 v13, vcc, v6, v15, vcc
	global_load_dword v17, v[12:13], off
	v_add_co_u32_e32 v2, vcc, s26, v2
	v_addc_co_u32_e32 v3, vcc, v3, v8, vcc
	v_add_co_u32_e32 v10, vcc, s16, v1
	v_addc_co_u32_e32 v11, vcc, v4, v15, vcc
	v_add_u32_e32 v9, s36, v9
	s_add_u32 s16, s16, s11
	s_addc_u32 s17, s17, 0
	v_cmp_le_i32_e32 vcc, s20, v9
	s_or_b64 s[12:13], vcc, s[12:13]
	s_waitcnt vmcnt(2)
	v_lshlrev_b32_e32 v14, 16, v14
	s_waitcnt vmcnt(1)
	v_lshlrev_b32_e32 v15, 16, v16
	v_cvt_f16_f32_e32 v15, v15
	v_cvt_f16_f32_e32 v14, v14
	s_waitcnt vmcnt(0)
	v_lshrrev_b32_e32 v16, 16, v17
	v_mul_f16_e32 v18, v16, v15
	v_mul_f16_e32 v15, v17, v15
	v_fma_f16 v17, v17, v14, -v18
	v_fma_f16 v14, v16, v14, v15
	v_pack_b32_f16 v14, v17, v14
	global_store_dword v[12:13], v14, off
	global_store_dword v[10:11], v14, off offset:-2
	s_andn2_b64 exec, exec, s[12:13]
	s_cbranch_execnz .LBB29_9
.LBB29_10:
	s_or_b64 exec, exec, s[30:31]
	v_cmp_gt_i32_e32 vcc, s10, v0
	s_and_saveexec_b64 s[12:13], vcc
	s_cbranch_execz .LBB29_13
; %bb.11:
	s_mul_i32 s11, s6, s15
	s_mul_hi_u32 s12, s6, s14
	s_add_i32 s13, s12, s11
	s_mul_i32 s12, s6, s14
	s_lshl_b64 s[12:13], s[12:13], 1
	s_add_u32 s6, s18, s12
	s_addc_u32 s11, s19, s13
	s_ashr_i32 s8, s8, 31
	s_mul_i32 s0, s0, s8
	s_add_i32 s0, s34, s0
	s_add_i32 s29, s0, s35
	s_lshl_b64 s[12:13], s[28:29], 1
	s_add_u32 s2, s2, s12
	s_addc_u32 s3, s3, s13
	s_ashr_i32 s0, s9, 31
	s_mul_i32 s7, s7, s0
	s_add_i32 s0, s33, s7
	s_load_dword s4, s[4:5], 0x8c
	s_add_i32 s25, s0, s1
	s_lshl_b64 s[0:1], s[24:25], 1
	s_add_u32 s2, s2, s0
	s_addc_u32 s5, s3, s1
	s_waitcnt lgkmcnt(0)
	s_and_b32 s3, s4, 0xffff
	s_mov_b64 s[0:1], 0
	v_mov_b32_e32 v2, s11
	v_mov_b32_e32 v3, s5
.LBB29_12:                              ; =>This Inner Loop Header: Depth=1
	v_ashrrev_i32_e32 v1, 31, v0
	v_lshlrev_b64 v[4:5], 1, v[0:1]
	v_add_co_u32_e32 v6, vcc, s6, v4
	v_addc_co_u32_e32 v7, vcc, v2, v5, vcc
	global_load_ushort v1, v[6:7], off
	v_add_co_u32_e32 v4, vcc, s2, v4
	v_addc_co_u32_e32 v5, vcc, v3, v5, vcc
	v_add_u32_e32 v0, s3, v0
	v_cmp_le_i32_e32 vcc, s10, v0
	s_or_b64 s[0:1], vcc, s[0:1]
	s_waitcnt vmcnt(0)
	global_store_short v[4:5], v1, off
	s_andn2_b64 exec, exec, s[0:1]
	s_cbranch_execnz .LBB29_12
.LBB29_13:
	s_endpgm
.LBB29_14:
                                        ; implicit-def: $sgpr0_sgpr1
	s_branch .LBB29_6
	.section	.rodata,"a",@progbits
	.p2align	6, 0x0
	.amdhsa_kernel _ZN4vllm38concat_and_cache_mla_rope_fused_kernelIN3c104HalfENS1_8BFloat16ELb0EttLNS_18Fp8KVCacheDataTypeE0EEEvPKlPT_S8_PKS7_PKT0_illlliPT3_S6_iiiiPKf
		.amdhsa_group_segment_fixed_size 0
		.amdhsa_private_segment_fixed_size 0
		.amdhsa_kernarg_size 384
		.amdhsa_user_sgpr_count 6
		.amdhsa_user_sgpr_private_segment_buffer 1
		.amdhsa_user_sgpr_dispatch_ptr 0
		.amdhsa_user_sgpr_queue_ptr 0
		.amdhsa_user_sgpr_kernarg_segment_ptr 1
		.amdhsa_user_sgpr_dispatch_id 0
		.amdhsa_user_sgpr_flat_scratch_init 0
		.amdhsa_user_sgpr_kernarg_preload_length 0
		.amdhsa_user_sgpr_kernarg_preload_offset 0
		.amdhsa_user_sgpr_private_segment_size 0
		.amdhsa_uses_dynamic_stack 0
		.amdhsa_system_sgpr_private_segment_wavefront_offset 0
		.amdhsa_system_sgpr_workgroup_id_x 1
		.amdhsa_system_sgpr_workgroup_id_y 0
		.amdhsa_system_sgpr_workgroup_id_z 0
		.amdhsa_system_sgpr_workgroup_info 0
		.amdhsa_system_vgpr_workitem_id 0
		.amdhsa_next_free_vgpr 19
		.amdhsa_next_free_sgpr 43
		.amdhsa_accum_offset 20
		.amdhsa_reserve_vcc 1
		.amdhsa_reserve_flat_scratch 0
		.amdhsa_float_round_mode_32 0
		.amdhsa_float_round_mode_16_64 0
		.amdhsa_float_denorm_mode_32 3
		.amdhsa_float_denorm_mode_16_64 3
		.amdhsa_dx10_clamp 1
		.amdhsa_ieee_mode 1
		.amdhsa_fp16_overflow 0
		.amdhsa_tg_split 0
		.amdhsa_exception_fp_ieee_invalid_op 0
		.amdhsa_exception_fp_denorm_src 0
		.amdhsa_exception_fp_ieee_div_zero 0
		.amdhsa_exception_fp_ieee_overflow 0
		.amdhsa_exception_fp_ieee_underflow 0
		.amdhsa_exception_fp_ieee_inexact 0
		.amdhsa_exception_int_div_zero 0
	.end_amdhsa_kernel
	.section	.text._ZN4vllm38concat_and_cache_mla_rope_fused_kernelIN3c104HalfENS1_8BFloat16ELb0EttLNS_18Fp8KVCacheDataTypeE0EEEvPKlPT_S8_PKS7_PKT0_illlliPT3_S6_iiiiPKf,"axG",@progbits,_ZN4vllm38concat_and_cache_mla_rope_fused_kernelIN3c104HalfENS1_8BFloat16ELb0EttLNS_18Fp8KVCacheDataTypeE0EEEvPKlPT_S8_PKS7_PKT0_illlliPT3_S6_iiiiPKf,comdat
.Lfunc_end29:
	.size	_ZN4vllm38concat_and_cache_mla_rope_fused_kernelIN3c104HalfENS1_8BFloat16ELb0EttLNS_18Fp8KVCacheDataTypeE0EEEvPKlPT_S8_PKS7_PKT0_illlliPT3_S6_iiiiPKf, .Lfunc_end29-_ZN4vllm38concat_and_cache_mla_rope_fused_kernelIN3c104HalfENS1_8BFloat16ELb0EttLNS_18Fp8KVCacheDataTypeE0EEEvPKlPT_S8_PKS7_PKT0_illlliPT3_S6_iiiiPKf
                                        ; -- End function
	.section	.AMDGPU.csdata,"",@progbits
; Kernel info:
; codeLenInByte = 2016
; NumSgprs: 47
; NumVgprs: 19
; NumAgprs: 0
; TotalNumVgprs: 19
; ScratchSize: 0
; MemoryBound: 0
; FloatMode: 240
; IeeeMode: 1
; LDSByteSize: 0 bytes/workgroup (compile time only)
; SGPRBlocks: 5
; VGPRBlocks: 2
; NumSGPRsForWavesPerEU: 47
; NumVGPRsForWavesPerEU: 19
; AccumOffset: 20
; Occupancy: 8
; WaveLimiterHint : 1
; COMPUTE_PGM_RSRC2:SCRATCH_EN: 0
; COMPUTE_PGM_RSRC2:USER_SGPR: 6
; COMPUTE_PGM_RSRC2:TRAP_HANDLER: 0
; COMPUTE_PGM_RSRC2:TGID_X_EN: 1
; COMPUTE_PGM_RSRC2:TGID_Y_EN: 0
; COMPUTE_PGM_RSRC2:TGID_Z_EN: 0
; COMPUTE_PGM_RSRC2:TIDIG_COMP_CNT: 0
; COMPUTE_PGM_RSRC3_GFX90A:ACCUM_OFFSET: 4
; COMPUTE_PGM_RSRC3_GFX90A:TG_SPLIT: 0
	.section	.text._ZN4vllm38concat_and_cache_mla_rope_fused_kernelIN3c108BFloat16EfLb1EttLNS_18Fp8KVCacheDataTypeE0EEEvPKlPT_S7_PKS6_PKT0_illlliPT3_S5_iiiiPKf,"axG",@progbits,_ZN4vllm38concat_and_cache_mla_rope_fused_kernelIN3c108BFloat16EfLb1EttLNS_18Fp8KVCacheDataTypeE0EEEvPKlPT_S7_PKS6_PKT0_illlliPT3_S5_iiiiPKf,comdat
	.protected	_ZN4vllm38concat_and_cache_mla_rope_fused_kernelIN3c108BFloat16EfLb1EttLNS_18Fp8KVCacheDataTypeE0EEEvPKlPT_S7_PKS6_PKT0_illlliPT3_S5_iiiiPKf ; -- Begin function _ZN4vllm38concat_and_cache_mla_rope_fused_kernelIN3c108BFloat16EfLb1EttLNS_18Fp8KVCacheDataTypeE0EEEvPKlPT_S7_PKS6_PKT0_illlliPT3_S5_iiiiPKf
	.globl	_ZN4vllm38concat_and_cache_mla_rope_fused_kernelIN3c108BFloat16EfLb1EttLNS_18Fp8KVCacheDataTypeE0EEEvPKlPT_S7_PKS6_PKT0_illlliPT3_S5_iiiiPKf
	.p2align	8
	.type	_ZN4vllm38concat_and_cache_mla_rope_fused_kernelIN3c108BFloat16EfLb1EttLNS_18Fp8KVCacheDataTypeE0EEEvPKlPT_S7_PKS6_PKT0_illlliPT3_S5_iiiiPKf,@function
_ZN4vllm38concat_and_cache_mla_rope_fused_kernelIN3c108BFloat16EfLb1EttLNS_18Fp8KVCacheDataTypeE0EEEvPKlPT_S7_PKS6_PKT0_illlliPT3_S5_iiiiPKf: ; @_ZN4vllm38concat_and_cache_mla_rope_fused_kernelIN3c108BFloat16EfLb1EttLNS_18Fp8KVCacheDataTypeE0EEEvPKlPT_S7_PKS6_PKT0_illlliPT3_S5_iiiiPKf
; %bb.0:
	s_load_dwordx2 s[2:3], s[4:5], 0x60
	s_mov_b32 s7, 0
	s_lshl_b64 s[0:1], s[6:7], 3
	s_waitcnt lgkmcnt(0)
	s_add_u32 s2, s2, s0
	s_addc_u32 s3, s3, s1
	s_load_dwordx2 s[34:35], s[2:3], 0x0
	s_waitcnt lgkmcnt(0)
	v_cmp_lt_i64_e64 s[2:3], s[34:35], 0
	s_and_b64 vcc, exec, s[2:3]
	s_cbranch_vccnz .LBB30_13
; %bb.1:
	s_load_dword s7, s[4:5], 0x28
	s_load_dwordx2 s[2:3], s[4:5], 0x0
	s_load_dwordx4 s[16:19], s[4:5], 0x10
	s_waitcnt lgkmcnt(0)
	s_ashr_i32 s20, s7, 31
	s_add_u32 s0, s2, s0
	s_addc_u32 s1, s3, s1
	s_load_dwordx2 s[2:3], s[0:1], 0x0
	s_load_dwordx2 s[28:29], s[4:5], 0x20
	s_load_dwordx8 s[8:15], s[4:5], 0x30
	s_load_dwordx2 s[24:25], s[4:5], 0x58
	s_load_dword s21, s[4:5], 0x50
	s_waitcnt lgkmcnt(0)
	s_mul_i32 s0, s2, s20
	s_mul_hi_u32 s1, s2, s7
	s_mul_i32 s3, s3, s7
	s_add_i32 s0, s1, s0
	s_add_i32 s31, s0, s3
	s_lshr_b32 s0, s7, 31
	s_mul_i32 s30, s2, s7
	s_add_i32 s7, s7, s0
	s_ashr_i32 s26, s7, 1
	s_mul_i32 s7, s26, s21
	v_cmp_gt_i32_e32 vcc, s7, v0
	s_and_saveexec_b64 s[20:21], vcc
	s_cbranch_execz .LBB30_4
; %bb.2:
	s_lshl_b64 s[0:1], s[30:31], 2
	s_add_u32 s33, s28, s0
	s_addc_u32 s36, s29, s1
	s_load_dwordx2 s[0:1], s[4:5], 0x8
	s_mul_i32 s2, s6, s9
	s_mul_hi_u32 s3, s6, s8
	s_add_i32 s3, s3, s2
	s_mul_i32 s2, s6, s8
	s_load_dword s8, s[4:5], 0x8c
	s_ashr_i32 s27, s26, 31
	s_lshl_b64 s[2:3], s[2:3], 1
	s_waitcnt lgkmcnt(0)
	s_add_u32 s40, s0, s2
	s_addc_u32 s0, s1, s3
	s_abs_i32 s41, s26
	v_cvt_f32_u32_e32 v1, s41
	s_sub_i32 s1, 0, s41
	v_mov_b32_e32 v3, s36
	s_lshl_b64 s[36:37], s[26:27], 2
	v_rcp_iflag_f32_e32 v1, v1
	s_lshl_b64 s[38:39], s[26:27], 1
	s_and_b32 s42, s8, 0xffff
	s_sub_i32 s43, 0, s26
	v_mul_f32_e32 v1, 0x4f7ffffe, v1
	v_cvt_u32_f32_e32 v1, v1
	s_mov_b64 s[22:23], 0
	v_mov_b32_e32 v4, s37
	v_mov_b32_e32 v5, s0
	v_mul_lo_u32 v2, s1, v1
	v_mul_hi_u32 v2, v1, v2
	v_add_u32_e32 v1, v1, v2
	v_mov_b32_e32 v6, s39
	s_movk_i32 s37, 0x7fff
	v_mov_b32_e32 v7, 0x7fc00000
	v_mov_b32_e32 v8, 0x7fc0
	;; [unrolled: 1-line block ×3, first 2 shown]
.LBB30_3:                               ; =>This Inner Loop Header: Depth=1
	v_sub_u32_e32 v10, 0, v2
	v_max_i32_e32 v10, v2, v10
	v_mul_hi_u32 v11, v10, v1
	v_mul_lo_u32 v12, v11, s41
	v_sub_u32_e32 v10, v10, v12
	v_add_u32_e32 v13, 1, v11
	v_cmp_le_u32_e32 vcc, s41, v10
	v_subrev_u32_e32 v12, s41, v10
	v_cndmask_b32_e32 v11, v11, v13, vcc
	v_cndmask_b32_e32 v10, v10, v12, vcc
	v_ashrrev_i32_e32 v9, 31, v2
	v_add_u32_e32 v12, 1, v11
	v_cmp_le_u32_e32 vcc, s41, v10
	v_xor_b32_e32 v9, s27, v9
	v_cndmask_b32_e32 v10, v11, v12, vcc
	v_xor_b32_e32 v10, v10, v9
	v_sub_u32_e32 v9, v10, v9
	v_mad_u64_u32 v[10:11], s[0:1], s43, v9, v[2:3]
	v_ashrrev_i32_e32 v14, 31, v9
	v_ashrrev_i32_e32 v11, 31, v10
	v_mul_lo_u32 v16, v9, s11
	v_mad_u64_u32 v[12:13], s[0:1], v9, s10, 0
	v_mul_lo_u32 v9, v14, s10
	v_lshlrev_b64 v[14:15], 2, v[10:11]
	v_add_co_u32_e32 v14, vcc, s33, v14
	v_addc_co_u32_e32 v15, vcc, v3, v15, vcc
	v_add3_u32 v13, v13, v16, v9
	v_add_co_u32_e32 v16, vcc, s36, v14
	v_lshlrev_b64 v[12:13], 1, v[12:13]
	v_addc_co_u32_e32 v17, vcc, v15, v4, vcc
	v_add_co_u32_e32 v9, vcc, s40, v12
	v_lshlrev_b64 v[10:11], 1, v[10:11]
	v_addc_co_u32_e32 v12, vcc, v5, v13, vcc
	v_add_co_u32_e32 v10, vcc, v9, v10
	global_load_dword v18, v[14:15], off
	global_load_dword v19, v[16:17], off
	v_addc_co_u32_e32 v11, vcc, v12, v11, vcc
	v_add_co_u32_e32 v12, vcc, s38, v10
	v_addc_co_u32_e32 v13, vcc, v11, v6, vcc
	global_load_ushort v9, v[10:11], off
	global_load_ushort v14, v[12:13], off
	v_add_u32_e32 v2, s42, v2
	v_cmp_le_i32_e32 vcc, s7, v2
	s_or_b64 s[22:23], vcc, s[22:23]
	s_waitcnt vmcnt(3)
	v_bfe_u32 v15, v18, 16, 1
	s_waitcnt vmcnt(2)
	v_bfe_u32 v16, v19, 16, 1
	v_add3_u32 v15, v18, v15, s37
	v_add3_u32 v16, v19, v16, s37
	v_and_b32_e32 v17, 0xffff0000, v15
	v_cmp_o_f32_e32 vcc, v18, v18
	v_and_b32_e32 v18, 0xffff0000, v16
	s_waitcnt vmcnt(1)
	v_lshlrev_b32_e32 v15, 16, v9
	s_waitcnt vmcnt(0)
	v_lshlrev_b32_e32 v14, 16, v14
	v_cndmask_b32_e32 v16, v7, v17, vcc
	v_cmp_o_f32_e32 vcc, v19, v19
	v_cndmask_b32_e32 v17, v7, v18, vcc
	v_mov_b32_e32 v18, v15
	v_mov_b32_e32 v19, v14
	v_pk_mul_f32 v[18:19], v[16:17], v[18:19]
	v_pk_mul_f32 v[14:15], v[16:17], v[14:15]
	v_bfe_u32 v9, v18, 16, 1
	v_bfe_u32 v16, v19, 16, 1
	;; [unrolled: 1-line block ×4, first 2 shown]
	v_add3_u32 v16, v19, v16, s37
	v_add3_u32 v9, v18, v9, s37
	;; [unrolled: 1-line block ×4, first 2 shown]
	v_and_b32_e32 v9, 0xffff0000, v9
	v_and_b32_e32 v16, 0xffff0000, v16
	v_cmp_o_f32_e32 vcc, v18, v18
	v_cmp_o_f32_e64 s[8:9], v19, v19
	v_and_b32_e32 v17, 0xffff0000, v17
	v_and_b32_e32 v18, 0xffff0000, v20
	v_cmp_o_f32_e64 s[0:1], v15, v15
	v_cmp_o_f32_e64 s[2:3], v14, v14
	v_cndmask_b32_e64 v14, v7, v16, s[8:9]
	v_cndmask_b32_e32 v9, v7, v9, vcc
	v_cndmask_b32_e64 v15, v7, v18, s[0:1]
	v_cndmask_b32_e64 v16, v7, v17, s[2:3]
	v_sub_f32_e32 v9, v9, v14
	v_add_f32_e32 v14, v16, v15
	v_bfe_u32 v15, v9, 16, 1
	v_bfe_u32 v16, v14, 16, 1
	v_add3_u32 v15, v9, v15, s37
	v_add3_u32 v16, v14, v16, s37
	v_lshrrev_b32_e32 v15, 16, v15
	v_cmp_o_f32_e64 s[0:1], v9, v9
	v_lshrrev_b32_e32 v16, 16, v16
	v_cmp_o_f32_e32 vcc, v14, v14
	v_cndmask_b32_e64 v9, v8, v15, s[0:1]
	v_cndmask_b32_e32 v14, v8, v16, vcc
	global_store_short v[10:11], v9, off
	global_store_short v[12:13], v14, off
	s_andn2_b64 exec, exec, s[22:23]
	s_cbranch_execnz .LBB30_3
.LBB30_4:
	s_or_b64 exec, exec, s[20:21]
	s_load_dwordx4 s[20:23], s[4:5], 0x68
	s_waitcnt lgkmcnt(0)
	s_ashr_i32 s3, s23, 31
	s_mov_b32 s2, s23
	s_or_b64 s[0:1], s[34:35], s[2:3]
	s_mov_b32 s0, 0
	s_cmp_lg_u64 s[0:1], 0
	s_cbranch_scc0 .LBB30_14
; %bb.5:
	s_add_u32 s0, s2, s3
	s_mov_b32 s10, s3
	s_mov_b32 s11, s3
	s_addc_u32 s1, s3, s3
	s_xor_b64 s[36:37], s[0:1], s[10:11]
	v_cvt_f32_u32_e32 v1, s36
	v_cvt_f32_u32_e32 v2, s37
	s_sub_u32 s0, 0, s36
	s_subb_u32 s1, 0, s37
	v_madmk_f32 v1, v2, 0x4f800000, v1
	v_rcp_f32_e32 v1, v1
	v_mul_f32_e32 v1, 0x5f7ffffc, v1
	v_mul_f32_e32 v2, 0x2f800000, v1
	v_trunc_f32_e32 v2, v2
	v_madmk_f32 v1, v2, 0xcf800000, v1
	v_cvt_u32_f32_e32 v2, v2
	v_cvt_u32_f32_e32 v1, v1
	v_readfirstlane_b32 s7, v2
	v_readfirstlane_b32 s23, v1
	s_mul_i32 s27, s0, s7
	s_mul_hi_u32 s38, s0, s23
	s_mul_i32 s33, s1, s23
	s_add_i32 s27, s38, s27
	s_add_i32 s27, s27, s33
	s_mul_i32 s39, s0, s23
	s_mul_hi_u32 s33, s23, s27
	s_mul_i32 s38, s23, s27
	s_mul_hi_u32 s23, s23, s39
	s_add_u32 s23, s23, s38
	s_addc_u32 s33, 0, s33
	s_mul_hi_u32 s40, s7, s39
	s_mul_i32 s39, s7, s39
	s_add_u32 s23, s23, s39
	s_mul_hi_u32 s38, s7, s27
	s_addc_u32 s23, s33, s40
	s_addc_u32 s33, s38, 0
	s_mul_i32 s27, s7, s27
	s_add_u32 s23, s23, s27
	s_addc_u32 s27, 0, s33
	v_add_co_u32_e32 v1, vcc, s23, v1
	s_cmp_lg_u64 vcc, 0
	s_addc_u32 s7, s7, s27
	v_readfirstlane_b32 s27, v1
	s_mul_i32 s23, s0, s7
	s_mul_hi_u32 s33, s0, s27
	s_add_i32 s23, s33, s23
	s_mul_i32 s1, s1, s27
	s_add_i32 s23, s23, s1
	s_mul_i32 s0, s0, s27
	s_mul_hi_u32 s33, s7, s0
	s_mul_i32 s38, s7, s0
	s_mul_i32 s40, s27, s23
	s_mul_hi_u32 s0, s27, s0
	s_mul_hi_u32 s39, s27, s23
	s_add_u32 s0, s0, s40
	s_addc_u32 s27, 0, s39
	s_add_u32 s0, s0, s38
	s_mul_hi_u32 s1, s7, s23
	s_addc_u32 s0, s27, s33
	s_addc_u32 s1, s1, 0
	s_mul_i32 s23, s7, s23
	s_add_u32 s0, s0, s23
	s_addc_u32 s1, 0, s1
	v_add_co_u32_e32 v1, vcc, s0, v1
	s_cmp_lg_u64 vcc, 0
	s_addc_u32 s7, s7, s1
	s_ashr_i32 s38, s35, 31
	s_add_u32 s0, s34, s38
	s_mov_b32 s39, s38
	s_addc_u32 s1, s35, s38
	s_xor_b64 s[40:41], s[0:1], s[38:39]
	v_readfirstlane_b32 s23, v1
	s_mul_i32 s1, s40, s7
	s_mul_hi_u32 s27, s40, s23
	s_mul_hi_u32 s0, s40, s7
	s_add_u32 s1, s27, s1
	s_addc_u32 s0, 0, s0
	s_mul_hi_u32 s33, s41, s23
	s_mul_i32 s23, s41, s23
	s_add_u32 s1, s1, s23
	s_mul_hi_u32 s27, s41, s7
	s_addc_u32 s0, s0, s33
	s_addc_u32 s1, s27, 0
	s_mul_i32 s7, s41, s7
	s_add_u32 s7, s0, s7
	s_addc_u32 s23, 0, s1
	s_mul_i32 s0, s36, s23
	s_mul_hi_u32 s1, s36, s7
	s_add_i32 s0, s1, s0
	s_mul_i32 s1, s37, s7
	s_add_i32 s27, s0, s1
	s_mul_i32 s1, s36, s7
	v_mov_b32_e32 v1, s1
	s_sub_i32 s0, s41, s27
	v_sub_co_u32_e32 v1, vcc, s40, v1
	s_cmp_lg_u64 vcc, 0
	s_subb_u32 s33, s0, s37
	v_subrev_co_u32_e64 v2, s[0:1], s36, v1
	s_cmp_lg_u64 s[0:1], 0
	s_subb_u32 s0, s33, 0
	s_cmp_ge_u32 s0, s37
	v_readfirstlane_b32 s33, v2
	s_cselect_b32 s1, -1, 0
	s_cmp_ge_u32 s33, s36
	s_cselect_b32 s33, -1, 0
	s_cmp_eq_u32 s0, s37
	s_cselect_b32 s0, s33, s1
	s_add_u32 s1, s7, 1
	s_addc_u32 s33, s23, 0
	s_add_u32 s40, s7, 2
	s_addc_u32 s42, s23, 0
	s_cmp_lg_u32 s0, 0
	s_cselect_b32 s0, s40, s1
	s_cselect_b32 s1, s42, s33
	s_cmp_lg_u64 vcc, 0
	s_subb_u32 s27, s41, s27
	s_cmp_ge_u32 s27, s37
	v_readfirstlane_b32 s40, v1
	s_cselect_b32 s33, -1, 0
	s_cmp_ge_u32 s40, s36
	s_cselect_b32 s36, -1, 0
	s_cmp_eq_u32 s27, s37
	s_cselect_b32 s27, s36, s33
	s_cmp_lg_u32 s27, 0
	s_cselect_b32 s1, s1, s23
	s_cselect_b32 s0, s0, s7
	s_xor_b64 s[10:11], s[38:39], s[10:11]
	s_xor_b64 s[0:1], s[0:1], s[10:11]
	s_sub_u32 s10, s0, s10
	s_subb_u32 s11, s1, s11
	s_cbranch_execnz .LBB30_7
.LBB30_6:
	v_cvt_f32_u32_e32 v1, s2
	s_sub_i32 s0, 0, s2
	s_mov_b32 s11, 0
	v_rcp_iflag_f32_e32 v1, v1
	v_mul_f32_e32 v1, 0x4f7ffffe, v1
	v_cvt_u32_f32_e32 v1, v1
	v_readfirstlane_b32 s1, v1
	s_mul_i32 s0, s0, s1
	s_mul_hi_u32 s0, s1, s0
	s_add_i32 s1, s1, s0
	s_mul_hi_u32 s0, s34, s1
	s_mul_i32 s7, s0, s2
	s_sub_i32 s7, s34, s7
	s_add_i32 s1, s0, 1
	s_sub_i32 s8, s7, s2
	s_cmp_ge_u32 s7, s2
	s_cselect_b32 s0, s1, s0
	s_cselect_b32 s7, s8, s7
	s_add_i32 s1, s0, 1
	s_cmp_ge_u32 s7, s2
	s_cselect_b32 s10, s1, s0
.LBB30_7:
	s_mul_i32 s0, s10, s3
	s_mul_hi_u32 s1, s10, s2
	s_add_i32 s0, s1, s0
	s_mul_i32 s1, s11, s2
	s_add_i32 s0, s0, s1
	s_mul_i32 s1, s10, s2
	s_sub_u32 s33, s34, s1
	s_subb_u32 s7, s35, s0
	v_cmp_gt_i32_e32 vcc, s26, v0
	s_mul_hi_u32 s40, s10, s20
	s_mul_i32 s41, s11, s20
	s_mul_i32 s36, s10, s20
	s_mul_hi_u32 s11, s33, s21
	s_mul_i32 s7, s7, s21
	s_mul_i32 s34, s33, s21
	s_and_saveexec_b64 s[38:39], vcc
	s_cbranch_execz .LBB30_10
; %bb.8:
	s_mul_i32 s0, s6, s13
	s_mul_hi_u32 s1, s6, s12
	s_add_i32 s1, s1, s0
	s_mul_i32 s0, s6, s12
	s_ashr_i32 s27, s26, 31
	s_lshl_b64 s[0:1], s[0:1], 1
	s_add_u32 s42, s16, s0
	s_addc_u32 s43, s17, s1
	s_ashr_i32 s2, s20, 31
	s_mul_i32 s2, s10, s2
	s_add_i32 s2, s40, s2
	s_add_i32 s37, s2, s41
	s_ashr_i32 s2, s21, 31
	s_mul_i32 s2, s33, s2
	s_add_i32 s2, s11, s2
	s_add_i32 s35, s2, s7
	s_lshl_b64 s[2:3], s[36:37], 1
	s_lshl_b64 s[8:9], s[34:35], 1
	s_add_u32 s44, s2, s8
	s_addc_u32 s45, s3, s9
	s_load_dword s12, s[4:5], 0x8c
	s_add_u32 s8, s44, s24
	s_addc_u32 s9, s45, s25
	s_ashr_i32 s23, s22, 31
	s_lshl_b64 s[2:3], s[22:23], 1
	s_add_u32 s23, s8, s2
	s_addc_u32 s35, s9, s3
	s_waitcnt lgkmcnt(0)
	s_and_b32 s37, s12, 0xffff
	s_lshl_b64 s[8:9], s[30:31], 2
	s_add_u32 s8, s28, s8
	v_lshlrev_b32_e32 v1, 2, v0
	s_addc_u32 s9, s29, s9
	v_mov_b32_e32 v3, s9
	v_add_co_u32_e32 v2, vcc, s8, v1
	s_lshl_b32 s28, s37, 2
	s_lshl_b64 s[12:13], s[26:27], 2
	s_lshl_b64 s[8:9], s[26:27], 1
	s_add_u32 s0, s0, s8
	s_addc_u32 s1, s1, s9
	s_add_u32 s27, s16, s0
	s_addc_u32 s29, s17, s1
	s_lshl_b32 s30, s37, 1
	s_add_u32 s0, s44, s8
	s_addc_u32 s1, s45, s9
	s_add_u32 s0, s0, s2
	s_addc_u32 s1, s1, s3
	s_mov_b32 s46, 0
	s_add_u32 s31, s24, s0
	v_addc_co_u32_e32 v3, vcc, 0, v3, vcc
	v_lshlrev_b32_e32 v4, 1, v0
	s_addc_u32 s44, s25, s1
	s_mov_b64 s[16:17], 0
	v_mov_b32_e32 v1, s13
	s_movk_i32 s13, 0x7fff
	v_mov_b32_e32 v5, 0x7fc00000
	v_mov_b32_e32 v10, 0x7fc0
	v_mov_b32_e32 v11, s46
	v_mov_b32_e32 v12, v0
.LBB30_9:                               ; =>This Inner Loop Header: Depth=1
	v_add_co_u32_e32 v14, vcc, s12, v2
	global_load_dword v13, v[2:3], off
	v_addc_co_u32_e32 v15, vcc, v3, v1, vcc
	global_load_dword v21, v[14:15], off
	v_mov_b32_e32 v7, s43
	v_add_co_u32_e64 v8, s[0:1], s42, v4
	v_mov_b32_e32 v16, s29
	v_add_co_u32_e32 v6, vcc, s27, v4
	v_addc_co_u32_e64 v9, s[0:1], 0, v7, s[0:1]
	v_addc_co_u32_e32 v7, vcc, 0, v16, vcc
	global_load_ushort v18, v[8:9], off
	global_load_ushort v20, v[6:7], off
	s_add_u32 s27, s27, s30
	s_addc_u32 s29, s29, 0
	s_add_u32 s42, s42, s30
	v_add_co_u32_e64 v2, s[0:1], s28, v2
	s_addc_u32 s43, s43, 0
	v_add_co_u32_e32 v14, vcc, s31, v4
	v_addc_co_u32_e64 v3, s[0:1], v3, v11, s[0:1]
	s_add_u32 s31, s31, s30
	v_mov_b32_e32 v15, s35
	v_mov_b32_e32 v19, s44
	v_add_co_u32_e64 v16, s[0:1], s23, v4
	s_addc_u32 s44, s44, 0
	v_add_u32_e32 v12, s37, v12
	v_addc_co_u32_e64 v17, s[0:1], 0, v15, s[0:1]
	v_addc_co_u32_e32 v15, vcc, 0, v19, vcc
	s_add_u32 s23, s23, s30
	v_cmp_le_i32_e32 vcc, s26, v12
	s_addc_u32 s35, s35, 0
	s_or_b64 s[16:17], vcc, s[16:17]
	s_waitcnt vmcnt(3)
	v_bfe_u32 v19, v13, 16, 1
	v_add3_u32 v19, v13, v19, s13
	v_and_b32_e32 v23, 0xffff0000, v19
	s_waitcnt vmcnt(2)
	v_bfe_u32 v22, v21, 16, 1
	v_add3_u32 v22, v21, v22, s13
	v_cmp_o_f32_e32 vcc, v13, v13
	v_and_b32_e32 v13, 0xffff0000, v22
	s_waitcnt vmcnt(1)
	v_lshlrev_b32_e32 v19, 16, v18
	s_waitcnt vmcnt(0)
	v_lshlrev_b32_e32 v18, 16, v20
	v_cndmask_b32_e32 v20, v5, v23, vcc
	v_cmp_o_f32_e32 vcc, v21, v21
	v_mov_b32_e32 v22, v19
	v_mov_b32_e32 v23, v18
	v_cndmask_b32_e32 v21, v5, v13, vcc
	v_pk_mul_f32 v[22:23], v[20:21], v[22:23]
	v_pk_mul_f32 v[18:19], v[20:21], v[18:19]
	v_bfe_u32 v13, v22, 16, 1
	v_bfe_u32 v20, v23, 16, 1
	;; [unrolled: 1-line block ×4, first 2 shown]
	v_add3_u32 v20, v23, v20, s13
	v_add3_u32 v13, v22, v13, s13
	;; [unrolled: 1-line block ×4, first 2 shown]
	v_and_b32_e32 v13, 0xffff0000, v13
	v_and_b32_e32 v20, 0xffff0000, v20
	v_cmp_o_f32_e32 vcc, v22, v22
	v_cmp_o_f32_e64 s[8:9], v23, v23
	v_and_b32_e32 v21, 0xffff0000, v21
	v_and_b32_e32 v22, 0xffff0000, v24
	v_cmp_o_f32_e64 s[0:1], v19, v19
	v_cmp_o_f32_e64 s[2:3], v18, v18
	v_cndmask_b32_e64 v18, v5, v20, s[8:9]
	v_cndmask_b32_e32 v13, v5, v13, vcc
	v_cndmask_b32_e64 v19, v5, v22, s[0:1]
	v_cndmask_b32_e64 v20, v5, v21, s[2:3]
	v_sub_f32_e32 v13, v13, v18
	v_add_f32_e32 v18, v20, v19
	v_bfe_u32 v19, v13, 16, 1
	v_bfe_u32 v20, v18, 16, 1
	v_add3_u32 v19, v13, v19, s13
	v_add3_u32 v20, v18, v20, s13
	v_lshrrev_b32_e32 v19, 16, v19
	v_cmp_o_f32_e64 s[0:1], v13, v13
	v_lshrrev_b32_e32 v20, 16, v20
	v_cmp_o_f32_e32 vcc, v18, v18
	v_cndmask_b32_e64 v13, v10, v19, s[0:1]
	v_cndmask_b32_e32 v18, v10, v20, vcc
	global_store_short v[8:9], v13, off
	global_store_short v[6:7], v18, off
	;; [unrolled: 1-line block ×4, first 2 shown]
	s_andn2_b64 exec, exec, s[16:17]
	s_cbranch_execnz .LBB30_9
.LBB30_10:
	s_or_b64 exec, exec, s[38:39]
	v_cmp_gt_i32_e32 vcc, s22, v0
	s_and_saveexec_b64 s[0:1], vcc
	s_cbranch_execz .LBB30_13
; %bb.11:
	s_mul_i32 s0, s6, s15
	s_mul_hi_u32 s1, s6, s14
	s_add_i32 s1, s1, s0
	s_mul_i32 s0, s6, s14
	s_lshl_b64 s[0:1], s[0:1], 1
	s_add_u32 s2, s18, s0
	s_addc_u32 s6, s19, s1
	s_ashr_i32 s0, s20, 31
	s_mul_i32 s0, s10, s0
	s_add_i32 s0, s40, s0
	s_add_i32 s37, s0, s41
	s_lshl_b64 s[0:1], s[36:37], 1
	s_add_u32 s3, s24, s0
	s_addc_u32 s8, s25, s1
	s_ashr_i32 s0, s21, 31
	s_mul_i32 s33, s33, s0
	s_add_i32 s0, s11, s33
	s_load_dword s4, s[4:5], 0x8c
	s_add_i32 s35, s0, s7
	s_lshl_b64 s[0:1], s[34:35], 1
	s_add_u32 s3, s3, s0
	s_addc_u32 s5, s8, s1
	s_waitcnt lgkmcnt(0)
	s_and_b32 s4, s4, 0xffff
	s_mov_b64 s[0:1], 0
	v_mov_b32_e32 v2, s6
	v_mov_b32_e32 v3, s5
.LBB30_12:                              ; =>This Inner Loop Header: Depth=1
	v_ashrrev_i32_e32 v1, 31, v0
	v_lshlrev_b64 v[4:5], 1, v[0:1]
	v_add_co_u32_e32 v6, vcc, s2, v4
	v_addc_co_u32_e32 v7, vcc, v2, v5, vcc
	global_load_ushort v1, v[6:7], off
	v_add_co_u32_e32 v4, vcc, s3, v4
	v_addc_co_u32_e32 v5, vcc, v3, v5, vcc
	v_add_u32_e32 v0, s4, v0
	v_cmp_le_i32_e32 vcc, s22, v0
	s_or_b64 s[0:1], vcc, s[0:1]
	s_waitcnt vmcnt(0)
	global_store_short v[4:5], v1, off
	s_andn2_b64 exec, exec, s[0:1]
	s_cbranch_execnz .LBB30_12
.LBB30_13:
	s_endpgm
.LBB30_14:
                                        ; implicit-def: $sgpr10_sgpr11
	s_branch .LBB30_6
	.section	.rodata,"a",@progbits
	.p2align	6, 0x0
	.amdhsa_kernel _ZN4vllm38concat_and_cache_mla_rope_fused_kernelIN3c108BFloat16EfLb1EttLNS_18Fp8KVCacheDataTypeE0EEEvPKlPT_S7_PKS6_PKT0_illlliPT3_S5_iiiiPKf
		.amdhsa_group_segment_fixed_size 0
		.amdhsa_private_segment_fixed_size 0
		.amdhsa_kernarg_size 384
		.amdhsa_user_sgpr_count 6
		.amdhsa_user_sgpr_private_segment_buffer 1
		.amdhsa_user_sgpr_dispatch_ptr 0
		.amdhsa_user_sgpr_queue_ptr 0
		.amdhsa_user_sgpr_kernarg_segment_ptr 1
		.amdhsa_user_sgpr_dispatch_id 0
		.amdhsa_user_sgpr_flat_scratch_init 0
		.amdhsa_user_sgpr_kernarg_preload_length 0
		.amdhsa_user_sgpr_kernarg_preload_offset 0
		.amdhsa_user_sgpr_private_segment_size 0
		.amdhsa_uses_dynamic_stack 0
		.amdhsa_system_sgpr_private_segment_wavefront_offset 0
		.amdhsa_system_sgpr_workgroup_id_x 1
		.amdhsa_system_sgpr_workgroup_id_y 0
		.amdhsa_system_sgpr_workgroup_id_z 0
		.amdhsa_system_sgpr_workgroup_info 0
		.amdhsa_system_vgpr_workitem_id 0
		.amdhsa_next_free_vgpr 25
		.amdhsa_next_free_sgpr 47
		.amdhsa_accum_offset 28
		.amdhsa_reserve_vcc 1
		.amdhsa_reserve_flat_scratch 0
		.amdhsa_float_round_mode_32 0
		.amdhsa_float_round_mode_16_64 0
		.amdhsa_float_denorm_mode_32 3
		.amdhsa_float_denorm_mode_16_64 3
		.amdhsa_dx10_clamp 1
		.amdhsa_ieee_mode 1
		.amdhsa_fp16_overflow 0
		.amdhsa_tg_split 0
		.amdhsa_exception_fp_ieee_invalid_op 0
		.amdhsa_exception_fp_denorm_src 0
		.amdhsa_exception_fp_ieee_div_zero 0
		.amdhsa_exception_fp_ieee_overflow 0
		.amdhsa_exception_fp_ieee_underflow 0
		.amdhsa_exception_fp_ieee_inexact 0
		.amdhsa_exception_int_div_zero 0
	.end_amdhsa_kernel
	.section	.text._ZN4vllm38concat_and_cache_mla_rope_fused_kernelIN3c108BFloat16EfLb1EttLNS_18Fp8KVCacheDataTypeE0EEEvPKlPT_S7_PKS6_PKT0_illlliPT3_S5_iiiiPKf,"axG",@progbits,_ZN4vllm38concat_and_cache_mla_rope_fused_kernelIN3c108BFloat16EfLb1EttLNS_18Fp8KVCacheDataTypeE0EEEvPKlPT_S7_PKS6_PKT0_illlliPT3_S5_iiiiPKf,comdat
.Lfunc_end30:
	.size	_ZN4vllm38concat_and_cache_mla_rope_fused_kernelIN3c108BFloat16EfLb1EttLNS_18Fp8KVCacheDataTypeE0EEEvPKlPT_S7_PKS6_PKT0_illlliPT3_S5_iiiiPKf, .Lfunc_end30-_ZN4vllm38concat_and_cache_mla_rope_fused_kernelIN3c108BFloat16EfLb1EttLNS_18Fp8KVCacheDataTypeE0EEEvPKlPT_S7_PKS6_PKT0_illlliPT3_S5_iiiiPKf
                                        ; -- End function
	.section	.AMDGPU.csdata,"",@progbits
; Kernel info:
; codeLenInByte = 2708
; NumSgprs: 51
; NumVgprs: 25
; NumAgprs: 0
; TotalNumVgprs: 25
; ScratchSize: 0
; MemoryBound: 0
; FloatMode: 240
; IeeeMode: 1
; LDSByteSize: 0 bytes/workgroup (compile time only)
; SGPRBlocks: 6
; VGPRBlocks: 3
; NumSGPRsForWavesPerEU: 51
; NumVGPRsForWavesPerEU: 25
; AccumOffset: 28
; Occupancy: 8
; WaveLimiterHint : 1
; COMPUTE_PGM_RSRC2:SCRATCH_EN: 0
; COMPUTE_PGM_RSRC2:USER_SGPR: 6
; COMPUTE_PGM_RSRC2:TRAP_HANDLER: 0
; COMPUTE_PGM_RSRC2:TGID_X_EN: 1
; COMPUTE_PGM_RSRC2:TGID_Y_EN: 0
; COMPUTE_PGM_RSRC2:TGID_Z_EN: 0
; COMPUTE_PGM_RSRC2:TIDIG_COMP_CNT: 0
; COMPUTE_PGM_RSRC3_GFX90A:ACCUM_OFFSET: 6
; COMPUTE_PGM_RSRC3_GFX90A:TG_SPLIT: 0
	.section	.text._ZN4vllm38concat_and_cache_mla_rope_fused_kernelIN3c108BFloat16EfLb0EttLNS_18Fp8KVCacheDataTypeE0EEEvPKlPT_S7_PKS6_PKT0_illlliPT3_S5_iiiiPKf,"axG",@progbits,_ZN4vllm38concat_and_cache_mla_rope_fused_kernelIN3c108BFloat16EfLb0EttLNS_18Fp8KVCacheDataTypeE0EEEvPKlPT_S7_PKS6_PKT0_illlliPT3_S5_iiiiPKf,comdat
	.protected	_ZN4vllm38concat_and_cache_mla_rope_fused_kernelIN3c108BFloat16EfLb0EttLNS_18Fp8KVCacheDataTypeE0EEEvPKlPT_S7_PKS6_PKT0_illlliPT3_S5_iiiiPKf ; -- Begin function _ZN4vllm38concat_and_cache_mla_rope_fused_kernelIN3c108BFloat16EfLb0EttLNS_18Fp8KVCacheDataTypeE0EEEvPKlPT_S7_PKS6_PKT0_illlliPT3_S5_iiiiPKf
	.globl	_ZN4vllm38concat_and_cache_mla_rope_fused_kernelIN3c108BFloat16EfLb0EttLNS_18Fp8KVCacheDataTypeE0EEEvPKlPT_S7_PKS6_PKT0_illlliPT3_S5_iiiiPKf
	.p2align	8
	.type	_ZN4vllm38concat_and_cache_mla_rope_fused_kernelIN3c108BFloat16EfLb0EttLNS_18Fp8KVCacheDataTypeE0EEEvPKlPT_S7_PKS6_PKT0_illlliPT3_S5_iiiiPKf,@function
_ZN4vllm38concat_and_cache_mla_rope_fused_kernelIN3c108BFloat16EfLb0EttLNS_18Fp8KVCacheDataTypeE0EEEvPKlPT_S7_PKS6_PKT0_illlliPT3_S5_iiiiPKf: ; @_ZN4vllm38concat_and_cache_mla_rope_fused_kernelIN3c108BFloat16EfLb0EttLNS_18Fp8KVCacheDataTypeE0EEEvPKlPT_S7_PKS6_PKT0_illlliPT3_S5_iiiiPKf
; %bb.0:
	s_load_dwordx2 s[2:3], s[4:5], 0x60
	s_mov_b32 s7, 0
	s_lshl_b64 s[0:1], s[6:7], 3
	s_waitcnt lgkmcnt(0)
	s_add_u32 s2, s2, s0
	s_addc_u32 s3, s3, s1
	s_load_dwordx2 s[28:29], s[2:3], 0x0
	s_waitcnt lgkmcnt(0)
	v_cmp_lt_i64_e64 s[2:3], s[28:29], 0
	s_and_b64 vcc, exec, s[2:3]
	s_cbranch_vccnz .LBB31_13
; %bb.1:
	s_load_dword s7, s[4:5], 0x28
	s_load_dwordx2 s[2:3], s[4:5], 0x0
	s_load_dwordx4 s[16:19], s[4:5], 0x10
	s_waitcnt lgkmcnt(0)
	s_ashr_i32 s22, s7, 31
	s_add_u32 s0, s2, s0
	s_addc_u32 s1, s3, s1
	s_load_dwordx2 s[20:21], s[0:1], 0x0
	s_load_dwordx2 s[2:3], s[4:5], 0x20
	s_load_dwordx8 s[8:15], s[4:5], 0x30
	s_load_dwordx2 s[24:25], s[4:5], 0x58
	s_load_dword s23, s[4:5], 0x50
	s_waitcnt lgkmcnt(0)
	s_mul_i32 s0, s20, s22
	s_mul_hi_u32 s1, s20, s7
	s_mul_i32 s21, s21, s7
	s_add_i32 s0, s1, s0
	s_add_i32 s31, s0, s21
	s_lshr_b32 s0, s7, 31
	s_mul_i32 s30, s20, s7
	s_add_i32 s7, s7, s0
	s_ashr_i32 s26, s7, 1
	s_mul_i32 s7, s26, s23
	v_cmp_gt_i32_e32 vcc, s7, v0
	s_and_saveexec_b64 s[20:21], vcc
	s_cbranch_execz .LBB31_4
; %bb.2:
	s_lshl_b64 s[0:1], s[30:31], 2
	s_add_u32 s33, s2, s0
	s_addc_u32 s22, s3, s1
	s_load_dwordx2 s[0:1], s[4:5], 0x8
	s_mul_i32 s9, s6, s9
	s_mul_hi_u32 s23, s6, s8
	s_add_i32 s9, s23, s9
	s_load_dword s23, s[4:5], 0x8c
	s_mul_i32 s8, s6, s8
	s_ashr_i32 s27, s26, 31
	s_lshl_b64 s[8:9], s[8:9], 1
	s_waitcnt lgkmcnt(0)
	s_add_u32 s34, s0, s8
	s_addc_u32 s0, s1, s9
	s_abs_i32 s35, s26
	v_cvt_f32_u32_e32 v1, s35
	s_sub_i32 s1, 0, s35
	s_and_b32 s36, s23, 0xffff
	v_mov_b32_e32 v3, s22
	v_rcp_iflag_f32_e32 v1, v1
	s_lshl_b64 s[22:23], s[26:27], 2
	s_sub_i32 s37, 0, s26
	s_lshl_b32 s39, s36, 1
	v_mul_f32_e32 v1, 0x4f7ffffe, v1
	v_cvt_u32_f32_e32 v1, v1
	s_mov_b64 s[8:9], 0
	s_movk_i32 s40, 0x7fff
	v_mov_b32_e32 v5, s23
	v_mul_lo_u32 v2, s1, v1
	v_mul_hi_u32 v2, v1, v2
	s_lshl_b32 s1, s26, 1
	v_add_u32_e32 v1, v1, v2
	s_sub_i32 s38, 0, s1
	v_lshlrev_b32_e32 v2, 1, v0
	v_mov_b32_e32 v6, s0
	v_mov_b32_e32 v7, 0x7fc00000
	;; [unrolled: 1-line block ×3, first 2 shown]
	s_mov_b32 s23, 0x5040100
	v_mov_b32_e32 v4, v0
.LBB31_3:                               ; =>This Inner Loop Header: Depth=1
	v_sub_u32_e32 v10, 0, v4
	v_max_i32_e32 v10, v4, v10
	v_mul_hi_u32 v11, v10, v1
	v_mul_lo_u32 v12, v11, s35
	v_sub_u32_e32 v10, v10, v12
	v_add_u32_e32 v13, 1, v11
	v_cmp_le_u32_e32 vcc, s35, v10
	v_subrev_u32_e32 v12, s35, v10
	v_cndmask_b32_e32 v11, v11, v13, vcc
	v_cndmask_b32_e32 v10, v10, v12, vcc
	v_ashrrev_i32_e32 v9, 31, v4
	v_add_u32_e32 v12, 1, v11
	v_cmp_le_u32_e32 vcc, s35, v10
	v_xor_b32_e32 v9, s27, v9
	v_cndmask_b32_e32 v10, v11, v12, vcc
	v_xor_b32_e32 v10, v10, v9
	v_sub_u32_e32 v9, v10, v9
	v_mad_u64_u32 v[10:11], s[0:1], s37, v9, v[4:5]
	v_ashrrev_i32_e32 v11, 31, v10
	v_lshlrev_b64 v[10:11], 2, v[10:11]
	v_ashrrev_i32_e32 v16, 31, v9
	v_add_co_u32_e32 v10, vcc, s33, v10
	v_mul_lo_u32 v17, v9, s11
	v_mad_u64_u32 v[12:13], s[0:1], v9, s10, 0
	v_mad_u64_u32 v[14:15], s[0:1], s38, v9, v[2:3]
	v_mul_lo_u32 v9, v16, s10
	v_addc_co_u32_e32 v11, vcc, v3, v11, vcc
	v_add3_u32 v13, v13, v17, v9
	v_add_co_u32_e32 v16, vcc, s22, v10
	v_lshlrev_b64 v[12:13], 1, v[12:13]
	v_addc_co_u32_e32 v17, vcc, v11, v5, vcc
	v_ashrrev_i32_e32 v15, 31, v14
	v_add_co_u32_e32 v9, vcc, s34, v12
	v_lshlrev_b64 v[14:15], 1, v[14:15]
	v_addc_co_u32_e32 v12, vcc, v6, v13, vcc
	global_load_dword v18, v[10:11], off
	global_load_dword v19, v[16:17], off
	v_add_co_u32_e32 v10, vcc, v9, v14
	v_addc_co_u32_e32 v11, vcc, v12, v15, vcc
	global_load_dword v9, v[10:11], off
	v_add_u32_e32 v4, s36, v4
	v_cmp_le_i32_e32 vcc, s7, v4
	s_or_b64 s[8:9], vcc, s[8:9]
	v_add_u32_e32 v2, s39, v2
	s_waitcnt vmcnt(2)
	v_bfe_u32 v12, v18, 16, 1
	v_add3_u32 v12, v18, v12, s40
	s_waitcnt vmcnt(1)
	v_bfe_u32 v13, v19, 16, 1
	v_and_b32_e32 v14, 0xffff0000, v12
	v_cmp_o_f32_e32 vcc, v18, v18
	v_add3_u32 v15, v19, v13, s40
	s_waitcnt vmcnt(0)
	v_and_b32_e32 v13, 0xffff0000, v9
	v_lshlrev_b32_e32 v12, 16, v9
	v_cndmask_b32_e32 v14, v7, v14, vcc
	v_and_b32_e32 v9, 0xffff0000, v15
	v_cmp_o_f32_e32 vcc, v19, v19
	v_pk_mul_f32 v[14:15], v[14:15], v[12:13] op_sel_hi:[0,1]
	v_cndmask_b32_e32 v16, v7, v9, vcc
	v_bfe_u32 v17, v15, 16, 1
	v_bfe_u32 v9, v14, 16, 1
	v_pk_mul_f32 v[12:13], v[16:17], v[12:13] op_sel_hi:[0,1]
	v_add3_u32 v16, v15, v17, s40
	v_add3_u32 v9, v14, v9, s40
	v_bfe_u32 v17, v13, 16, 1
	v_bfe_u32 v18, v12, 16, 1
	v_and_b32_e32 v9, 0xffff0000, v9
	v_and_b32_e32 v16, 0xffff0000, v16
	v_add3_u32 v18, v12, v18, s40
	v_add3_u32 v17, v13, v17, s40
	v_cmp_o_f32_e32 vcc, v14, v14
	v_cmp_o_f32_e64 s[0:1], v15, v15
	v_and_b32_e32 v17, 0xffff0000, v17
	v_and_b32_e32 v18, 0xffff0000, v18
	v_cndmask_b32_e64 v15, v7, v16, s[0:1]
	v_cndmask_b32_e32 v14, v7, v9, vcc
	v_cmp_o_f32_e32 vcc, v13, v13
	v_cmp_o_f32_e64 s[0:1], v12, v12
	v_cndmask_b32_e64 v13, v7, v18, s[0:1]
	v_cndmask_b32_e32 v12, v7, v17, vcc
	v_pk_add_f32 v[16:17], v[14:15], v[12:13] neg_lo:[0,1] neg_hi:[0,1]
	v_pk_add_f32 v[12:13], v[14:15], v[12:13]
	v_bfe_u32 v9, v16, 16, 1
	v_bfe_u32 v12, v13, 16, 1
	v_add3_u32 v12, v13, v12, s40
	v_add3_u32 v9, v16, v9, s40
	v_lshrrev_b32_e32 v9, 16, v9
	v_lshrrev_b32_e32 v12, 16, v12
	v_cmp_o_f32_e32 vcc, v13, v13
	v_cmp_o_f32_e64 s[0:1], v16, v16
	v_cndmask_b32_e64 v9, v8, v9, s[0:1]
	v_cndmask_b32_e32 v12, v8, v12, vcc
	v_perm_b32 v9, v12, v9, s23
	global_store_dword v[10:11], v9, off
	s_andn2_b64 exec, exec, s[8:9]
	s_cbranch_execnz .LBB31_3
.LBB31_4:
	s_or_b64 exec, exec, s[20:21]
	s_load_dwordx4 s[20:23], s[4:5], 0x68
	s_waitcnt lgkmcnt(0)
	s_ashr_i32 s9, s23, 31
	s_mov_b32 s8, s23
	s_or_b64 s[0:1], s[28:29], s[8:9]
	s_mov_b32 s0, 0
	s_cmp_lg_u64 s[0:1], 0
	s_cbranch_scc0 .LBB31_14
; %bb.5:
	s_add_u32 s0, s8, s9
	s_mov_b32 s10, s9
	s_mov_b32 s11, s9
	s_addc_u32 s1, s9, s9
	s_xor_b64 s[36:37], s[0:1], s[10:11]
	v_cvt_f32_u32_e32 v1, s36
	v_cvt_f32_u32_e32 v2, s37
	s_sub_u32 s0, 0, s36
	s_subb_u32 s1, 0, s37
	v_madmk_f32 v1, v2, 0x4f800000, v1
	v_rcp_f32_e32 v1, v1
	v_mul_f32_e32 v1, 0x5f7ffffc, v1
	v_mul_f32_e32 v2, 0x2f800000, v1
	v_trunc_f32_e32 v2, v2
	v_madmk_f32 v1, v2, 0xcf800000, v1
	v_cvt_u32_f32_e32 v2, v2
	v_cvt_u32_f32_e32 v1, v1
	v_readfirstlane_b32 s7, v2
	v_readfirstlane_b32 s23, v1
	s_mul_i32 s27, s0, s7
	s_mul_hi_u32 s38, s0, s23
	s_mul_i32 s33, s1, s23
	s_add_i32 s27, s38, s27
	s_add_i32 s27, s27, s33
	s_mul_i32 s39, s0, s23
	s_mul_hi_u32 s33, s23, s27
	s_mul_i32 s38, s23, s27
	s_mul_hi_u32 s23, s23, s39
	s_add_u32 s23, s23, s38
	s_addc_u32 s33, 0, s33
	s_mul_hi_u32 s40, s7, s39
	s_mul_i32 s39, s7, s39
	s_add_u32 s23, s23, s39
	s_mul_hi_u32 s38, s7, s27
	s_addc_u32 s23, s33, s40
	s_addc_u32 s33, s38, 0
	s_mul_i32 s27, s7, s27
	s_add_u32 s23, s23, s27
	s_addc_u32 s27, 0, s33
	v_add_co_u32_e32 v1, vcc, s23, v1
	s_cmp_lg_u64 vcc, 0
	s_addc_u32 s7, s7, s27
	v_readfirstlane_b32 s27, v1
	s_mul_i32 s23, s0, s7
	s_mul_hi_u32 s33, s0, s27
	s_add_i32 s23, s33, s23
	s_mul_i32 s1, s1, s27
	s_add_i32 s23, s23, s1
	s_mul_i32 s0, s0, s27
	s_mul_hi_u32 s33, s7, s0
	s_mul_i32 s38, s7, s0
	s_mul_i32 s40, s27, s23
	s_mul_hi_u32 s0, s27, s0
	s_mul_hi_u32 s39, s27, s23
	s_add_u32 s0, s0, s40
	s_addc_u32 s27, 0, s39
	s_add_u32 s0, s0, s38
	s_mul_hi_u32 s1, s7, s23
	s_addc_u32 s0, s27, s33
	s_addc_u32 s1, s1, 0
	s_mul_i32 s23, s7, s23
	s_add_u32 s0, s0, s23
	s_addc_u32 s1, 0, s1
	v_add_co_u32_e32 v1, vcc, s0, v1
	s_cmp_lg_u64 vcc, 0
	s_addc_u32 s7, s7, s1
	s_ashr_i32 s38, s29, 31
	s_add_u32 s0, s28, s38
	s_mov_b32 s39, s38
	s_addc_u32 s1, s29, s38
	s_xor_b64 s[40:41], s[0:1], s[38:39]
	v_readfirstlane_b32 s23, v1
	s_mul_i32 s1, s40, s7
	s_mul_hi_u32 s27, s40, s23
	s_mul_hi_u32 s0, s40, s7
	s_add_u32 s1, s27, s1
	s_addc_u32 s0, 0, s0
	s_mul_hi_u32 s33, s41, s23
	s_mul_i32 s23, s41, s23
	s_add_u32 s1, s1, s23
	s_mul_hi_u32 s27, s41, s7
	s_addc_u32 s0, s0, s33
	s_addc_u32 s1, s27, 0
	s_mul_i32 s7, s41, s7
	s_add_u32 s7, s0, s7
	s_addc_u32 s23, 0, s1
	s_mul_i32 s0, s36, s23
	s_mul_hi_u32 s1, s36, s7
	s_add_i32 s0, s1, s0
	s_mul_i32 s1, s37, s7
	s_add_i32 s27, s0, s1
	s_mul_i32 s1, s36, s7
	v_mov_b32_e32 v1, s1
	s_sub_i32 s0, s41, s27
	v_sub_co_u32_e32 v1, vcc, s40, v1
	s_cmp_lg_u64 vcc, 0
	s_subb_u32 s33, s0, s37
	v_subrev_co_u32_e64 v2, s[0:1], s36, v1
	s_cmp_lg_u64 s[0:1], 0
	s_subb_u32 s0, s33, 0
	s_cmp_ge_u32 s0, s37
	v_readfirstlane_b32 s33, v2
	s_cselect_b32 s1, -1, 0
	s_cmp_ge_u32 s33, s36
	s_cselect_b32 s33, -1, 0
	s_cmp_eq_u32 s0, s37
	s_cselect_b32 s0, s33, s1
	s_add_u32 s1, s7, 1
	s_addc_u32 s33, s23, 0
	s_add_u32 s40, s7, 2
	s_addc_u32 s42, s23, 0
	s_cmp_lg_u32 s0, 0
	s_cselect_b32 s0, s40, s1
	s_cselect_b32 s1, s42, s33
	s_cmp_lg_u64 vcc, 0
	s_subb_u32 s27, s41, s27
	s_cmp_ge_u32 s27, s37
	v_readfirstlane_b32 s40, v1
	s_cselect_b32 s33, -1, 0
	s_cmp_ge_u32 s40, s36
	s_cselect_b32 s36, -1, 0
	s_cmp_eq_u32 s27, s37
	s_cselect_b32 s27, s36, s33
	s_cmp_lg_u32 s27, 0
	s_cselect_b32 s1, s1, s23
	s_cselect_b32 s0, s0, s7
	s_xor_b64 s[10:11], s[38:39], s[10:11]
	s_xor_b64 s[0:1], s[0:1], s[10:11]
	s_sub_u32 s10, s0, s10
	s_subb_u32 s11, s1, s11
	s_cbranch_execnz .LBB31_7
.LBB31_6:
	v_cvt_f32_u32_e32 v1, s8
	s_sub_i32 s0, 0, s8
	s_mov_b32 s11, 0
	v_rcp_iflag_f32_e32 v1, v1
	v_mul_f32_e32 v1, 0x4f7ffffe, v1
	v_cvt_u32_f32_e32 v1, v1
	v_readfirstlane_b32 s1, v1
	s_mul_i32 s0, s0, s1
	s_mul_hi_u32 s0, s1, s0
	s_add_i32 s1, s1, s0
	s_mul_hi_u32 s0, s28, s1
	s_mul_i32 s7, s0, s8
	s_sub_i32 s7, s28, s7
	s_add_i32 s1, s0, 1
	s_sub_i32 s10, s7, s8
	s_cmp_ge_u32 s7, s8
	s_cselect_b32 s0, s1, s0
	s_cselect_b32 s7, s10, s7
	s_add_i32 s1, s0, 1
	s_cmp_ge_u32 s7, s8
	s_cselect_b32 s10, s1, s0
.LBB31_7:
	s_mul_i32 s0, s10, s9
	s_mul_hi_u32 s1, s10, s8
	s_add_i32 s0, s1, s0
	s_mul_i32 s1, s11, s8
	s_add_i32 s0, s0, s1
	s_mul_i32 s1, s10, s8
	s_sub_u32 s33, s28, s1
	s_subb_u32 s7, s29, s0
	v_cmp_gt_i32_e32 vcc, s26, v0
	s_mul_hi_u32 s38, s10, s20
	s_mul_i32 s39, s11, s20
	s_mul_i32 s34, s10, s20
	s_mul_hi_u32 s11, s33, s21
	s_mul_i32 s7, s7, s21
	s_mul_i32 s28, s33, s21
	s_and_saveexec_b64 s[36:37], vcc
	s_cbranch_execz .LBB31_10
; %bb.8:
	s_load_dword s0, s[4:5], 0x8c
	s_ashr_i32 s27, s26, 31
	s_ashr_i32 s8, s20, 31
	;; [unrolled: 1-line block ×4, first 2 shown]
	s_waitcnt lgkmcnt(0)
	s_and_b32 s40, s0, 0xffff
	s_lshl_b64 s[0:1], s[30:31], 2
	s_add_u32 s0, s2, s0
	v_lshlrev_b32_e32 v7, 2, v0
	s_addc_u32 s1, s3, s1
	v_mov_b32_e32 v2, s1
	v_add_co_u32_e32 v1, vcc, s0, v7
	v_addc_co_u32_e32 v2, vcc, 0, v2, vcc
	s_lshl_b64 s[0:1], s[26:27], 2
	v_mov_b32_e32 v4, s1
	v_add_co_u32_e32 v3, vcc, s0, v1
	s_mul_i32 s0, s13, s6
	s_mul_hi_u32 s1, s12, s6
	s_add_i32 s1, s1, s0
	s_mul_i32 s0, s12, s6
	s_lshl_b32 s30, s40, 2
	s_lshl_b64 s[0:1], s[0:1], 1
	v_addc_co_u32_e32 v4, vcc, v2, v4, vcc
	s_add_u32 s0, s16, s0
	v_add_co_u32_e32 v5, vcc, s0, v7
	s_mul_i32 s0, s10, s8
	s_mul_i32 s2, s33, s9
	s_addc_u32 s1, s17, s1
	s_add_i32 s0, s38, s0
	s_add_i32 s2, s11, s2
	;; [unrolled: 1-line block ×4, first 2 shown]
	v_mov_b32_e32 v6, s1
	s_lshl_b64 s[0:1], s[34:35], 1
	s_lshl_b64 s[2:3], s[28:29], 1
	s_add_u32 s2, s0, s2
	s_addc_u32 s3, s1, s3
	s_lshl_b64 s[0:1], s[22:23], 1
	s_add_u32 s0, s24, s0
	s_addc_u32 s1, s25, s1
	s_add_u32 s0, s0, s2
	v_addc_co_u32_e32 v6, vcc, 0, v6, vcc
	s_addc_u32 s1, s1, s3
	v_mov_b32_e32 v8, s1
	v_add_co_u32_e32 v7, vcc, s0, v7
	v_addc_co_u32_e32 v8, vcc, 0, v8, vcc
	s_mov_b64 s[12:13], 0
	s_movk_i32 s23, 0x7fff
	v_mov_b32_e32 v9, 0x7fc00000
	v_mov_b32_e32 v10, 0x7fc0
	s_mov_b32 s27, 0x5040100
	s_mov_b64 s[16:17], 0
	v_mov_b32_e32 v11, v0
.LBB31_9:                               ; =>This Inner Loop Header: Depth=1
	v_mov_b32_e32 v18, s17
	v_add_co_u32_e64 v16, s[2:3], s16, v1
	v_add_co_u32_e32 v12, vcc, s16, v3
	v_add_co_u32_e64 v14, s[0:1], s16, v5
	v_addc_co_u32_e64 v17, s[2:3], v2, v18, s[2:3]
	v_addc_co_u32_e32 v13, vcc, v4, v18, vcc
	v_addc_co_u32_e64 v15, vcc, v6, v18, s[0:1]
	global_load_dword v19, v[16:17], off
	global_load_dword v20, v[12:13], off
	;; [unrolled: 1-line block ×3, first 2 shown]
	v_add_co_u32_e32 v12, vcc, s16, v7
	v_add_u32_e32 v11, s40, v11
	s_add_u32 s16, s16, s30
	v_addc_co_u32_e32 v13, vcc, v8, v18, vcc
	s_addc_u32 s17, s17, 0
	v_cmp_le_i32_e32 vcc, s26, v11
	s_or_b64 s[12:13], vcc, s[12:13]
	s_waitcnt vmcnt(2)
	v_bfe_u32 v18, v19, 16, 1
	s_waitcnt vmcnt(1)
	v_bfe_u32 v22, v20, 16, 1
	s_waitcnt vmcnt(0)
	v_and_b32_e32 v17, 0xffff0000, v21
	v_lshlrev_b32_e32 v16, 16, v21
	v_add3_u32 v18, v19, v18, s23
	v_add3_u32 v21, v20, v22, s23
	v_and_b32_e32 v18, 0xffff0000, v18
	v_and_b32_e32 v21, 0xffff0000, v21
	v_cmp_o_f32_e32 vcc, v20, v20
	v_cmp_o_f32_e64 s[0:1], v19, v19
	v_cndmask_b32_e64 v18, v9, v18, s[0:1]
	v_cndmask_b32_e32 v20, v9, v21, vcc
	v_pk_mul_f32 v[18:19], v[18:19], v[16:17] op_sel_hi:[0,1]
	v_pk_mul_f32 v[16:17], v[20:21], v[16:17] op_sel_hi:[0,1]
	v_bfe_u32 v20, v18, 16, 1
	v_bfe_u32 v21, v19, 16, 1
	;; [unrolled: 1-line block ×4, first 2 shown]
	v_add3_u32 v21, v19, v21, s23
	v_add3_u32 v20, v18, v20, s23
	;; [unrolled: 1-line block ×4, first 2 shown]
	v_and_b32_e32 v20, 0xffff0000, v20
	v_and_b32_e32 v21, 0xffff0000, v21
	;; [unrolled: 1-line block ×4, first 2 shown]
	v_cmp_o_f32_e32 vcc, v18, v18
	v_cmp_o_f32_e64 s[0:1], v16, v16
	v_cmp_o_f32_e64 s[2:3], v17, v17
	;; [unrolled: 1-line block ×3, first 2 shown]
	v_cndmask_b32_e64 v17, v9, v21, s[8:9]
	v_cndmask_b32_e32 v16, v9, v20, vcc
	v_cndmask_b32_e64 v19, v9, v23, s[0:1]
	v_cndmask_b32_e64 v18, v9, v22, s[2:3]
	v_pk_add_f32 v[20:21], v[16:17], v[18:19] neg_lo:[0,1] neg_hi:[0,1]
	v_pk_add_f32 v[16:17], v[16:17], v[18:19]
	v_bfe_u32 v16, v20, 16, 1
	v_bfe_u32 v18, v17, 16, 1
	v_add3_u32 v18, v17, v18, s23
	v_add3_u32 v16, v20, v16, s23
	v_lshrrev_b32_e32 v16, 16, v16
	v_lshrrev_b32_e32 v18, 16, v18
	v_cmp_o_f32_e32 vcc, v17, v17
	v_cmp_o_f32_e64 s[0:1], v20, v20
	v_cndmask_b32_e64 v16, v10, v16, s[0:1]
	v_cndmask_b32_e32 v17, v10, v18, vcc
	v_perm_b32 v16, v17, v16, s27
	global_store_dword v[14:15], v16, off
	global_store_dword v[12:13], v16, off
	s_andn2_b64 exec, exec, s[12:13]
	s_cbranch_execnz .LBB31_9
.LBB31_10:
	s_or_b64 exec, exec, s[36:37]
	v_cmp_gt_i32_e32 vcc, s22, v0
	s_and_saveexec_b64 s[0:1], vcc
	s_cbranch_execz .LBB31_13
; %bb.11:
	s_mul_i32 s0, s6, s15
	s_mul_hi_u32 s1, s6, s14
	s_add_i32 s1, s1, s0
	s_mul_i32 s0, s6, s14
	s_lshl_b64 s[0:1], s[0:1], 1
	s_add_u32 s2, s18, s0
	s_addc_u32 s6, s19, s1
	s_ashr_i32 s0, s20, 31
	s_mul_i32 s0, s10, s0
	s_add_i32 s0, s38, s0
	s_add_i32 s35, s0, s39
	s_lshl_b64 s[0:1], s[34:35], 1
	s_add_u32 s3, s24, s0
	s_addc_u32 s8, s25, s1
	s_ashr_i32 s0, s21, 31
	s_mul_i32 s33, s33, s0
	s_add_i32 s0, s11, s33
	s_load_dword s4, s[4:5], 0x8c
	s_add_i32 s29, s0, s7
	s_lshl_b64 s[0:1], s[28:29], 1
	s_add_u32 s3, s3, s0
	s_addc_u32 s5, s8, s1
	s_waitcnt lgkmcnt(0)
	s_and_b32 s4, s4, 0xffff
	s_mov_b64 s[0:1], 0
	v_mov_b32_e32 v2, s6
	v_mov_b32_e32 v3, s5
.LBB31_12:                              ; =>This Inner Loop Header: Depth=1
	v_ashrrev_i32_e32 v1, 31, v0
	v_lshlrev_b64 v[4:5], 1, v[0:1]
	v_add_co_u32_e32 v6, vcc, s2, v4
	v_addc_co_u32_e32 v7, vcc, v2, v5, vcc
	global_load_ushort v1, v[6:7], off
	v_add_co_u32_e32 v4, vcc, s3, v4
	v_addc_co_u32_e32 v5, vcc, v3, v5, vcc
	v_add_u32_e32 v0, s4, v0
	v_cmp_le_i32_e32 vcc, s22, v0
	s_or_b64 s[0:1], vcc, s[0:1]
	s_waitcnt vmcnt(0)
	global_store_short v[4:5], v1, off
	s_andn2_b64 exec, exec, s[0:1]
	s_cbranch_execnz .LBB31_12
.LBB31_13:
	s_endpgm
.LBB31_14:
                                        ; implicit-def: $sgpr10_sgpr11
	s_branch .LBB31_6
	.section	.rodata,"a",@progbits
	.p2align	6, 0x0
	.amdhsa_kernel _ZN4vllm38concat_and_cache_mla_rope_fused_kernelIN3c108BFloat16EfLb0EttLNS_18Fp8KVCacheDataTypeE0EEEvPKlPT_S7_PKS6_PKT0_illlliPT3_S5_iiiiPKf
		.amdhsa_group_segment_fixed_size 0
		.amdhsa_private_segment_fixed_size 0
		.amdhsa_kernarg_size 384
		.amdhsa_user_sgpr_count 6
		.amdhsa_user_sgpr_private_segment_buffer 1
		.amdhsa_user_sgpr_dispatch_ptr 0
		.amdhsa_user_sgpr_queue_ptr 0
		.amdhsa_user_sgpr_kernarg_segment_ptr 1
		.amdhsa_user_sgpr_dispatch_id 0
		.amdhsa_user_sgpr_flat_scratch_init 0
		.amdhsa_user_sgpr_kernarg_preload_length 0
		.amdhsa_user_sgpr_kernarg_preload_offset 0
		.amdhsa_user_sgpr_private_segment_size 0
		.amdhsa_uses_dynamic_stack 0
		.amdhsa_system_sgpr_private_segment_wavefront_offset 0
		.amdhsa_system_sgpr_workgroup_id_x 1
		.amdhsa_system_sgpr_workgroup_id_y 0
		.amdhsa_system_sgpr_workgroup_id_z 0
		.amdhsa_system_sgpr_workgroup_info 0
		.amdhsa_system_vgpr_workitem_id 0
		.amdhsa_next_free_vgpr 24
		.amdhsa_next_free_sgpr 43
		.amdhsa_accum_offset 24
		.amdhsa_reserve_vcc 1
		.amdhsa_reserve_flat_scratch 0
		.amdhsa_float_round_mode_32 0
		.amdhsa_float_round_mode_16_64 0
		.amdhsa_float_denorm_mode_32 3
		.amdhsa_float_denorm_mode_16_64 3
		.amdhsa_dx10_clamp 1
		.amdhsa_ieee_mode 1
		.amdhsa_fp16_overflow 0
		.amdhsa_tg_split 0
		.amdhsa_exception_fp_ieee_invalid_op 0
		.amdhsa_exception_fp_denorm_src 0
		.amdhsa_exception_fp_ieee_div_zero 0
		.amdhsa_exception_fp_ieee_overflow 0
		.amdhsa_exception_fp_ieee_underflow 0
		.amdhsa_exception_fp_ieee_inexact 0
		.amdhsa_exception_int_div_zero 0
	.end_amdhsa_kernel
	.section	.text._ZN4vllm38concat_and_cache_mla_rope_fused_kernelIN3c108BFloat16EfLb0EttLNS_18Fp8KVCacheDataTypeE0EEEvPKlPT_S7_PKS6_PKT0_illlliPT3_S5_iiiiPKf,"axG",@progbits,_ZN4vllm38concat_and_cache_mla_rope_fused_kernelIN3c108BFloat16EfLb0EttLNS_18Fp8KVCacheDataTypeE0EEEvPKlPT_S7_PKS6_PKT0_illlliPT3_S5_iiiiPKf,comdat
.Lfunc_end31:
	.size	_ZN4vllm38concat_and_cache_mla_rope_fused_kernelIN3c108BFloat16EfLb0EttLNS_18Fp8KVCacheDataTypeE0EEEvPKlPT_S7_PKS6_PKT0_illlliPT3_S5_iiiiPKf, .Lfunc_end31-_ZN4vllm38concat_and_cache_mla_rope_fused_kernelIN3c108BFloat16EfLb0EttLNS_18Fp8KVCacheDataTypeE0EEEvPKlPT_S7_PKS6_PKT0_illlliPT3_S5_iiiiPKf
                                        ; -- End function
	.section	.AMDGPU.csdata,"",@progbits
; Kernel info:
; codeLenInByte = 2632
; NumSgprs: 47
; NumVgprs: 24
; NumAgprs: 0
; TotalNumVgprs: 24
; ScratchSize: 0
; MemoryBound: 0
; FloatMode: 240
; IeeeMode: 1
; LDSByteSize: 0 bytes/workgroup (compile time only)
; SGPRBlocks: 5
; VGPRBlocks: 2
; NumSGPRsForWavesPerEU: 47
; NumVGPRsForWavesPerEU: 24
; AccumOffset: 24
; Occupancy: 8
; WaveLimiterHint : 1
; COMPUTE_PGM_RSRC2:SCRATCH_EN: 0
; COMPUTE_PGM_RSRC2:USER_SGPR: 6
; COMPUTE_PGM_RSRC2:TRAP_HANDLER: 0
; COMPUTE_PGM_RSRC2:TGID_X_EN: 1
; COMPUTE_PGM_RSRC2:TGID_Y_EN: 0
; COMPUTE_PGM_RSRC2:TGID_Z_EN: 0
; COMPUTE_PGM_RSRC2:TIDIG_COMP_CNT: 0
; COMPUTE_PGM_RSRC3_GFX90A:ACCUM_OFFSET: 5
; COMPUTE_PGM_RSRC3_GFX90A:TG_SPLIT: 0
	.section	.text._ZN4vllm38concat_and_cache_mla_rope_fused_kernelIN3c108BFloat16ENS1_4HalfELb1EttLNS_18Fp8KVCacheDataTypeE0EEEvPKlPT_S8_PKS7_PKT0_illlliPT3_S6_iiiiPKf,"axG",@progbits,_ZN4vllm38concat_and_cache_mla_rope_fused_kernelIN3c108BFloat16ENS1_4HalfELb1EttLNS_18Fp8KVCacheDataTypeE0EEEvPKlPT_S8_PKS7_PKT0_illlliPT3_S6_iiiiPKf,comdat
	.protected	_ZN4vllm38concat_and_cache_mla_rope_fused_kernelIN3c108BFloat16ENS1_4HalfELb1EttLNS_18Fp8KVCacheDataTypeE0EEEvPKlPT_S8_PKS7_PKT0_illlliPT3_S6_iiiiPKf ; -- Begin function _ZN4vllm38concat_and_cache_mla_rope_fused_kernelIN3c108BFloat16ENS1_4HalfELb1EttLNS_18Fp8KVCacheDataTypeE0EEEvPKlPT_S8_PKS7_PKT0_illlliPT3_S6_iiiiPKf
	.globl	_ZN4vllm38concat_and_cache_mla_rope_fused_kernelIN3c108BFloat16ENS1_4HalfELb1EttLNS_18Fp8KVCacheDataTypeE0EEEvPKlPT_S8_PKS7_PKT0_illlliPT3_S6_iiiiPKf
	.p2align	8
	.type	_ZN4vllm38concat_and_cache_mla_rope_fused_kernelIN3c108BFloat16ENS1_4HalfELb1EttLNS_18Fp8KVCacheDataTypeE0EEEvPKlPT_S8_PKS7_PKT0_illlliPT3_S6_iiiiPKf,@function
_ZN4vllm38concat_and_cache_mla_rope_fused_kernelIN3c108BFloat16ENS1_4HalfELb1EttLNS_18Fp8KVCacheDataTypeE0EEEvPKlPT_S8_PKS7_PKT0_illlliPT3_S6_iiiiPKf: ; @_ZN4vllm38concat_and_cache_mla_rope_fused_kernelIN3c108BFloat16ENS1_4HalfELb1EttLNS_18Fp8KVCacheDataTypeE0EEEvPKlPT_S8_PKS7_PKT0_illlliPT3_S6_iiiiPKf
; %bb.0:
	s_load_dwordx2 s[2:3], s[4:5], 0x60
	s_mov_b32 s7, 0
	s_lshl_b64 s[0:1], s[6:7], 3
	s_waitcnt lgkmcnt(0)
	s_add_u32 s2, s2, s0
	s_addc_u32 s3, s3, s1
	s_load_dwordx2 s[34:35], s[2:3], 0x0
	s_waitcnt lgkmcnt(0)
	v_cmp_lt_i64_e64 s[2:3], s[34:35], 0
	s_and_b64 vcc, exec, s[2:3]
	s_cbranch_vccnz .LBB32_13
; %bb.1:
	s_load_dword s20, s[4:5], 0x28
	s_load_dwordx2 s[2:3], s[4:5], 0x0
	s_load_dwordx4 s[16:19], s[4:5], 0x10
	s_waitcnt lgkmcnt(0)
	s_ashr_i32 s7, s20, 31
	s_add_u32 s0, s2, s0
	s_addc_u32 s1, s3, s1
	s_load_dwordx2 s[2:3], s[0:1], 0x0
	s_load_dwordx2 s[28:29], s[4:5], 0x20
	s_load_dwordx8 s[8:15], s[4:5], 0x30
	s_load_dwordx2 s[24:25], s[4:5], 0x58
	s_load_dword s21, s[4:5], 0x50
	s_waitcnt lgkmcnt(0)
	s_mul_i32 s0, s2, s7
	s_mul_hi_u32 s1, s2, s20
	s_mul_i32 s3, s3, s20
	s_add_i32 s0, s1, s0
	s_add_i32 s1, s0, s3
	s_mul_i32 s0, s2, s20
	s_lshl_b64 s[30:31], s[0:1], 1
	s_add_u32 s7, s28, s30
	s_addc_u32 s33, s29, s31
	s_lshr_b32 s0, s20, 31
	s_add_i32 s20, s20, s0
	s_ashr_i32 s26, s20, 1
	s_mul_i32 s38, s26, s21
	v_cmp_gt_i32_e32 vcc, s38, v0
	s_and_saveexec_b64 s[20:21], vcc
	s_cbranch_execz .LBB32_4
; %bb.2:
	s_load_dwordx2 s[0:1], s[4:5], 0x8
	s_mul_i32 s2, s6, s9
	s_mul_hi_u32 s3, s6, s8
	s_add_i32 s3, s3, s2
	s_mul_i32 s2, s6, s8
	s_load_dword s8, s[4:5], 0x8c
	s_ashr_i32 s27, s26, 31
	s_lshl_b64 s[2:3], s[2:3], 1
	s_waitcnt lgkmcnt(0)
	s_add_u32 s39, s0, s2
	s_addc_u32 s0, s1, s3
	s_abs_i32 s40, s26
	v_cvt_f32_u32_e32 v1, s40
	s_sub_i32 s1, 0, s40
	s_lshl_b64 s[36:37], s[26:27], 1
	s_mov_b64 s[22:23], 0
	v_rcp_iflag_f32_e32 v2, v1
	v_mov_b32_e32 v1, s33
	s_and_b32 s41, s8, 0xffff
	s_sub_i32 s42, 0, s26
	v_mul_f32_e32 v2, 0x4f7ffffe, v2
	v_cvt_u32_f32_e32 v2, v2
	v_mov_b32_e32 v4, s37
	v_mov_b32_e32 v5, s0
	s_movk_i32 s37, 0x7fff
	v_mul_lo_u32 v3, s1, v2
	v_mul_hi_u32 v3, v2, v3
	v_add_u32_e32 v3, v2, v3
	v_mov_b32_e32 v6, 0x7fc00000
	v_mov_b32_e32 v7, 0x7fc0
	;; [unrolled: 1-line block ×3, first 2 shown]
.LBB32_3:                               ; =>This Inner Loop Header: Depth=1
	v_sub_u32_e32 v9, 0, v2
	v_max_i32_e32 v9, v2, v9
	v_mul_hi_u32 v10, v9, v3
	v_mul_lo_u32 v11, v10, s40
	v_sub_u32_e32 v9, v9, v11
	v_add_u32_e32 v12, 1, v10
	v_cmp_le_u32_e32 vcc, s40, v9
	v_subrev_u32_e32 v11, s40, v9
	v_cndmask_b32_e32 v10, v10, v12, vcc
	v_cndmask_b32_e32 v9, v9, v11, vcc
	v_ashrrev_i32_e32 v8, 31, v2
	v_add_u32_e32 v11, 1, v10
	v_cmp_le_u32_e32 vcc, s40, v9
	v_xor_b32_e32 v8, s27, v8
	v_cndmask_b32_e32 v9, v10, v11, vcc
	v_xor_b32_e32 v9, v9, v8
	v_sub_u32_e32 v10, v9, v8
	v_mad_u64_u32 v[8:9], s[0:1], s42, v10, v[2:3]
	v_ashrrev_i32_e32 v12, 31, v10
	v_ashrrev_i32_e32 v9, 31, v8
	v_mul_lo_u32 v13, v10, s11
	v_mad_u64_u32 v[10:11], s[0:1], v10, s10, 0
	v_mul_lo_u32 v12, v12, s10
	v_lshlrev_b64 v[8:9], 1, v[8:9]
	v_add3_u32 v11, v11, v13, v12
	v_add_co_u32_e32 v12, vcc, s7, v8
	v_addc_co_u32_e32 v13, vcc, v1, v9, vcc
	v_add_co_u32_e32 v14, vcc, s36, v12
	v_lshlrev_b64 v[10:11], 1, v[10:11]
	v_addc_co_u32_e32 v15, vcc, v13, v4, vcc
	global_load_ushort v16, v[12:13], off
	global_load_ushort v17, v[14:15], off
	v_add_co_u32_e32 v10, vcc, s39, v10
	v_addc_co_u32_e32 v11, vcc, v5, v11, vcc
	v_add_co_u32_e32 v8, vcc, v10, v8
	v_addc_co_u32_e32 v9, vcc, v11, v9, vcc
	;; [unrolled: 2-line block ×3, first 2 shown]
	global_load_ushort v12, v[8:9], off
	global_load_ushort v14, v[10:11], off
	v_add_u32_e32 v2, s41, v2
	v_cmp_le_i32_e32 vcc, s38, v2
	s_or_b64 s[22:23], vcc, s[22:23]
	s_waitcnt vmcnt(3)
	v_cvt_f32_f16_e32 v18, v16
	s_waitcnt vmcnt(2)
	v_cvt_f32_f16_e32 v19, v17
	v_cmp_o_f16_e32 vcc, v16, v16
	v_bfe_u32 v20, v18, 16, 1
	v_bfe_u32 v21, v19, 16, 1
	v_add3_u32 v18, v18, v20, s37
	v_add3_u32 v19, v19, v21, s37
	v_and_b32_e32 v18, 0xffff0000, v18
	v_and_b32_e32 v19, 0xffff0000, v19
	v_cndmask_b32_e32 v16, v6, v18, vcc
	v_cmp_o_f16_e32 vcc, v17, v17
	v_cndmask_b32_e32 v17, v6, v19, vcc
	s_waitcnt vmcnt(1)
	v_lshlrev_b32_e32 v13, 16, v12
	s_waitcnt vmcnt(0)
	v_lshlrev_b32_e32 v12, 16, v14
	v_mov_b32_e32 v14, v13
	v_mov_b32_e32 v15, v12
	v_pk_mul_f32 v[14:15], v[16:17], v[14:15]
	v_pk_mul_f32 v[12:13], v[16:17], v[12:13]
	v_bfe_u32 v16, v14, 16, 1
	v_bfe_u32 v17, v15, 16, 1
	;; [unrolled: 1-line block ×4, first 2 shown]
	v_add3_u32 v17, v15, v17, s37
	v_add3_u32 v16, v14, v16, s37
	;; [unrolled: 1-line block ×4, first 2 shown]
	v_and_b32_e32 v16, 0xffff0000, v16
	v_and_b32_e32 v17, 0xffff0000, v17
	v_cmp_o_f32_e32 vcc, v14, v14
	v_cmp_o_f32_e64 s[8:9], v15, v15
	v_and_b32_e32 v14, 0xffff0000, v18
	v_and_b32_e32 v18, 0xffff0000, v19
	v_cmp_o_f32_e64 s[0:1], v13, v13
	v_cmp_o_f32_e64 s[2:3], v12, v12
	v_cndmask_b32_e64 v12, v6, v17, s[8:9]
	v_cndmask_b32_e32 v13, v6, v16, vcc
	v_cndmask_b32_e64 v15, v6, v18, s[0:1]
	v_cndmask_b32_e64 v14, v6, v14, s[2:3]
	v_sub_f32_e32 v12, v13, v12
	v_add_f32_e32 v13, v14, v15
	v_bfe_u32 v14, v12, 16, 1
	v_bfe_u32 v15, v13, 16, 1
	v_add3_u32 v14, v12, v14, s37
	v_add3_u32 v15, v13, v15, s37
	v_lshrrev_b32_e32 v14, 16, v14
	v_cmp_o_f32_e64 s[0:1], v12, v12
	v_lshrrev_b32_e32 v15, 16, v15
	v_cmp_o_f32_e32 vcc, v13, v13
	v_cndmask_b32_e64 v12, v7, v14, s[0:1]
	v_cndmask_b32_e32 v13, v7, v15, vcc
	global_store_short v[8:9], v12, off
	global_store_short v[10:11], v13, off
	s_andn2_b64 exec, exec, s[22:23]
	s_cbranch_execnz .LBB32_3
.LBB32_4:
	s_or_b64 exec, exec, s[20:21]
	s_load_dwordx4 s[20:23], s[4:5], 0x68
	s_waitcnt lgkmcnt(0)
	s_ashr_i32 s3, s23, 31
	s_mov_b32 s2, s23
	s_or_b64 s[0:1], s[34:35], s[2:3]
	s_mov_b32 s0, 0
	s_cmp_lg_u64 s[0:1], 0
	s_cbranch_scc0 .LBB32_14
; %bb.5:
	s_add_u32 s0, s2, s3
	s_mov_b32 s10, s3
	s_mov_b32 s11, s3
	s_addc_u32 s1, s3, s3
	s_xor_b64 s[36:37], s[0:1], s[10:11]
	v_cvt_f32_u32_e32 v1, s36
	v_cvt_f32_u32_e32 v2, s37
	s_sub_u32 s0, 0, s36
	s_subb_u32 s1, 0, s37
	v_madmk_f32 v1, v2, 0x4f800000, v1
	v_rcp_f32_e32 v1, v1
	v_mul_f32_e32 v1, 0x5f7ffffc, v1
	v_mul_f32_e32 v2, 0x2f800000, v1
	v_trunc_f32_e32 v2, v2
	v_madmk_f32 v1, v2, 0xcf800000, v1
	v_cvt_u32_f32_e32 v2, v2
	v_cvt_u32_f32_e32 v1, v1
	v_readfirstlane_b32 s23, v2
	v_readfirstlane_b32 s27, v1
	s_mul_i32 s38, s0, s23
	s_mul_hi_u32 s40, s0, s27
	s_mul_i32 s39, s1, s27
	s_add_i32 s38, s40, s38
	s_add_i32 s38, s38, s39
	s_mul_i32 s41, s0, s27
	s_mul_hi_u32 s39, s27, s38
	s_mul_i32 s40, s27, s38
	s_mul_hi_u32 s27, s27, s41
	s_add_u32 s27, s27, s40
	s_addc_u32 s39, 0, s39
	s_mul_hi_u32 s42, s23, s41
	s_mul_i32 s41, s23, s41
	s_add_u32 s27, s27, s41
	s_mul_hi_u32 s40, s23, s38
	s_addc_u32 s27, s39, s42
	s_addc_u32 s39, s40, 0
	s_mul_i32 s38, s23, s38
	s_add_u32 s27, s27, s38
	s_addc_u32 s38, 0, s39
	v_add_co_u32_e32 v1, vcc, s27, v1
	s_cmp_lg_u64 vcc, 0
	s_addc_u32 s23, s23, s38
	v_readfirstlane_b32 s38, v1
	s_mul_i32 s27, s0, s23
	s_mul_hi_u32 s39, s0, s38
	s_add_i32 s27, s39, s27
	s_mul_i32 s1, s1, s38
	s_add_i32 s27, s27, s1
	s_mul_i32 s0, s0, s38
	s_mul_hi_u32 s39, s23, s0
	s_mul_i32 s40, s23, s0
	s_mul_i32 s42, s38, s27
	s_mul_hi_u32 s0, s38, s0
	s_mul_hi_u32 s41, s38, s27
	s_add_u32 s0, s0, s42
	s_addc_u32 s38, 0, s41
	s_add_u32 s0, s0, s40
	s_mul_hi_u32 s1, s23, s27
	s_addc_u32 s0, s38, s39
	s_addc_u32 s1, s1, 0
	s_mul_i32 s27, s23, s27
	s_add_u32 s0, s0, s27
	s_addc_u32 s1, 0, s1
	v_add_co_u32_e32 v1, vcc, s0, v1
	s_cmp_lg_u64 vcc, 0
	s_addc_u32 s23, s23, s1
	s_ashr_i32 s38, s35, 31
	s_add_u32 s0, s34, s38
	s_mov_b32 s39, s38
	s_addc_u32 s1, s35, s38
	s_xor_b64 s[40:41], s[0:1], s[38:39]
	v_readfirstlane_b32 s27, v1
	s_mul_i32 s1, s40, s23
	s_mul_hi_u32 s42, s40, s27
	s_mul_hi_u32 s0, s40, s23
	s_add_u32 s1, s42, s1
	s_addc_u32 s0, 0, s0
	s_mul_hi_u32 s43, s41, s27
	s_mul_i32 s27, s41, s27
	s_add_u32 s1, s1, s27
	s_mul_hi_u32 s42, s41, s23
	s_addc_u32 s0, s0, s43
	s_addc_u32 s1, s42, 0
	s_mul_i32 s23, s41, s23
	s_add_u32 s23, s0, s23
	s_addc_u32 s27, 0, s1
	s_mul_i32 s0, s36, s27
	s_mul_hi_u32 s1, s36, s23
	s_add_i32 s0, s1, s0
	s_mul_i32 s1, s37, s23
	s_add_i32 s42, s0, s1
	s_mul_i32 s1, s36, s23
	v_mov_b32_e32 v1, s1
	s_sub_i32 s0, s41, s42
	v_sub_co_u32_e32 v1, vcc, s40, v1
	s_cmp_lg_u64 vcc, 0
	s_subb_u32 s40, s0, s37
	v_subrev_co_u32_e64 v2, s[0:1], s36, v1
	s_cmp_lg_u64 s[0:1], 0
	s_subb_u32 s0, s40, 0
	s_cmp_ge_u32 s0, s37
	v_readfirstlane_b32 s40, v2
	s_cselect_b32 s1, -1, 0
	s_cmp_ge_u32 s40, s36
	s_cselect_b32 s40, -1, 0
	s_cmp_eq_u32 s0, s37
	s_cselect_b32 s0, s40, s1
	s_add_u32 s1, s23, 1
	s_addc_u32 s40, s27, 0
	s_add_u32 s43, s23, 2
	s_addc_u32 s44, s27, 0
	s_cmp_lg_u32 s0, 0
	s_cselect_b32 s0, s43, s1
	s_cselect_b32 s1, s44, s40
	s_cmp_lg_u64 vcc, 0
	s_subb_u32 s40, s41, s42
	s_cmp_ge_u32 s40, s37
	v_readfirstlane_b32 s42, v1
	s_cselect_b32 s41, -1, 0
	s_cmp_ge_u32 s42, s36
	s_cselect_b32 s36, -1, 0
	s_cmp_eq_u32 s40, s37
	s_cselect_b32 s36, s36, s41
	s_cmp_lg_u32 s36, 0
	s_cselect_b32 s1, s1, s27
	s_cselect_b32 s0, s0, s23
	s_xor_b64 s[10:11], s[38:39], s[10:11]
	s_xor_b64 s[0:1], s[0:1], s[10:11]
	s_sub_u32 s10, s0, s10
	s_subb_u32 s11, s1, s11
	s_cbranch_execnz .LBB32_7
.LBB32_6:
	v_cvt_f32_u32_e32 v1, s2
	s_sub_i32 s0, 0, s2
	s_mov_b32 s11, 0
	v_rcp_iflag_f32_e32 v1, v1
	v_mul_f32_e32 v1, 0x4f7ffffe, v1
	v_cvt_u32_f32_e32 v1, v1
	v_readfirstlane_b32 s1, v1
	s_mul_i32 s0, s0, s1
	s_mul_hi_u32 s0, s1, s0
	s_add_i32 s1, s1, s0
	s_mul_hi_u32 s0, s34, s1
	s_mul_i32 s8, s0, s2
	s_sub_i32 s8, s34, s8
	s_add_i32 s1, s0, 1
	s_sub_i32 s9, s8, s2
	s_cmp_ge_u32 s8, s2
	s_cselect_b32 s0, s1, s0
	s_cselect_b32 s8, s9, s8
	s_add_i32 s1, s0, 1
	s_cmp_ge_u32 s8, s2
	s_cselect_b32 s10, s1, s0
.LBB32_7:
	s_mul_i32 s0, s10, s3
	s_mul_hi_u32 s1, s10, s2
	s_add_i32 s0, s1, s0
	s_mul_i32 s1, s11, s2
	s_add_i32 s0, s0, s1
	s_mul_i32 s1, s10, s2
	s_sub_u32 s40, s34, s1
	s_subb_u32 s0, s35, s0
	v_cmp_gt_i32_e32 vcc, s26, v0
	s_mul_hi_u32 s42, s10, s20
	s_mul_i32 s43, s11, s20
	s_mul_i32 s36, s10, s20
	s_mul_hi_u32 s41, s40, s21
	s_mul_i32 s11, s0, s21
	s_mul_i32 s34, s40, s21
	s_and_saveexec_b64 s[38:39], vcc
	s_cbranch_execz .LBB32_10
; %bb.8:
	s_mul_i32 s0, s6, s13
	s_mul_hi_u32 s1, s6, s12
	s_add_i32 s1, s1, s0
	s_mul_i32 s0, s6, s12
	s_ashr_i32 s27, s26, 31
	s_lshl_b64 s[0:1], s[0:1], 1
	s_add_u32 s44, s16, s0
	s_addc_u32 s45, s17, s1
	s_ashr_i32 s2, s20, 31
	s_mul_i32 s2, s10, s2
	s_add_i32 s2, s42, s2
	s_add_i32 s37, s2, s43
	s_ashr_i32 s2, s21, 31
	s_mul_i32 s2, s40, s2
	s_add_i32 s2, s41, s2
	s_add_i32 s35, s2, s11
	s_lshl_b64 s[2:3], s[36:37], 1
	s_lshl_b64 s[8:9], s[34:35], 1
	s_add_u32 s12, s2, s8
	s_addc_u32 s13, s3, s9
	s_load_dword s37, s[4:5], 0x8c
	s_add_u32 s8, s12, s24
	s_addc_u32 s9, s13, s25
	s_ashr_i32 s23, s22, 31
	s_lshl_b64 s[2:3], s[22:23], 1
	s_add_u32 s23, s8, s2
	s_addc_u32 s35, s9, s3
	s_waitcnt lgkmcnt(0)
	s_and_b32 s37, s37, 0xffff
	s_lshl_b32 s46, s37, 1
	s_lshl_b64 s[8:9], s[26:27], 1
	s_add_u32 s27, s30, s8
	s_addc_u32 s30, s31, s9
	s_add_u32 s27, s28, s27
	s_addc_u32 s28, s29, s30
	;; [unrolled: 2-line block ×6, first 2 shown]
	s_add_u32 s29, s24, s0
	v_lshlrev_b32_e32 v2, 1, v0
	s_addc_u32 s30, s25, s1
	s_mov_b64 s[12:13], 0
	s_movk_i32 s31, 0x7fff
	v_mov_b32_e32 v1, 0x7fc00000
	v_mov_b32_e32 v3, 0x7fc0
	;; [unrolled: 1-line block ×3, first 2 shown]
.LBB32_9:                               ; =>This Inner Loop Header: Depth=1
	v_mov_b32_e32 v7, s28
	v_add_co_u32_e32 v10, vcc, s27, v2
	v_mov_b32_e32 v5, s33
	v_mov_b32_e32 v9, s45
	v_add_co_u32_e64 v4, s[0:1], s44, v2
	v_mov_b32_e32 v14, s17
	v_add_co_u32_e64 v6, s[2:3], s16, v2
	v_add_co_u32_e64 v12, s[8:9], s7, v2
	v_addc_co_u32_e32 v11, vcc, 0, v7, vcc
	v_addc_co_u32_e64 v13, s[8:9], 0, v5, s[8:9]
	v_addc_co_u32_e64 v5, vcc, 0, v9, s[0:1]
	v_addc_co_u32_e64 v7, vcc, 0, v14, s[2:3]
	global_load_ushort v9, v[10:11], off
	global_load_ushort v18, v[12:13], off
	global_load_ushort v14, v[4:5], off
	global_load_ushort v16, v[6:7], off
	s_add_u32 s7, s7, s46
	s_addc_u32 s33, s33, 0
	s_add_u32 s27, s27, s46
	s_addc_u32 s28, s28, 0
	;; [unrolled: 2-line block ×4, first 2 shown]
	v_add_co_u32_e32 v10, vcc, s29, v2
	s_add_u32 s29, s29, s46
	v_mov_b32_e32 v11, s35
	v_mov_b32_e32 v15, s30
	v_add_co_u32_e64 v12, s[0:1], s23, v2
	s_addc_u32 s30, s30, 0
	v_add_u32_e32 v8, s37, v8
	v_addc_co_u32_e64 v13, s[0:1], 0, v11, s[0:1]
	v_addc_co_u32_e32 v11, vcc, 0, v15, vcc
	s_add_u32 s23, s23, s46
	v_cmp_le_i32_e32 vcc, s26, v8
	s_addc_u32 s35, s35, 0
	s_or_b64 s[12:13], vcc, s[12:13]
	s_waitcnt vmcnt(3)
	v_cvt_f32_f16_e32 v19, v9
	s_waitcnt vmcnt(2)
	v_cvt_f32_f16_e32 v20, v18
	s_waitcnt vmcnt(1)
	v_lshlrev_b32_e32 v15, 16, v14
	s_waitcnt vmcnt(0)
	v_lshlrev_b32_e32 v14, 16, v16
	v_bfe_u32 v22, v19, 16, 1
	v_bfe_u32 v21, v20, 16, 1
	v_add3_u32 v19, v19, v22, s31
	v_add3_u32 v20, v20, v21, s31
	v_and_b32_e32 v20, 0xffff0000, v20
	v_and_b32_e32 v19, 0xffff0000, v19
	v_cmp_o_f16_e32 vcc, v18, v18
	v_cmp_o_f16_e64 s[0:1], v9, v9
	v_mov_b32_e32 v16, v15
	v_mov_b32_e32 v17, v14
	v_cndmask_b32_e64 v19, v1, v19, s[0:1]
	v_cndmask_b32_e32 v18, v1, v20, vcc
	v_pk_mul_f32 v[16:17], v[18:19], v[16:17]
	v_pk_mul_f32 v[14:15], v[18:19], v[14:15]
	v_bfe_u32 v9, v16, 16, 1
	v_bfe_u32 v18, v17, 16, 1
	;; [unrolled: 1-line block ×4, first 2 shown]
	v_add3_u32 v18, v17, v18, s31
	v_add3_u32 v9, v16, v9, s31
	;; [unrolled: 1-line block ×4, first 2 shown]
	v_and_b32_e32 v9, 0xffff0000, v9
	v_and_b32_e32 v18, 0xffff0000, v18
	v_cmp_o_f32_e32 vcc, v16, v16
	v_cmp_o_f32_e64 s[8:9], v17, v17
	v_and_b32_e32 v16, 0xffff0000, v19
	v_and_b32_e32 v19, 0xffff0000, v20
	v_cmp_o_f32_e64 s[0:1], v15, v15
	v_cmp_o_f32_e64 s[2:3], v14, v14
	v_cndmask_b32_e64 v14, v1, v18, s[8:9]
	v_cndmask_b32_e32 v9, v1, v9, vcc
	v_cndmask_b32_e64 v15, v1, v19, s[0:1]
	v_cndmask_b32_e64 v16, v1, v16, s[2:3]
	v_sub_f32_e32 v9, v9, v14
	v_add_f32_e32 v14, v16, v15
	v_bfe_u32 v15, v9, 16, 1
	v_bfe_u32 v16, v14, 16, 1
	v_add3_u32 v15, v9, v15, s31
	v_add3_u32 v16, v14, v16, s31
	v_lshrrev_b32_e32 v15, 16, v15
	v_cmp_o_f32_e64 s[0:1], v9, v9
	v_lshrrev_b32_e32 v16, 16, v16
	v_cmp_o_f32_e32 vcc, v14, v14
	v_cndmask_b32_e64 v9, v3, v15, s[0:1]
	v_cndmask_b32_e32 v14, v3, v16, vcc
	global_store_short v[4:5], v9, off
	global_store_short v[6:7], v14, off
	;; [unrolled: 1-line block ×4, first 2 shown]
	s_andn2_b64 exec, exec, s[12:13]
	s_cbranch_execnz .LBB32_9
.LBB32_10:
	s_or_b64 exec, exec, s[38:39]
	v_cmp_gt_i32_e32 vcc, s22, v0
	s_and_saveexec_b64 s[0:1], vcc
	s_cbranch_execz .LBB32_13
; %bb.11:
	s_mul_i32 s0, s6, s15
	s_mul_hi_u32 s1, s6, s14
	s_add_i32 s1, s1, s0
	s_mul_i32 s0, s6, s14
	s_lshl_b64 s[0:1], s[0:1], 1
	s_add_u32 s2, s18, s0
	s_addc_u32 s6, s19, s1
	s_ashr_i32 s0, s20, 31
	s_mul_i32 s0, s10, s0
	s_add_i32 s0, s42, s0
	s_add_i32 s37, s0, s43
	s_lshl_b64 s[0:1], s[36:37], 1
	s_add_u32 s3, s24, s0
	s_addc_u32 s7, s25, s1
	s_ashr_i32 s0, s21, 31
	s_mul_i32 s40, s40, s0
	s_add_i32 s0, s41, s40
	s_load_dword s4, s[4:5], 0x8c
	s_add_i32 s35, s0, s11
	s_lshl_b64 s[0:1], s[34:35], 1
	s_add_u32 s3, s3, s0
	s_addc_u32 s5, s7, s1
	s_waitcnt lgkmcnt(0)
	s_and_b32 s4, s4, 0xffff
	s_mov_b64 s[0:1], 0
	v_mov_b32_e32 v2, s6
	v_mov_b32_e32 v3, s5
.LBB32_12:                              ; =>This Inner Loop Header: Depth=1
	v_ashrrev_i32_e32 v1, 31, v0
	v_lshlrev_b64 v[4:5], 1, v[0:1]
	v_add_co_u32_e32 v6, vcc, s2, v4
	v_addc_co_u32_e32 v7, vcc, v2, v5, vcc
	global_load_ushort v1, v[6:7], off
	v_add_co_u32_e32 v4, vcc, s3, v4
	v_addc_co_u32_e32 v5, vcc, v3, v5, vcc
	v_add_u32_e32 v0, s4, v0
	v_cmp_le_i32_e32 vcc, s22, v0
	s_or_b64 s[0:1], vcc, s[0:1]
	s_waitcnt vmcnt(0)
	global_store_short v[4:5], v1, off
	s_andn2_b64 exec, exec, s[0:1]
	s_cbranch_execnz .LBB32_12
.LBB32_13:
	s_endpgm
.LBB32_14:
                                        ; implicit-def: $sgpr10_sgpr11
	s_branch .LBB32_6
	.section	.rodata,"a",@progbits
	.p2align	6, 0x0
	.amdhsa_kernel _ZN4vllm38concat_and_cache_mla_rope_fused_kernelIN3c108BFloat16ENS1_4HalfELb1EttLNS_18Fp8KVCacheDataTypeE0EEEvPKlPT_S8_PKS7_PKT0_illlliPT3_S6_iiiiPKf
		.amdhsa_group_segment_fixed_size 0
		.amdhsa_private_segment_fixed_size 0
		.amdhsa_kernarg_size 384
		.amdhsa_user_sgpr_count 6
		.amdhsa_user_sgpr_private_segment_buffer 1
		.amdhsa_user_sgpr_dispatch_ptr 0
		.amdhsa_user_sgpr_queue_ptr 0
		.amdhsa_user_sgpr_kernarg_segment_ptr 1
		.amdhsa_user_sgpr_dispatch_id 0
		.amdhsa_user_sgpr_flat_scratch_init 0
		.amdhsa_user_sgpr_kernarg_preload_length 0
		.amdhsa_user_sgpr_kernarg_preload_offset 0
		.amdhsa_user_sgpr_private_segment_size 0
		.amdhsa_uses_dynamic_stack 0
		.amdhsa_system_sgpr_private_segment_wavefront_offset 0
		.amdhsa_system_sgpr_workgroup_id_x 1
		.amdhsa_system_sgpr_workgroup_id_y 0
		.amdhsa_system_sgpr_workgroup_id_z 0
		.amdhsa_system_sgpr_workgroup_info 0
		.amdhsa_system_vgpr_workitem_id 0
		.amdhsa_next_free_vgpr 23
		.amdhsa_next_free_sgpr 47
		.amdhsa_accum_offset 24
		.amdhsa_reserve_vcc 1
		.amdhsa_reserve_flat_scratch 0
		.amdhsa_float_round_mode_32 0
		.amdhsa_float_round_mode_16_64 0
		.amdhsa_float_denorm_mode_32 3
		.amdhsa_float_denorm_mode_16_64 3
		.amdhsa_dx10_clamp 1
		.amdhsa_ieee_mode 1
		.amdhsa_fp16_overflow 0
		.amdhsa_tg_split 0
		.amdhsa_exception_fp_ieee_invalid_op 0
		.amdhsa_exception_fp_denorm_src 0
		.amdhsa_exception_fp_ieee_div_zero 0
		.amdhsa_exception_fp_ieee_overflow 0
		.amdhsa_exception_fp_ieee_underflow 0
		.amdhsa_exception_fp_ieee_inexact 0
		.amdhsa_exception_int_div_zero 0
	.end_amdhsa_kernel
	.section	.text._ZN4vllm38concat_and_cache_mla_rope_fused_kernelIN3c108BFloat16ENS1_4HalfELb1EttLNS_18Fp8KVCacheDataTypeE0EEEvPKlPT_S8_PKS7_PKT0_illlliPT3_S6_iiiiPKf,"axG",@progbits,_ZN4vllm38concat_and_cache_mla_rope_fused_kernelIN3c108BFloat16ENS1_4HalfELb1EttLNS_18Fp8KVCacheDataTypeE0EEEvPKlPT_S8_PKS7_PKT0_illlliPT3_S6_iiiiPKf,comdat
.Lfunc_end32:
	.size	_ZN4vllm38concat_and_cache_mla_rope_fused_kernelIN3c108BFloat16ENS1_4HalfELb1EttLNS_18Fp8KVCacheDataTypeE0EEEvPKlPT_S8_PKS7_PKT0_illlliPT3_S6_iiiiPKf, .Lfunc_end32-_ZN4vllm38concat_and_cache_mla_rope_fused_kernelIN3c108BFloat16ENS1_4HalfELb1EttLNS_18Fp8KVCacheDataTypeE0EEEvPKlPT_S8_PKS7_PKT0_illlliPT3_S6_iiiiPKf
                                        ; -- End function
	.section	.AMDGPU.csdata,"",@progbits
; Kernel info:
; codeLenInByte = 2716
; NumSgprs: 51
; NumVgprs: 23
; NumAgprs: 0
; TotalNumVgprs: 23
; ScratchSize: 0
; MemoryBound: 0
; FloatMode: 240
; IeeeMode: 1
; LDSByteSize: 0 bytes/workgroup (compile time only)
; SGPRBlocks: 6
; VGPRBlocks: 2
; NumSGPRsForWavesPerEU: 51
; NumVGPRsForWavesPerEU: 23
; AccumOffset: 24
; Occupancy: 8
; WaveLimiterHint : 1
; COMPUTE_PGM_RSRC2:SCRATCH_EN: 0
; COMPUTE_PGM_RSRC2:USER_SGPR: 6
; COMPUTE_PGM_RSRC2:TRAP_HANDLER: 0
; COMPUTE_PGM_RSRC2:TGID_X_EN: 1
; COMPUTE_PGM_RSRC2:TGID_Y_EN: 0
; COMPUTE_PGM_RSRC2:TGID_Z_EN: 0
; COMPUTE_PGM_RSRC2:TIDIG_COMP_CNT: 0
; COMPUTE_PGM_RSRC3_GFX90A:ACCUM_OFFSET: 5
; COMPUTE_PGM_RSRC3_GFX90A:TG_SPLIT: 0
	.section	.text._ZN4vllm38concat_and_cache_mla_rope_fused_kernelIN3c108BFloat16ENS1_4HalfELb0EttLNS_18Fp8KVCacheDataTypeE0EEEvPKlPT_S8_PKS7_PKT0_illlliPT3_S6_iiiiPKf,"axG",@progbits,_ZN4vllm38concat_and_cache_mla_rope_fused_kernelIN3c108BFloat16ENS1_4HalfELb0EttLNS_18Fp8KVCacheDataTypeE0EEEvPKlPT_S8_PKS7_PKT0_illlliPT3_S6_iiiiPKf,comdat
	.protected	_ZN4vllm38concat_and_cache_mla_rope_fused_kernelIN3c108BFloat16ENS1_4HalfELb0EttLNS_18Fp8KVCacheDataTypeE0EEEvPKlPT_S8_PKS7_PKT0_illlliPT3_S6_iiiiPKf ; -- Begin function _ZN4vllm38concat_and_cache_mla_rope_fused_kernelIN3c108BFloat16ENS1_4HalfELb0EttLNS_18Fp8KVCacheDataTypeE0EEEvPKlPT_S8_PKS7_PKT0_illlliPT3_S6_iiiiPKf
	.globl	_ZN4vllm38concat_and_cache_mla_rope_fused_kernelIN3c108BFloat16ENS1_4HalfELb0EttLNS_18Fp8KVCacheDataTypeE0EEEvPKlPT_S8_PKS7_PKT0_illlliPT3_S6_iiiiPKf
	.p2align	8
	.type	_ZN4vllm38concat_and_cache_mla_rope_fused_kernelIN3c108BFloat16ENS1_4HalfELb0EttLNS_18Fp8KVCacheDataTypeE0EEEvPKlPT_S8_PKS7_PKT0_illlliPT3_S6_iiiiPKf,@function
_ZN4vllm38concat_and_cache_mla_rope_fused_kernelIN3c108BFloat16ENS1_4HalfELb0EttLNS_18Fp8KVCacheDataTypeE0EEEvPKlPT_S8_PKS7_PKT0_illlliPT3_S6_iiiiPKf: ; @_ZN4vllm38concat_and_cache_mla_rope_fused_kernelIN3c108BFloat16ENS1_4HalfELb0EttLNS_18Fp8KVCacheDataTypeE0EEEvPKlPT_S8_PKS7_PKT0_illlliPT3_S6_iiiiPKf
; %bb.0:
	s_load_dwordx2 s[2:3], s[4:5], 0x60
	s_mov_b32 s7, 0
	s_lshl_b64 s[0:1], s[6:7], 3
	s_waitcnt lgkmcnt(0)
	s_add_u32 s2, s2, s0
	s_addc_u32 s3, s3, s1
	s_load_dwordx2 s[24:25], s[2:3], 0x0
	s_waitcnt lgkmcnt(0)
	v_cmp_lt_i64_e64 s[2:3], s[24:25], 0
	s_and_b64 vcc, exec, s[2:3]
	s_cbranch_vccnz .LBB33_13
; %bb.1:
	s_load_dword s7, s[4:5], 0x28
	s_load_dwordx2 s[2:3], s[4:5], 0x0
	s_load_dwordx4 s[16:19], s[4:5], 0x10
	v_lshlrev_b32_e32 v1, 1, v0
	s_waitcnt lgkmcnt(0)
	s_ashr_i32 s26, s7, 31
	s_add_u32 s0, s2, s0
	s_addc_u32 s1, s3, s1
	s_load_dwordx2 s[20:21], s[0:1], 0x0
	s_load_dwordx2 s[22:23], s[4:5], 0x20
	s_load_dwordx8 s[8:15], s[4:5], 0x30
	s_load_dwordx2 s[2:3], s[4:5], 0x58
	s_load_dword s28, s[4:5], 0x50
	s_waitcnt lgkmcnt(0)
	s_mul_i32 s0, s20, s26
	s_mul_hi_u32 s1, s20, s7
	s_mul_i32 s21, s21, s7
	s_add_i32 s0, s1, s0
	s_add_i32 s27, s0, s21
	s_lshr_b32 s0, s7, 31
	s_mul_i32 s26, s20, s7
	s_add_i32 s7, s7, s0
	s_ashr_i32 s20, s7, 1
	s_mul_i32 s7, s20, s28
	v_cmp_gt_i32_e32 vcc, s7, v0
	s_and_saveexec_b64 s[28:29], vcc
	s_cbranch_execz .LBB33_4
; %bb.2:
	s_lshl_b64 s[0:1], s[26:27], 1
	s_add_u32 s33, s22, s0
	s_addc_u32 s30, s23, s1
	s_load_dwordx2 s[0:1], s[4:5], 0x8
	s_mul_i32 s9, s6, s9
	s_mul_hi_u32 s31, s6, s8
	s_add_i32 s9, s31, s9
	s_load_dword s31, s[4:5], 0x8c
	s_mul_i32 s8, s6, s8
	s_ashr_i32 s21, s20, 31
	s_lshl_b64 s[8:9], s[8:9], 1
	s_waitcnt lgkmcnt(0)
	s_add_u32 s34, s0, s8
	s_addc_u32 s0, s1, s9
	s_abs_i32 s35, s20
	v_cvt_f32_u32_e32 v2, s35
	s_sub_i32 s1, 0, s35
	s_and_b32 s36, s31, 0xffff
	v_mov_b32_e32 v5, s30
	v_rcp_iflag_f32_e32 v2, v2
	s_lshl_b64 s[30:31], s[20:21], 1
	s_sub_i32 s37, 0, s20
	s_lshl_b32 s39, s36, 1
	v_mul_f32_e32 v2, 0x4f7ffffe, v2
	v_cvt_u32_f32_e32 v2, v2
	s_mov_b64 s[8:9], 0
	s_movk_i32 s40, 0x7fff
	v_mov_b32_e32 v6, s31
	v_mul_lo_u32 v3, s1, v2
	v_mul_hi_u32 v3, v2, v3
	s_lshl_b32 s1, s20, 1
	v_add_u32_e32 v3, v2, v3
	s_sub_i32 s38, 0, s1
	v_mov_b32_e32 v7, s0
	v_mov_b32_e32 v8, 0x7fc00000
	v_mov_b32_e32 v9, 0x7fc0
	s_mov_b32 s31, 0x5040100
	v_mov_b32_e32 v2, v1
	v_mov_b32_e32 v4, v0
.LBB33_3:                               ; =>This Inner Loop Header: Depth=1
	v_sub_u32_e32 v11, 0, v4
	v_max_i32_e32 v11, v4, v11
	v_mul_hi_u32 v12, v11, v3
	v_mul_lo_u32 v13, v12, s35
	v_sub_u32_e32 v11, v11, v13
	v_add_u32_e32 v14, 1, v12
	v_cmp_le_u32_e32 vcc, s35, v11
	v_subrev_u32_e32 v13, s35, v11
	v_cndmask_b32_e32 v12, v12, v14, vcc
	v_cndmask_b32_e32 v11, v11, v13, vcc
	v_ashrrev_i32_e32 v10, 31, v4
	v_add_u32_e32 v13, 1, v12
	v_cmp_le_u32_e32 vcc, s35, v11
	v_xor_b32_e32 v10, s21, v10
	v_cndmask_b32_e32 v11, v12, v13, vcc
	v_xor_b32_e32 v11, v11, v10
	v_sub_u32_e32 v14, v11, v10
	v_mad_u64_u32 v[10:11], s[0:1], s37, v14, v[4:5]
	v_ashrrev_i32_e32 v11, 31, v10
	v_lshlrev_b64 v[10:11], 1, v[10:11]
	v_ashrrev_i32_e32 v16, 31, v14
	v_add_co_u32_e32 v10, vcc, s33, v10
	v_mul_lo_u32 v17, v14, s11
	v_mad_u64_u32 v[12:13], s[0:1], v14, s10, 0
	v_mul_lo_u32 v16, v16, s10
	v_addc_co_u32_e32 v11, vcc, v5, v11, vcc
	v_add3_u32 v13, v13, v17, v16
	v_add_co_u32_e32 v16, vcc, s30, v10
	v_addc_co_u32_e32 v17, vcc, v11, v6, vcc
	global_load_ushort v18, v[10:11], off
	global_load_ushort v19, v[16:17], off
	v_mad_u64_u32 v[14:15], s[0:1], s38, v14, v[2:3]
	v_lshlrev_b64 v[12:13], 1, v[12:13]
	v_ashrrev_i32_e32 v15, 31, v14
	v_add_co_u32_e32 v12, vcc, s34, v12
	v_lshlrev_b64 v[14:15], 1, v[14:15]
	v_addc_co_u32_e32 v13, vcc, v7, v13, vcc
	v_add_co_u32_e32 v10, vcc, v12, v14
	v_addc_co_u32_e32 v11, vcc, v13, v15, vcc
	global_load_dword v12, v[10:11], off
	v_add_u32_e32 v4, s36, v4
	v_cmp_le_i32_e32 vcc, s7, v4
	s_or_b64 s[8:9], vcc, s[8:9]
	v_add_u32_e32 v2, s39, v2
	s_waitcnt vmcnt(2)
	v_cvt_f32_f16_e32 v14, v18
	s_waitcnt vmcnt(1)
	v_cvt_f32_f16_e32 v15, v19
	v_cmp_o_f16_e32 vcc, v18, v18
	v_bfe_u32 v16, v14, 16, 1
	v_add3_u32 v14, v14, v16, s40
	v_bfe_u32 v16, v15, 16, 1
	v_and_b32_e32 v14, 0xffff0000, v14
	v_add3_u32 v15, v15, v16, s40
	v_and_b32_e32 v15, 0xffff0000, v15
	v_cndmask_b32_e32 v14, v8, v14, vcc
	v_cmp_o_f16_e32 vcc, v19, v19
	v_cndmask_b32_e32 v16, v8, v15, vcc
	s_waitcnt vmcnt(0)
	v_and_b32_e32 v13, 0xffff0000, v12
	v_lshlrev_b32_e32 v12, 16, v12
	v_pk_mul_f32 v[14:15], v[14:15], v[12:13] op_sel_hi:[0,1]
	v_bfe_u32 v17, v14, 16, 1
	v_bfe_u32 v18, v15, 16, 1
	v_pk_mul_f32 v[12:13], v[16:17], v[12:13] op_sel_hi:[0,1]
	v_add3_u32 v16, v15, v18, s40
	v_add3_u32 v17, v14, v17, s40
	v_bfe_u32 v18, v13, 16, 1
	v_bfe_u32 v19, v12, 16, 1
	v_and_b32_e32 v17, 0xffff0000, v17
	v_and_b32_e32 v16, 0xffff0000, v16
	v_add3_u32 v19, v12, v19, s40
	v_add3_u32 v18, v13, v18, s40
	v_cmp_o_f32_e32 vcc, v14, v14
	v_cmp_o_f32_e64 s[0:1], v15, v15
	v_and_b32_e32 v18, 0xffff0000, v18
	v_and_b32_e32 v19, 0xffff0000, v19
	v_cndmask_b32_e64 v15, v8, v16, s[0:1]
	v_cndmask_b32_e32 v14, v8, v17, vcc
	v_cmp_o_f32_e32 vcc, v13, v13
	v_cmp_o_f32_e64 s[0:1], v12, v12
	v_cndmask_b32_e64 v13, v8, v19, s[0:1]
	v_cndmask_b32_e32 v12, v8, v18, vcc
	v_pk_add_f32 v[16:17], v[14:15], v[12:13] neg_lo:[0,1] neg_hi:[0,1]
	v_pk_add_f32 v[12:13], v[14:15], v[12:13]
	v_bfe_u32 v12, v16, 16, 1
	v_bfe_u32 v14, v13, 16, 1
	v_add3_u32 v14, v13, v14, s40
	v_add3_u32 v12, v16, v12, s40
	v_lshrrev_b32_e32 v12, 16, v12
	v_lshrrev_b32_e32 v14, 16, v14
	v_cmp_o_f32_e32 vcc, v13, v13
	v_cmp_o_f32_e64 s[0:1], v16, v16
	v_cndmask_b32_e64 v12, v9, v12, s[0:1]
	v_cndmask_b32_e32 v13, v9, v14, vcc
	v_perm_b32 v12, v13, v12, s31
	global_store_dword v[10:11], v12, off
	s_andn2_b64 exec, exec, s[8:9]
	s_cbranch_execnz .LBB33_3
.LBB33_4:
	s_or_b64 exec, exec, s[28:29]
	s_load_dwordx4 s[8:11], s[4:5], 0x68
	s_waitcnt lgkmcnt(0)
	s_ashr_i32 s31, s11, 31
	s_mov_b32 s30, s11
	s_or_b64 s[0:1], s[24:25], s[30:31]
	s_mov_b32 s0, 0
	s_cmp_lg_u64 s[0:1], 0
	s_cbranch_scc0 .LBB33_14
; %bb.5:
	s_add_u32 s0, s30, s31
	s_mov_b32 s28, s31
	s_mov_b32 s29, s31
	s_addc_u32 s1, s31, s31
	s_xor_b64 s[36:37], s[0:1], s[28:29]
	v_cvt_f32_u32_e32 v2, s36
	v_cvt_f32_u32_e32 v3, s37
	s_sub_u32 s0, 0, s36
	s_subb_u32 s1, 0, s37
	v_madmk_f32 v2, v3, 0x4f800000, v2
	v_rcp_f32_e32 v2, v2
	v_mul_f32_e32 v2, 0x5f7ffffc, v2
	v_mul_f32_e32 v3, 0x2f800000, v2
	v_trunc_f32_e32 v3, v3
	v_madmk_f32 v2, v3, 0xcf800000, v2
	v_cvt_u32_f32_e32 v3, v3
	v_cvt_u32_f32_e32 v2, v2
	v_readfirstlane_b32 s7, v3
	v_readfirstlane_b32 s11, v2
	s_mul_i32 s21, s0, s7
	s_mul_hi_u32 s38, s0, s11
	s_mul_i32 s33, s1, s11
	s_add_i32 s21, s38, s21
	s_add_i32 s21, s21, s33
	s_mul_i32 s39, s0, s11
	s_mul_hi_u32 s33, s11, s21
	s_mul_i32 s38, s11, s21
	s_mul_hi_u32 s11, s11, s39
	s_add_u32 s11, s11, s38
	s_addc_u32 s33, 0, s33
	s_mul_hi_u32 s40, s7, s39
	s_mul_i32 s39, s7, s39
	s_add_u32 s11, s11, s39
	s_mul_hi_u32 s38, s7, s21
	s_addc_u32 s11, s33, s40
	s_addc_u32 s33, s38, 0
	s_mul_i32 s21, s7, s21
	s_add_u32 s11, s11, s21
	s_addc_u32 s21, 0, s33
	v_add_co_u32_e32 v2, vcc, s11, v2
	s_cmp_lg_u64 vcc, 0
	s_addc_u32 s7, s7, s21
	v_readfirstlane_b32 s21, v2
	s_mul_i32 s11, s0, s7
	s_mul_hi_u32 s33, s0, s21
	s_add_i32 s11, s33, s11
	s_mul_i32 s1, s1, s21
	s_add_i32 s11, s11, s1
	s_mul_i32 s0, s0, s21
	s_mul_hi_u32 s33, s7, s0
	s_mul_i32 s38, s7, s0
	s_mul_i32 s40, s21, s11
	s_mul_hi_u32 s0, s21, s0
	s_mul_hi_u32 s39, s21, s11
	s_add_u32 s0, s0, s40
	s_addc_u32 s21, 0, s39
	s_add_u32 s0, s0, s38
	s_mul_hi_u32 s1, s7, s11
	s_addc_u32 s0, s21, s33
	s_addc_u32 s1, s1, 0
	s_mul_i32 s11, s7, s11
	s_add_u32 s0, s0, s11
	s_addc_u32 s1, 0, s1
	v_add_co_u32_e32 v2, vcc, s0, v2
	s_cmp_lg_u64 vcc, 0
	s_addc_u32 s7, s7, s1
	s_ashr_i32 s38, s25, 31
	s_add_u32 s0, s24, s38
	s_mov_b32 s39, s38
	s_addc_u32 s1, s25, s38
	s_xor_b64 s[40:41], s[0:1], s[38:39]
	v_readfirstlane_b32 s11, v2
	s_mul_i32 s1, s40, s7
	s_mul_hi_u32 s21, s40, s11
	s_mul_hi_u32 s0, s40, s7
	s_add_u32 s1, s21, s1
	s_addc_u32 s0, 0, s0
	s_mul_hi_u32 s33, s41, s11
	s_mul_i32 s11, s41, s11
	s_add_u32 s1, s1, s11
	s_mul_hi_u32 s21, s41, s7
	s_addc_u32 s0, s0, s33
	s_addc_u32 s1, s21, 0
	s_mul_i32 s7, s41, s7
	s_add_u32 s7, s0, s7
	s_addc_u32 s11, 0, s1
	s_mul_i32 s0, s36, s11
	s_mul_hi_u32 s1, s36, s7
	s_add_i32 s0, s1, s0
	s_mul_i32 s1, s37, s7
	s_add_i32 s21, s0, s1
	s_mul_i32 s1, s36, s7
	v_mov_b32_e32 v2, s1
	s_sub_i32 s0, s41, s21
	v_sub_co_u32_e32 v2, vcc, s40, v2
	s_cmp_lg_u64 vcc, 0
	s_subb_u32 s33, s0, s37
	v_subrev_co_u32_e64 v3, s[0:1], s36, v2
	s_cmp_lg_u64 s[0:1], 0
	s_subb_u32 s0, s33, 0
	s_cmp_ge_u32 s0, s37
	v_readfirstlane_b32 s33, v3
	s_cselect_b32 s1, -1, 0
	s_cmp_ge_u32 s33, s36
	s_cselect_b32 s33, -1, 0
	s_cmp_eq_u32 s0, s37
	s_cselect_b32 s0, s33, s1
	s_add_u32 s1, s7, 1
	s_addc_u32 s33, s11, 0
	s_add_u32 s40, s7, 2
	s_addc_u32 s42, s11, 0
	s_cmp_lg_u32 s0, 0
	s_cselect_b32 s0, s40, s1
	s_cselect_b32 s1, s42, s33
	s_cmp_lg_u64 vcc, 0
	s_subb_u32 s21, s41, s21
	s_cmp_ge_u32 s21, s37
	v_readfirstlane_b32 s40, v2
	s_cselect_b32 s33, -1, 0
	s_cmp_ge_u32 s40, s36
	s_cselect_b32 s36, -1, 0
	s_cmp_eq_u32 s21, s37
	s_cselect_b32 s21, s36, s33
	s_cmp_lg_u32 s21, 0
	s_cselect_b32 s1, s1, s11
	s_cselect_b32 s0, s0, s7
	s_xor_b64 s[28:29], s[38:39], s[28:29]
	s_xor_b64 s[0:1], s[0:1], s[28:29]
	s_sub_u32 s28, s0, s28
	s_subb_u32 s29, s1, s29
	s_cbranch_execnz .LBB33_7
.LBB33_6:
	v_cvt_f32_u32_e32 v2, s30
	s_sub_i32 s0, 0, s30
	s_mov_b32 s29, 0
	v_rcp_iflag_f32_e32 v2, v2
	v_mul_f32_e32 v2, 0x4f7ffffe, v2
	v_cvt_u32_f32_e32 v2, v2
	v_readfirstlane_b32 s1, v2
	s_mul_i32 s0, s0, s1
	s_mul_hi_u32 s0, s1, s0
	s_add_i32 s1, s1, s0
	s_mul_hi_u32 s0, s24, s1
	s_mul_i32 s7, s0, s30
	s_sub_i32 s7, s24, s7
	s_add_i32 s1, s0, 1
	s_sub_i32 s11, s7, s30
	s_cmp_ge_u32 s7, s30
	s_cselect_b32 s0, s1, s0
	s_cselect_b32 s7, s11, s7
	s_add_i32 s1, s0, 1
	s_cmp_ge_u32 s7, s30
	s_cselect_b32 s28, s1, s0
.LBB33_7:
	s_mul_i32 s0, s28, s31
	s_mul_hi_u32 s1, s28, s30
	s_add_i32 s0, s1, s0
	s_mul_i32 s1, s29, s30
	s_add_i32 s0, s0, s1
	s_mul_i32 s1, s28, s30
	s_sub_u32 s33, s24, s1
	s_subb_u32 s7, s25, s0
	v_cmp_gt_i32_e32 vcc, s20, v0
	s_mul_hi_u32 s36, s28, s8
	s_mul_i32 s37, s29, s8
	s_mul_i32 s30, s28, s8
	s_mul_hi_u32 s29, s33, s9
	s_mul_i32 s7, s7, s9
	s_mul_i32 s24, s33, s9
	s_and_saveexec_b64 s[34:35], vcc
	s_cbranch_execz .LBB33_10
; %bb.8:
	s_load_dword s0, s[4:5], 0x8c
	s_ashr_i32 s21, s20, 31
	s_ashr_i32 s25, s8, 31
	s_ashr_i32 s39, s9, 31
	s_ashr_i32 s11, s10, 31
	s_waitcnt lgkmcnt(0)
	s_and_b32 s38, s0, 0xffff
	s_lshl_b64 s[0:1], s[26:27], 1
	s_add_u32 s0, s22, s0
	s_addc_u32 s1, s23, s1
	v_mov_b32_e32 v3, s1
	v_add_co_u32_e32 v2, vcc, s0, v1
	s_mul_i32 s0, s13, s6
	s_mul_hi_u32 s1, s12, s6
	s_add_i32 s1, s1, s0
	s_mul_i32 s0, s12, s6
	s_lshl_b32 s26, s38, 1
	s_lshl_b64 s[22:23], s[20:21], 1
	s_lshl_b64 s[0:1], s[0:1], 1
	v_addc_co_u32_e32 v3, vcc, 0, v3, vcc
	v_lshlrev_b32_e32 v5, 2, v0
	s_add_u32 s0, s16, s0
	v_add_co_u32_e32 v1, vcc, s0, v5
	s_mul_i32 s0, s28, s25
	s_mul_i32 s12, s33, s39
	s_addc_u32 s1, s17, s1
	s_add_i32 s0, s36, s0
	s_add_i32 s12, s29, s12
	;; [unrolled: 1-line block ×4, first 2 shown]
	v_mov_b32_e32 v4, s1
	s_lshl_b32 s21, s38, 2
	s_lshl_b64 s[0:1], s[30:31], 1
	s_lshl_b64 s[12:13], s[24:25], 1
	s_add_u32 s12, s0, s12
	s_addc_u32 s13, s1, s13
	s_lshl_b64 s[0:1], s[10:11], 1
	s_add_u32 s0, s2, s0
	s_addc_u32 s1, s3, s1
	s_add_u32 s0, s0, s12
	v_addc_co_u32_e32 v4, vcc, 0, v4, vcc
	s_addc_u32 s1, s1, s13
	s_mov_b32 s27, 0
	v_mov_b32_e32 v6, s1
	v_add_co_u32_e32 v5, vcc, s0, v5
	v_addc_co_u32_e32 v6, vcc, 0, v6, vcc
	s_mov_b64 s[12:13], 0
	s_movk_i32 s11, 0x7fff
	v_mov_b32_e32 v7, s23
	v_mov_b32_e32 v8, 0x7fc00000
	;; [unrolled: 1-line block ×3, first 2 shown]
	s_mov_b32 s23, 0x5040100
	v_mov_b32_e32 v10, s27
	s_mov_b64 s[16:17], 0
	v_mov_b32_e32 v11, v0
.LBB33_9:                               ; =>This Inner Loop Header: Depth=1
	global_load_ushort v18, v[2:3], off
	v_add_co_u32_e32 v12, vcc, s22, v2
	v_addc_co_u32_e32 v13, vcc, v3, v7, vcc
	global_load_ushort v19, v[12:13], off
	v_mov_b32_e32 v16, s17
	v_add_co_u32_e32 v14, vcc, s16, v1
	v_addc_co_u32_e32 v15, vcc, v4, v16, vcc
	global_load_dword v20, v[14:15], off
	v_add_co_u32_e32 v2, vcc, s26, v2
	v_addc_co_u32_e32 v3, vcc, v3, v10, vcc
	v_add_co_u32_e32 v12, vcc, s16, v5
	v_add_u32_e32 v11, s38, v11
	s_add_u32 s16, s16, s21
	v_addc_co_u32_e32 v13, vcc, v6, v16, vcc
	s_addc_u32 s17, s17, 0
	v_cmp_le_i32_e32 vcc, s20, v11
	s_or_b64 s[12:13], vcc, s[12:13]
	s_waitcnt vmcnt(2)
	v_cvt_f32_f16_e32 v21, v18
	v_cmp_o_f16_e32 vcc, v18, v18
	s_waitcnt vmcnt(1)
	v_cvt_f32_f16_e32 v22, v19
	s_waitcnt vmcnt(0)
	v_and_b32_e32 v17, 0xffff0000, v20
	v_lshlrev_b32_e32 v16, 16, v20
	v_bfe_u32 v20, v21, 16, 1
	v_add3_u32 v20, v21, v20, s11
	v_bfe_u32 v21, v22, 16, 1
	v_and_b32_e32 v20, 0xffff0000, v20
	v_add3_u32 v21, v22, v21, s11
	v_cndmask_b32_e32 v18, v8, v20, vcc
	v_and_b32_e32 v21, 0xffff0000, v21
	v_cmp_o_f16_e32 vcc, v19, v19
	v_pk_mul_f32 v[18:19], v[18:19], v[16:17] op_sel_hi:[0,1]
	v_cndmask_b32_e32 v20, v8, v21, vcc
	v_bfe_u32 v21, v18, 16, 1
	v_bfe_u32 v22, v19, 16, 1
	v_pk_mul_f32 v[16:17], v[20:21], v[16:17] op_sel_hi:[0,1]
	v_add3_u32 v20, v19, v22, s11
	v_add3_u32 v21, v18, v21, s11
	v_bfe_u32 v22, v17, 16, 1
	v_bfe_u32 v23, v16, 16, 1
	v_and_b32_e32 v21, 0xffff0000, v21
	v_and_b32_e32 v20, 0xffff0000, v20
	v_add3_u32 v23, v16, v23, s11
	v_add3_u32 v22, v17, v22, s11
	v_cmp_o_f32_e32 vcc, v18, v18
	v_cmp_o_f32_e64 s[0:1], v19, v19
	v_and_b32_e32 v22, 0xffff0000, v22
	v_and_b32_e32 v23, 0xffff0000, v23
	v_cndmask_b32_e64 v19, v8, v20, s[0:1]
	v_cndmask_b32_e32 v18, v8, v21, vcc
	v_cmp_o_f32_e32 vcc, v17, v17
	v_cmp_o_f32_e64 s[0:1], v16, v16
	v_cndmask_b32_e64 v17, v8, v23, s[0:1]
	v_cndmask_b32_e32 v16, v8, v22, vcc
	v_pk_add_f32 v[20:21], v[18:19], v[16:17] neg_lo:[0,1] neg_hi:[0,1]
	v_pk_add_f32 v[16:17], v[18:19], v[16:17]
	v_bfe_u32 v16, v20, 16, 1
	v_bfe_u32 v18, v17, 16, 1
	v_add3_u32 v18, v17, v18, s11
	v_add3_u32 v16, v20, v16, s11
	v_lshrrev_b32_e32 v16, 16, v16
	v_lshrrev_b32_e32 v18, 16, v18
	v_cmp_o_f32_e32 vcc, v17, v17
	v_cmp_o_f32_e64 s[0:1], v20, v20
	v_cndmask_b32_e64 v16, v9, v16, s[0:1]
	v_cndmask_b32_e32 v17, v9, v18, vcc
	v_perm_b32 v16, v17, v16, s23
	global_store_dword v[14:15], v16, off
	global_store_dword v[12:13], v16, off
	s_andn2_b64 exec, exec, s[12:13]
	s_cbranch_execnz .LBB33_9
.LBB33_10:
	s_or_b64 exec, exec, s[34:35]
	v_cmp_gt_i32_e32 vcc, s10, v0
	s_and_saveexec_b64 s[0:1], vcc
	s_cbranch_execz .LBB33_13
; %bb.11:
	s_mul_i32 s0, s6, s15
	s_mul_hi_u32 s1, s6, s14
	s_add_i32 s1, s1, s0
	s_mul_i32 s0, s6, s14
	s_lshl_b64 s[0:1], s[0:1], 1
	s_add_u32 s6, s18, s0
	s_addc_u32 s11, s19, s1
	s_ashr_i32 s0, s8, 31
	s_mul_i32 s0, s28, s0
	s_add_i32 s0, s36, s0
	s_add_i32 s31, s0, s37
	s_lshl_b64 s[0:1], s[30:31], 1
	s_add_u32 s2, s2, s0
	s_addc_u32 s3, s3, s1
	s_ashr_i32 s0, s9, 31
	s_mul_i32 s33, s33, s0
	s_add_i32 s0, s29, s33
	s_load_dword s4, s[4:5], 0x8c
	s_add_i32 s25, s0, s7
	s_lshl_b64 s[0:1], s[24:25], 1
	s_add_u32 s2, s2, s0
	s_addc_u32 s5, s3, s1
	s_waitcnt lgkmcnt(0)
	s_and_b32 s3, s4, 0xffff
	s_mov_b64 s[0:1], 0
	v_mov_b32_e32 v2, s11
	v_mov_b32_e32 v3, s5
.LBB33_12:                              ; =>This Inner Loop Header: Depth=1
	v_ashrrev_i32_e32 v1, 31, v0
	v_lshlrev_b64 v[4:5], 1, v[0:1]
	v_add_co_u32_e32 v6, vcc, s6, v4
	v_addc_co_u32_e32 v7, vcc, v2, v5, vcc
	global_load_ushort v1, v[6:7], off
	v_add_co_u32_e32 v4, vcc, s2, v4
	v_addc_co_u32_e32 v5, vcc, v3, v5, vcc
	v_add_u32_e32 v0, s3, v0
	v_cmp_le_i32_e32 vcc, s10, v0
	s_or_b64 s[0:1], vcc, s[0:1]
	s_waitcnt vmcnt(0)
	global_store_short v[4:5], v1, off
	s_andn2_b64 exec, exec, s[0:1]
	s_cbranch_execnz .LBB33_12
.LBB33_13:
	s_endpgm
.LBB33_14:
                                        ; implicit-def: $sgpr28_sgpr29
	s_branch .LBB33_6
	.section	.rodata,"a",@progbits
	.p2align	6, 0x0
	.amdhsa_kernel _ZN4vllm38concat_and_cache_mla_rope_fused_kernelIN3c108BFloat16ENS1_4HalfELb0EttLNS_18Fp8KVCacheDataTypeE0EEEvPKlPT_S8_PKS7_PKT0_illlliPT3_S6_iiiiPKf
		.amdhsa_group_segment_fixed_size 0
		.amdhsa_private_segment_fixed_size 0
		.amdhsa_kernarg_size 384
		.amdhsa_user_sgpr_count 6
		.amdhsa_user_sgpr_private_segment_buffer 1
		.amdhsa_user_sgpr_dispatch_ptr 0
		.amdhsa_user_sgpr_queue_ptr 0
		.amdhsa_user_sgpr_kernarg_segment_ptr 1
		.amdhsa_user_sgpr_dispatch_id 0
		.amdhsa_user_sgpr_flat_scratch_init 0
		.amdhsa_user_sgpr_kernarg_preload_length 0
		.amdhsa_user_sgpr_kernarg_preload_offset 0
		.amdhsa_user_sgpr_private_segment_size 0
		.amdhsa_uses_dynamic_stack 0
		.amdhsa_system_sgpr_private_segment_wavefront_offset 0
		.amdhsa_system_sgpr_workgroup_id_x 1
		.amdhsa_system_sgpr_workgroup_id_y 0
		.amdhsa_system_sgpr_workgroup_id_z 0
		.amdhsa_system_sgpr_workgroup_info 0
		.amdhsa_system_vgpr_workitem_id 0
		.amdhsa_next_free_vgpr 24
		.amdhsa_next_free_sgpr 43
		.amdhsa_accum_offset 24
		.amdhsa_reserve_vcc 1
		.amdhsa_reserve_flat_scratch 0
		.amdhsa_float_round_mode_32 0
		.amdhsa_float_round_mode_16_64 0
		.amdhsa_float_denorm_mode_32 3
		.amdhsa_float_denorm_mode_16_64 3
		.amdhsa_dx10_clamp 1
		.amdhsa_ieee_mode 1
		.amdhsa_fp16_overflow 0
		.amdhsa_tg_split 0
		.amdhsa_exception_fp_ieee_invalid_op 0
		.amdhsa_exception_fp_denorm_src 0
		.amdhsa_exception_fp_ieee_div_zero 0
		.amdhsa_exception_fp_ieee_overflow 0
		.amdhsa_exception_fp_ieee_underflow 0
		.amdhsa_exception_fp_ieee_inexact 0
		.amdhsa_exception_int_div_zero 0
	.end_amdhsa_kernel
	.section	.text._ZN4vllm38concat_and_cache_mla_rope_fused_kernelIN3c108BFloat16ENS1_4HalfELb0EttLNS_18Fp8KVCacheDataTypeE0EEEvPKlPT_S8_PKS7_PKT0_illlliPT3_S6_iiiiPKf,"axG",@progbits,_ZN4vllm38concat_and_cache_mla_rope_fused_kernelIN3c108BFloat16ENS1_4HalfELb0EttLNS_18Fp8KVCacheDataTypeE0EEEvPKlPT_S8_PKS7_PKT0_illlliPT3_S6_iiiiPKf,comdat
.Lfunc_end33:
	.size	_ZN4vllm38concat_and_cache_mla_rope_fused_kernelIN3c108BFloat16ENS1_4HalfELb0EttLNS_18Fp8KVCacheDataTypeE0EEEvPKlPT_S8_PKS7_PKT0_illlliPT3_S6_iiiiPKf, .Lfunc_end33-_ZN4vllm38concat_and_cache_mla_rope_fused_kernelIN3c108BFloat16ENS1_4HalfELb0EttLNS_18Fp8KVCacheDataTypeE0EEEvPKlPT_S8_PKS7_PKT0_illlliPT3_S6_iiiiPKf
                                        ; -- End function
	.section	.AMDGPU.csdata,"",@progbits
; Kernel info:
; codeLenInByte = 2624
; NumSgprs: 47
; NumVgprs: 24
; NumAgprs: 0
; TotalNumVgprs: 24
; ScratchSize: 0
; MemoryBound: 0
; FloatMode: 240
; IeeeMode: 1
; LDSByteSize: 0 bytes/workgroup (compile time only)
; SGPRBlocks: 5
; VGPRBlocks: 2
; NumSGPRsForWavesPerEU: 47
; NumVGPRsForWavesPerEU: 24
; AccumOffset: 24
; Occupancy: 8
; WaveLimiterHint : 1
; COMPUTE_PGM_RSRC2:SCRATCH_EN: 0
; COMPUTE_PGM_RSRC2:USER_SGPR: 6
; COMPUTE_PGM_RSRC2:TRAP_HANDLER: 0
; COMPUTE_PGM_RSRC2:TGID_X_EN: 1
; COMPUTE_PGM_RSRC2:TGID_Y_EN: 0
; COMPUTE_PGM_RSRC2:TGID_Z_EN: 0
; COMPUTE_PGM_RSRC2:TIDIG_COMP_CNT: 0
; COMPUTE_PGM_RSRC3_GFX90A:ACCUM_OFFSET: 5
; COMPUTE_PGM_RSRC3_GFX90A:TG_SPLIT: 0
	.section	.text._ZN4vllm38concat_and_cache_mla_rope_fused_kernelIN3c108BFloat16ES2_Lb1EttLNS_18Fp8KVCacheDataTypeE0EEEvPKlPT_S7_PKS6_PKT0_illlliPT3_S5_iiiiPKf,"axG",@progbits,_ZN4vllm38concat_and_cache_mla_rope_fused_kernelIN3c108BFloat16ES2_Lb1EttLNS_18Fp8KVCacheDataTypeE0EEEvPKlPT_S7_PKS6_PKT0_illlliPT3_S5_iiiiPKf,comdat
	.protected	_ZN4vllm38concat_and_cache_mla_rope_fused_kernelIN3c108BFloat16ES2_Lb1EttLNS_18Fp8KVCacheDataTypeE0EEEvPKlPT_S7_PKS6_PKT0_illlliPT3_S5_iiiiPKf ; -- Begin function _ZN4vllm38concat_and_cache_mla_rope_fused_kernelIN3c108BFloat16ES2_Lb1EttLNS_18Fp8KVCacheDataTypeE0EEEvPKlPT_S7_PKS6_PKT0_illlliPT3_S5_iiiiPKf
	.globl	_ZN4vllm38concat_and_cache_mla_rope_fused_kernelIN3c108BFloat16ES2_Lb1EttLNS_18Fp8KVCacheDataTypeE0EEEvPKlPT_S7_PKS6_PKT0_illlliPT3_S5_iiiiPKf
	.p2align	8
	.type	_ZN4vllm38concat_and_cache_mla_rope_fused_kernelIN3c108BFloat16ES2_Lb1EttLNS_18Fp8KVCacheDataTypeE0EEEvPKlPT_S7_PKS6_PKT0_illlliPT3_S5_iiiiPKf,@function
_ZN4vllm38concat_and_cache_mla_rope_fused_kernelIN3c108BFloat16ES2_Lb1EttLNS_18Fp8KVCacheDataTypeE0EEEvPKlPT_S7_PKS6_PKT0_illlliPT3_S5_iiiiPKf: ; @_ZN4vllm38concat_and_cache_mla_rope_fused_kernelIN3c108BFloat16ES2_Lb1EttLNS_18Fp8KVCacheDataTypeE0EEEvPKlPT_S7_PKS6_PKT0_illlliPT3_S5_iiiiPKf
; %bb.0:
	s_load_dwordx2 s[2:3], s[4:5], 0x60
	s_mov_b32 s7, 0
	s_lshl_b64 s[0:1], s[6:7], 3
	s_waitcnt lgkmcnt(0)
	s_add_u32 s2, s2, s0
	s_addc_u32 s3, s3, s1
	s_load_dwordx2 s[34:35], s[2:3], 0x0
	s_waitcnt lgkmcnt(0)
	v_cmp_lt_i64_e64 s[2:3], s[34:35], 0
	s_and_b64 vcc, exec, s[2:3]
	s_cbranch_vccnz .LBB34_13
; %bb.1:
	s_load_dword s20, s[4:5], 0x28
	s_load_dwordx2 s[2:3], s[4:5], 0x0
	s_load_dwordx4 s[16:19], s[4:5], 0x10
	s_waitcnt lgkmcnt(0)
	s_ashr_i32 s7, s20, 31
	s_add_u32 s0, s2, s0
	s_addc_u32 s1, s3, s1
	s_load_dwordx2 s[2:3], s[0:1], 0x0
	s_load_dwordx2 s[28:29], s[4:5], 0x20
	s_load_dwordx8 s[8:15], s[4:5], 0x30
	s_load_dwordx2 s[24:25], s[4:5], 0x58
	s_load_dword s21, s[4:5], 0x50
	s_waitcnt lgkmcnt(0)
	s_mul_i32 s0, s2, s7
	s_mul_hi_u32 s1, s2, s20
	s_mul_i32 s3, s3, s20
	s_add_i32 s0, s1, s0
	s_add_i32 s1, s0, s3
	s_mul_i32 s0, s2, s20
	s_lshl_b64 s[30:31], s[0:1], 1
	s_add_u32 s7, s28, s30
	s_addc_u32 s33, s29, s31
	s_lshr_b32 s0, s20, 31
	s_add_i32 s20, s20, s0
	s_ashr_i32 s26, s20, 1
	s_mul_i32 s38, s26, s21
	v_cmp_gt_i32_e32 vcc, s38, v0
	s_and_saveexec_b64 s[20:21], vcc
	s_cbranch_execz .LBB34_4
; %bb.2:
	s_load_dwordx2 s[0:1], s[4:5], 0x8
	s_mul_i32 s2, s6, s9
	s_mul_hi_u32 s3, s6, s8
	s_add_i32 s3, s3, s2
	s_mul_i32 s2, s6, s8
	s_load_dword s8, s[4:5], 0x8c
	s_ashr_i32 s27, s26, 31
	s_lshl_b64 s[2:3], s[2:3], 1
	s_waitcnt lgkmcnt(0)
	s_add_u32 s39, s0, s2
	s_addc_u32 s0, s1, s3
	s_abs_i32 s40, s26
	v_cvt_f32_u32_e32 v1, s40
	s_sub_i32 s1, 0, s40
	s_lshl_b64 s[36:37], s[26:27], 1
	s_mov_b64 s[22:23], 0
	v_rcp_iflag_f32_e32 v2, v1
	v_mov_b32_e32 v1, s33
	s_and_b32 s41, s8, 0xffff
	s_sub_i32 s42, 0, s26
	v_mul_f32_e32 v2, 0x4f7ffffe, v2
	v_cvt_u32_f32_e32 v2, v2
	v_mov_b32_e32 v4, s37
	v_mov_b32_e32 v5, s0
	s_movk_i32 s37, 0x7fff
	v_mul_lo_u32 v3, s1, v2
	v_mul_hi_u32 v3, v2, v3
	v_add_u32_e32 v3, v2, v3
	v_mov_b32_e32 v6, 0x7fc00000
	v_mov_b32_e32 v7, 0x7fc0
	v_mov_b32_e32 v2, v0
.LBB34_3:                               ; =>This Inner Loop Header: Depth=1
	v_sub_u32_e32 v9, 0, v2
	v_max_i32_e32 v9, v2, v9
	v_mul_hi_u32 v10, v9, v3
	v_mul_lo_u32 v11, v10, s40
	v_sub_u32_e32 v9, v9, v11
	v_add_u32_e32 v12, 1, v10
	v_cmp_le_u32_e32 vcc, s40, v9
	v_subrev_u32_e32 v11, s40, v9
	v_cndmask_b32_e32 v10, v10, v12, vcc
	v_cndmask_b32_e32 v9, v9, v11, vcc
	v_ashrrev_i32_e32 v8, 31, v2
	v_add_u32_e32 v11, 1, v10
	v_cmp_le_u32_e32 vcc, s40, v9
	v_xor_b32_e32 v8, s27, v8
	v_cndmask_b32_e32 v9, v10, v11, vcc
	v_xor_b32_e32 v9, v9, v8
	v_sub_u32_e32 v10, v9, v8
	v_mad_u64_u32 v[8:9], s[0:1], s42, v10, v[2:3]
	v_ashrrev_i32_e32 v12, 31, v10
	v_ashrrev_i32_e32 v9, 31, v8
	v_mul_lo_u32 v13, v10, s11
	v_mad_u64_u32 v[10:11], s[0:1], v10, s10, 0
	v_mul_lo_u32 v12, v12, s10
	v_lshlrev_b64 v[8:9], 1, v[8:9]
	v_add3_u32 v11, v11, v13, v12
	v_add_co_u32_e32 v12, vcc, s7, v8
	v_addc_co_u32_e32 v13, vcc, v1, v9, vcc
	v_add_co_u32_e32 v14, vcc, s36, v12
	v_lshlrev_b64 v[10:11], 1, v[10:11]
	v_addc_co_u32_e32 v15, vcc, v13, v4, vcc
	v_add_co_u32_e32 v10, vcc, s39, v10
	v_addc_co_u32_e32 v11, vcc, v5, v11, vcc
	v_add_co_u32_e32 v8, vcc, v10, v8
	v_addc_co_u32_e32 v9, vcc, v11, v9, vcc
	global_load_ushort v16, v[14:15], off
	global_load_ushort v17, v[12:13], off
	v_add_co_u32_e32 v10, vcc, s36, v8
	v_addc_co_u32_e32 v11, vcc, v9, v4, vcc
	global_load_ushort v18, v[8:9], off
	global_load_ushort v19, v[10:11], off
	v_add_u32_e32 v2, s41, v2
	v_cmp_le_i32_e32 vcc, s38, v2
	s_or_b64 s[22:23], vcc, s[22:23]
	s_waitcnt vmcnt(3)
	v_lshlrev_b32_e32 v12, 16, v16
	s_waitcnt vmcnt(2)
	v_lshlrev_b32_e32 v13, 16, v17
	v_mov_b32_e32 v14, v13
	v_mov_b32_e32 v15, v12
	s_waitcnt vmcnt(1)
	v_lshlrev_b32_e32 v16, 16, v18
	s_waitcnt vmcnt(0)
	v_lshlrev_b32_e32 v17, 16, v19
	v_pk_mul_f32 v[14:15], v[14:15], v[16:17]
	v_pk_mul_f32 v[12:13], v[12:13], v[16:17]
	v_bfe_u32 v16, v14, 16, 1
	v_bfe_u32 v17, v15, 16, 1
	;; [unrolled: 1-line block ×4, first 2 shown]
	v_add3_u32 v17, v15, v17, s37
	v_add3_u32 v16, v14, v16, s37
	v_add3_u32 v19, v13, v19, s37
	v_add3_u32 v18, v12, v18, s37
	v_and_b32_e32 v16, 0xffff0000, v16
	v_and_b32_e32 v17, 0xffff0000, v17
	v_cmp_o_f32_e32 vcc, v14, v14
	v_cmp_o_f32_e64 s[8:9], v15, v15
	v_and_b32_e32 v14, 0xffff0000, v18
	v_and_b32_e32 v18, 0xffff0000, v19
	v_cmp_o_f32_e64 s[0:1], v13, v13
	v_cmp_o_f32_e64 s[2:3], v12, v12
	v_cndmask_b32_e64 v12, v6, v17, s[8:9]
	v_cndmask_b32_e32 v13, v6, v16, vcc
	v_cndmask_b32_e64 v15, v6, v18, s[0:1]
	v_cndmask_b32_e64 v14, v6, v14, s[2:3]
	v_sub_f32_e32 v12, v13, v12
	v_add_f32_e32 v13, v14, v15
	v_bfe_u32 v14, v12, 16, 1
	v_bfe_u32 v15, v13, 16, 1
	v_add3_u32 v14, v12, v14, s37
	v_add3_u32 v15, v13, v15, s37
	v_lshrrev_b32_e32 v14, 16, v14
	v_cmp_o_f32_e64 s[0:1], v12, v12
	v_lshrrev_b32_e32 v15, 16, v15
	v_cmp_o_f32_e32 vcc, v13, v13
	v_cndmask_b32_e64 v12, v7, v14, s[0:1]
	v_cndmask_b32_e32 v13, v7, v15, vcc
	global_store_short v[8:9], v12, off
	global_store_short v[10:11], v13, off
	s_andn2_b64 exec, exec, s[22:23]
	s_cbranch_execnz .LBB34_3
.LBB34_4:
	s_or_b64 exec, exec, s[20:21]
	s_load_dwordx4 s[20:23], s[4:5], 0x68
	s_waitcnt lgkmcnt(0)
	s_ashr_i32 s3, s23, 31
	s_mov_b32 s2, s23
	s_or_b64 s[0:1], s[34:35], s[2:3]
	s_mov_b32 s0, 0
	s_cmp_lg_u64 s[0:1], 0
	s_cbranch_scc0 .LBB34_14
; %bb.5:
	s_add_u32 s0, s2, s3
	s_mov_b32 s10, s3
	s_mov_b32 s11, s3
	s_addc_u32 s1, s3, s3
	s_xor_b64 s[36:37], s[0:1], s[10:11]
	v_cvt_f32_u32_e32 v1, s36
	v_cvt_f32_u32_e32 v2, s37
	s_sub_u32 s0, 0, s36
	s_subb_u32 s1, 0, s37
	v_madmk_f32 v1, v2, 0x4f800000, v1
	v_rcp_f32_e32 v1, v1
	v_mul_f32_e32 v1, 0x5f7ffffc, v1
	v_mul_f32_e32 v2, 0x2f800000, v1
	v_trunc_f32_e32 v2, v2
	v_madmk_f32 v1, v2, 0xcf800000, v1
	v_cvt_u32_f32_e32 v2, v2
	v_cvt_u32_f32_e32 v1, v1
	v_readfirstlane_b32 s23, v2
	v_readfirstlane_b32 s27, v1
	s_mul_i32 s38, s0, s23
	s_mul_hi_u32 s40, s0, s27
	s_mul_i32 s39, s1, s27
	s_add_i32 s38, s40, s38
	s_add_i32 s38, s38, s39
	s_mul_i32 s41, s0, s27
	s_mul_hi_u32 s39, s27, s38
	s_mul_i32 s40, s27, s38
	s_mul_hi_u32 s27, s27, s41
	s_add_u32 s27, s27, s40
	s_addc_u32 s39, 0, s39
	s_mul_hi_u32 s42, s23, s41
	s_mul_i32 s41, s23, s41
	s_add_u32 s27, s27, s41
	s_mul_hi_u32 s40, s23, s38
	s_addc_u32 s27, s39, s42
	s_addc_u32 s39, s40, 0
	s_mul_i32 s38, s23, s38
	s_add_u32 s27, s27, s38
	s_addc_u32 s38, 0, s39
	v_add_co_u32_e32 v1, vcc, s27, v1
	s_cmp_lg_u64 vcc, 0
	s_addc_u32 s23, s23, s38
	v_readfirstlane_b32 s38, v1
	s_mul_i32 s27, s0, s23
	s_mul_hi_u32 s39, s0, s38
	s_add_i32 s27, s39, s27
	s_mul_i32 s1, s1, s38
	s_add_i32 s27, s27, s1
	s_mul_i32 s0, s0, s38
	s_mul_hi_u32 s39, s23, s0
	s_mul_i32 s40, s23, s0
	s_mul_i32 s42, s38, s27
	s_mul_hi_u32 s0, s38, s0
	s_mul_hi_u32 s41, s38, s27
	s_add_u32 s0, s0, s42
	s_addc_u32 s38, 0, s41
	s_add_u32 s0, s0, s40
	s_mul_hi_u32 s1, s23, s27
	s_addc_u32 s0, s38, s39
	s_addc_u32 s1, s1, 0
	s_mul_i32 s27, s23, s27
	s_add_u32 s0, s0, s27
	s_addc_u32 s1, 0, s1
	v_add_co_u32_e32 v1, vcc, s0, v1
	s_cmp_lg_u64 vcc, 0
	s_addc_u32 s23, s23, s1
	s_ashr_i32 s38, s35, 31
	s_add_u32 s0, s34, s38
	s_mov_b32 s39, s38
	s_addc_u32 s1, s35, s38
	s_xor_b64 s[40:41], s[0:1], s[38:39]
	v_readfirstlane_b32 s27, v1
	s_mul_i32 s1, s40, s23
	s_mul_hi_u32 s42, s40, s27
	s_mul_hi_u32 s0, s40, s23
	s_add_u32 s1, s42, s1
	s_addc_u32 s0, 0, s0
	s_mul_hi_u32 s43, s41, s27
	s_mul_i32 s27, s41, s27
	s_add_u32 s1, s1, s27
	s_mul_hi_u32 s42, s41, s23
	s_addc_u32 s0, s0, s43
	s_addc_u32 s1, s42, 0
	s_mul_i32 s23, s41, s23
	s_add_u32 s23, s0, s23
	s_addc_u32 s27, 0, s1
	s_mul_i32 s0, s36, s27
	s_mul_hi_u32 s1, s36, s23
	s_add_i32 s0, s1, s0
	s_mul_i32 s1, s37, s23
	s_add_i32 s42, s0, s1
	s_mul_i32 s1, s36, s23
	v_mov_b32_e32 v1, s1
	s_sub_i32 s0, s41, s42
	v_sub_co_u32_e32 v1, vcc, s40, v1
	s_cmp_lg_u64 vcc, 0
	s_subb_u32 s40, s0, s37
	v_subrev_co_u32_e64 v2, s[0:1], s36, v1
	s_cmp_lg_u64 s[0:1], 0
	s_subb_u32 s0, s40, 0
	s_cmp_ge_u32 s0, s37
	v_readfirstlane_b32 s40, v2
	s_cselect_b32 s1, -1, 0
	s_cmp_ge_u32 s40, s36
	s_cselect_b32 s40, -1, 0
	s_cmp_eq_u32 s0, s37
	s_cselect_b32 s0, s40, s1
	s_add_u32 s1, s23, 1
	s_addc_u32 s40, s27, 0
	s_add_u32 s43, s23, 2
	s_addc_u32 s44, s27, 0
	s_cmp_lg_u32 s0, 0
	s_cselect_b32 s0, s43, s1
	s_cselect_b32 s1, s44, s40
	s_cmp_lg_u64 vcc, 0
	s_subb_u32 s40, s41, s42
	s_cmp_ge_u32 s40, s37
	v_readfirstlane_b32 s42, v1
	s_cselect_b32 s41, -1, 0
	s_cmp_ge_u32 s42, s36
	s_cselect_b32 s36, -1, 0
	s_cmp_eq_u32 s40, s37
	s_cselect_b32 s36, s36, s41
	s_cmp_lg_u32 s36, 0
	s_cselect_b32 s1, s1, s27
	s_cselect_b32 s0, s0, s23
	s_xor_b64 s[10:11], s[38:39], s[10:11]
	s_xor_b64 s[0:1], s[0:1], s[10:11]
	s_sub_u32 s10, s0, s10
	s_subb_u32 s11, s1, s11
	s_cbranch_execnz .LBB34_7
.LBB34_6:
	v_cvt_f32_u32_e32 v1, s2
	s_sub_i32 s0, 0, s2
	s_mov_b32 s11, 0
	v_rcp_iflag_f32_e32 v1, v1
	v_mul_f32_e32 v1, 0x4f7ffffe, v1
	v_cvt_u32_f32_e32 v1, v1
	v_readfirstlane_b32 s1, v1
	s_mul_i32 s0, s0, s1
	s_mul_hi_u32 s0, s1, s0
	s_add_i32 s1, s1, s0
	s_mul_hi_u32 s0, s34, s1
	s_mul_i32 s8, s0, s2
	s_sub_i32 s8, s34, s8
	s_add_i32 s1, s0, 1
	s_sub_i32 s9, s8, s2
	s_cmp_ge_u32 s8, s2
	s_cselect_b32 s0, s1, s0
	s_cselect_b32 s8, s9, s8
	s_add_i32 s1, s0, 1
	s_cmp_ge_u32 s8, s2
	s_cselect_b32 s10, s1, s0
.LBB34_7:
	s_mul_i32 s0, s10, s3
	s_mul_hi_u32 s1, s10, s2
	s_add_i32 s0, s1, s0
	s_mul_i32 s1, s11, s2
	s_add_i32 s0, s0, s1
	s_mul_i32 s1, s10, s2
	s_sub_u32 s40, s34, s1
	s_subb_u32 s0, s35, s0
	v_cmp_gt_i32_e32 vcc, s26, v0
	s_mul_hi_u32 s42, s10, s20
	s_mul_i32 s43, s11, s20
	s_mul_i32 s36, s10, s20
	s_mul_hi_u32 s41, s40, s21
	s_mul_i32 s11, s0, s21
	s_mul_i32 s34, s40, s21
	s_and_saveexec_b64 s[38:39], vcc
	s_cbranch_execz .LBB34_10
; %bb.8:
	s_mul_i32 s0, s6, s13
	s_mul_hi_u32 s1, s6, s12
	s_add_i32 s1, s1, s0
	s_mul_i32 s0, s6, s12
	s_ashr_i32 s27, s26, 31
	s_lshl_b64 s[0:1], s[0:1], 1
	s_add_u32 s44, s16, s0
	s_addc_u32 s45, s17, s1
	s_ashr_i32 s2, s20, 31
	s_mul_i32 s2, s10, s2
	s_add_i32 s2, s42, s2
	s_add_i32 s37, s2, s43
	s_ashr_i32 s2, s21, 31
	s_mul_i32 s2, s40, s2
	s_add_i32 s2, s41, s2
	s_add_i32 s35, s2, s11
	s_lshl_b64 s[2:3], s[36:37], 1
	s_lshl_b64 s[8:9], s[34:35], 1
	s_add_u32 s12, s2, s8
	s_addc_u32 s13, s3, s9
	s_load_dword s37, s[4:5], 0x8c
	s_add_u32 s8, s12, s24
	s_addc_u32 s9, s13, s25
	s_ashr_i32 s23, s22, 31
	s_lshl_b64 s[2:3], s[22:23], 1
	s_add_u32 s23, s8, s2
	s_addc_u32 s35, s9, s3
	s_waitcnt lgkmcnt(0)
	s_and_b32 s37, s37, 0xffff
	s_lshl_b32 s46, s37, 1
	s_lshl_b64 s[8:9], s[26:27], 1
	s_add_u32 s27, s30, s8
	s_addc_u32 s30, s31, s9
	s_add_u32 s27, s28, s27
	s_addc_u32 s28, s29, s30
	;; [unrolled: 2-line block ×6, first 2 shown]
	s_add_u32 s29, s24, s0
	v_lshlrev_b32_e32 v2, 1, v0
	s_addc_u32 s30, s25, s1
	s_mov_b64 s[12:13], 0
	s_movk_i32 s31, 0x7fff
	v_mov_b32_e32 v1, 0x7fc00000
	v_mov_b32_e32 v3, 0x7fc0
	;; [unrolled: 1-line block ×3, first 2 shown]
.LBB34_9:                               ; =>This Inner Loop Header: Depth=1
	v_mov_b32_e32 v7, s28
	v_add_co_u32_e32 v10, vcc, s27, v2
	v_mov_b32_e32 v14, s17
	v_add_co_u32_e64 v6, s[2:3], s16, v2
	v_mov_b32_e32 v5, s33
	v_mov_b32_e32 v9, s45
	v_add_co_u32_e64 v4, s[0:1], s44, v2
	v_add_co_u32_e64 v12, s[8:9], s7, v2
	v_addc_co_u32_e32 v11, vcc, 0, v7, vcc
	v_addc_co_u32_e64 v7, vcc, 0, v14, s[2:3]
	v_addc_co_u32_e64 v13, s[8:9], 0, v5, s[8:9]
	v_addc_co_u32_e64 v5, vcc, 0, v9, s[0:1]
	global_load_ushort v9, v[6:7], off
	global_load_ushort v16, v[10:11], off
	;; [unrolled: 1-line block ×4, first 2 shown]
	s_add_u32 s7, s7, s46
	s_addc_u32 s33, s33, 0
	s_add_u32 s27, s27, s46
	s_addc_u32 s28, s28, 0
	;; [unrolled: 2-line block ×3, first 2 shown]
	s_add_u32 s44, s44, s46
	v_mov_b32_e32 v11, s35
	v_mov_b32_e32 v15, s30
	v_add_co_u32_e32 v10, vcc, s29, v2
	v_add_co_u32_e64 v12, s[0:1], s23, v2
	s_addc_u32 s45, s45, 0
	v_addc_co_u32_e64 v13, s[0:1], 0, v11, s[0:1]
	v_addc_co_u32_e32 v11, vcc, 0, v15, vcc
	s_add_u32 s29, s29, s46
	s_addc_u32 s30, s30, 0
	v_add_u32_e32 v8, s37, v8
	s_add_u32 s23, s23, s46
	v_cmp_le_i32_e32 vcc, s26, v8
	s_addc_u32 s35, s35, 0
	s_or_b64 s[12:13], vcc, s[12:13]
	s_waitcnt vmcnt(3)
	v_lshlrev_b32_e32 v15, 16, v9
	s_waitcnt vmcnt(2)
	v_lshlrev_b32_e32 v16, 16, v16
	;; [unrolled: 2-line block ×4, first 2 shown]
	v_mov_b32_e32 v18, v17
	v_mov_b32_e32 v19, v16
	v_pk_mul_f32 v[16:17], v[16:17], v[14:15]
	v_pk_mul_f32 v[14:15], v[18:19], v[14:15]
	v_bfe_u32 v9, v16, 16, 1
	v_bfe_u32 v18, v17, 16, 1
	;; [unrolled: 1-line block ×4, first 2 shown]
	v_add3_u32 v18, v17, v18, s31
	v_add3_u32 v9, v16, v9, s31
	;; [unrolled: 1-line block ×4, first 2 shown]
	v_and_b32_e32 v9, 0xffff0000, v9
	v_and_b32_e32 v18, 0xffff0000, v18
	v_cmp_o_f32_e32 vcc, v16, v16
	v_cmp_o_f32_e64 s[0:1], v17, v17
	v_and_b32_e32 v16, 0xffff0000, v19
	v_and_b32_e32 v17, 0xffff0000, v20
	v_cmp_o_f32_e64 s[2:3], v14, v14
	v_cndmask_b32_e64 v14, v1, v18, s[0:1]
	v_cndmask_b32_e32 v9, v1, v9, vcc
	v_cmp_o_f32_e32 vcc, v15, v15
	v_cndmask_b32_e32 v15, v1, v17, vcc
	v_cndmask_b32_e64 v16, v1, v16, s[2:3]
	v_add_f32_e32 v9, v9, v14
	v_sub_f32_e32 v14, v16, v15
	v_bfe_u32 v15, v9, 16, 1
	v_bfe_u32 v16, v14, 16, 1
	v_add3_u32 v15, v9, v15, s31
	v_add3_u32 v16, v14, v16, s31
	v_lshrrev_b32_e32 v15, 16, v15
	v_cmp_o_f32_e32 vcc, v9, v9
	v_lshrrev_b32_e32 v9, 16, v16
	v_cndmask_b32_e32 v15, v3, v15, vcc
	v_cmp_o_f32_e32 vcc, v14, v14
	v_cndmask_b32_e32 v9, v3, v9, vcc
	global_store_short v[4:5], v9, off
	global_store_short v[6:7], v15, off
	;; [unrolled: 1-line block ×4, first 2 shown]
	s_andn2_b64 exec, exec, s[12:13]
	s_cbranch_execnz .LBB34_9
.LBB34_10:
	s_or_b64 exec, exec, s[38:39]
	v_cmp_gt_i32_e32 vcc, s22, v0
	s_and_saveexec_b64 s[0:1], vcc
	s_cbranch_execz .LBB34_13
; %bb.11:
	s_mul_i32 s0, s6, s15
	s_mul_hi_u32 s1, s6, s14
	s_add_i32 s1, s1, s0
	s_mul_i32 s0, s6, s14
	s_lshl_b64 s[0:1], s[0:1], 1
	s_add_u32 s2, s18, s0
	s_addc_u32 s6, s19, s1
	s_ashr_i32 s0, s20, 31
	s_mul_i32 s0, s10, s0
	s_add_i32 s0, s42, s0
	s_add_i32 s37, s0, s43
	s_lshl_b64 s[0:1], s[36:37], 1
	s_add_u32 s3, s24, s0
	s_addc_u32 s7, s25, s1
	s_ashr_i32 s0, s21, 31
	s_mul_i32 s40, s40, s0
	s_add_i32 s0, s41, s40
	s_load_dword s4, s[4:5], 0x8c
	s_add_i32 s35, s0, s11
	s_lshl_b64 s[0:1], s[34:35], 1
	s_add_u32 s3, s3, s0
	s_addc_u32 s5, s7, s1
	s_waitcnt lgkmcnt(0)
	s_and_b32 s4, s4, 0xffff
	s_mov_b64 s[0:1], 0
	v_mov_b32_e32 v2, s6
	v_mov_b32_e32 v3, s5
.LBB34_12:                              ; =>This Inner Loop Header: Depth=1
	v_ashrrev_i32_e32 v1, 31, v0
	v_lshlrev_b64 v[4:5], 1, v[0:1]
	v_add_co_u32_e32 v6, vcc, s2, v4
	v_addc_co_u32_e32 v7, vcc, v2, v5, vcc
	global_load_ushort v1, v[6:7], off
	v_add_co_u32_e32 v4, vcc, s3, v4
	v_addc_co_u32_e32 v5, vcc, v3, v5, vcc
	v_add_u32_e32 v0, s4, v0
	v_cmp_le_i32_e32 vcc, s22, v0
	s_or_b64 s[0:1], vcc, s[0:1]
	s_waitcnt vmcnt(0)
	global_store_short v[4:5], v1, off
	s_andn2_b64 exec, exec, s[0:1]
	s_cbranch_execnz .LBB34_12
.LBB34_13:
	s_endpgm
.LBB34_14:
                                        ; implicit-def: $sgpr10_sgpr11
	s_branch .LBB34_6
	.section	.rodata,"a",@progbits
	.p2align	6, 0x0
	.amdhsa_kernel _ZN4vllm38concat_and_cache_mla_rope_fused_kernelIN3c108BFloat16ES2_Lb1EttLNS_18Fp8KVCacheDataTypeE0EEEvPKlPT_S7_PKS6_PKT0_illlliPT3_S5_iiiiPKf
		.amdhsa_group_segment_fixed_size 0
		.amdhsa_private_segment_fixed_size 0
		.amdhsa_kernarg_size 384
		.amdhsa_user_sgpr_count 6
		.amdhsa_user_sgpr_private_segment_buffer 1
		.amdhsa_user_sgpr_dispatch_ptr 0
		.amdhsa_user_sgpr_queue_ptr 0
		.amdhsa_user_sgpr_kernarg_segment_ptr 1
		.amdhsa_user_sgpr_dispatch_id 0
		.amdhsa_user_sgpr_flat_scratch_init 0
		.amdhsa_user_sgpr_kernarg_preload_length 0
		.amdhsa_user_sgpr_kernarg_preload_offset 0
		.amdhsa_user_sgpr_private_segment_size 0
		.amdhsa_uses_dynamic_stack 0
		.amdhsa_system_sgpr_private_segment_wavefront_offset 0
		.amdhsa_system_sgpr_workgroup_id_x 1
		.amdhsa_system_sgpr_workgroup_id_y 0
		.amdhsa_system_sgpr_workgroup_id_z 0
		.amdhsa_system_sgpr_workgroup_info 0
		.amdhsa_system_vgpr_workitem_id 0
		.amdhsa_next_free_vgpr 21
		.amdhsa_next_free_sgpr 47
		.amdhsa_accum_offset 24
		.amdhsa_reserve_vcc 1
		.amdhsa_reserve_flat_scratch 0
		.amdhsa_float_round_mode_32 0
		.amdhsa_float_round_mode_16_64 0
		.amdhsa_float_denorm_mode_32 3
		.amdhsa_float_denorm_mode_16_64 3
		.amdhsa_dx10_clamp 1
		.amdhsa_ieee_mode 1
		.amdhsa_fp16_overflow 0
		.amdhsa_tg_split 0
		.amdhsa_exception_fp_ieee_invalid_op 0
		.amdhsa_exception_fp_denorm_src 0
		.amdhsa_exception_fp_ieee_div_zero 0
		.amdhsa_exception_fp_ieee_overflow 0
		.amdhsa_exception_fp_ieee_underflow 0
		.amdhsa_exception_fp_ieee_inexact 0
		.amdhsa_exception_int_div_zero 0
	.end_amdhsa_kernel
	.section	.text._ZN4vllm38concat_and_cache_mla_rope_fused_kernelIN3c108BFloat16ES2_Lb1EttLNS_18Fp8KVCacheDataTypeE0EEEvPKlPT_S7_PKS6_PKT0_illlliPT3_S5_iiiiPKf,"axG",@progbits,_ZN4vllm38concat_and_cache_mla_rope_fused_kernelIN3c108BFloat16ES2_Lb1EttLNS_18Fp8KVCacheDataTypeE0EEEvPKlPT_S7_PKS6_PKT0_illlliPT3_S5_iiiiPKf,comdat
.Lfunc_end34:
	.size	_ZN4vllm38concat_and_cache_mla_rope_fused_kernelIN3c108BFloat16ES2_Lb1EttLNS_18Fp8KVCacheDataTypeE0EEEvPKlPT_S7_PKS6_PKT0_illlliPT3_S5_iiiiPKf, .Lfunc_end34-_ZN4vllm38concat_and_cache_mla_rope_fused_kernelIN3c108BFloat16ES2_Lb1EttLNS_18Fp8KVCacheDataTypeE0EEEvPKlPT_S7_PKS6_PKT0_illlliPT3_S5_iiiiPKf
                                        ; -- End function
	.section	.AMDGPU.csdata,"",@progbits
; Kernel info:
; codeLenInByte = 2564
; NumSgprs: 51
; NumVgprs: 21
; NumAgprs: 0
; TotalNumVgprs: 21
; ScratchSize: 0
; MemoryBound: 0
; FloatMode: 240
; IeeeMode: 1
; LDSByteSize: 0 bytes/workgroup (compile time only)
; SGPRBlocks: 6
; VGPRBlocks: 2
; NumSGPRsForWavesPerEU: 51
; NumVGPRsForWavesPerEU: 21
; AccumOffset: 24
; Occupancy: 8
; WaveLimiterHint : 1
; COMPUTE_PGM_RSRC2:SCRATCH_EN: 0
; COMPUTE_PGM_RSRC2:USER_SGPR: 6
; COMPUTE_PGM_RSRC2:TRAP_HANDLER: 0
; COMPUTE_PGM_RSRC2:TGID_X_EN: 1
; COMPUTE_PGM_RSRC2:TGID_Y_EN: 0
; COMPUTE_PGM_RSRC2:TGID_Z_EN: 0
; COMPUTE_PGM_RSRC2:TIDIG_COMP_CNT: 0
; COMPUTE_PGM_RSRC3_GFX90A:ACCUM_OFFSET: 5
; COMPUTE_PGM_RSRC3_GFX90A:TG_SPLIT: 0
	.section	.text._ZN4vllm38concat_and_cache_mla_rope_fused_kernelIN3c108BFloat16ES2_Lb0EttLNS_18Fp8KVCacheDataTypeE0EEEvPKlPT_S7_PKS6_PKT0_illlliPT3_S5_iiiiPKf,"axG",@progbits,_ZN4vllm38concat_and_cache_mla_rope_fused_kernelIN3c108BFloat16ES2_Lb0EttLNS_18Fp8KVCacheDataTypeE0EEEvPKlPT_S7_PKS6_PKT0_illlliPT3_S5_iiiiPKf,comdat
	.protected	_ZN4vllm38concat_and_cache_mla_rope_fused_kernelIN3c108BFloat16ES2_Lb0EttLNS_18Fp8KVCacheDataTypeE0EEEvPKlPT_S7_PKS6_PKT0_illlliPT3_S5_iiiiPKf ; -- Begin function _ZN4vllm38concat_and_cache_mla_rope_fused_kernelIN3c108BFloat16ES2_Lb0EttLNS_18Fp8KVCacheDataTypeE0EEEvPKlPT_S7_PKS6_PKT0_illlliPT3_S5_iiiiPKf
	.globl	_ZN4vllm38concat_and_cache_mla_rope_fused_kernelIN3c108BFloat16ES2_Lb0EttLNS_18Fp8KVCacheDataTypeE0EEEvPKlPT_S7_PKS6_PKT0_illlliPT3_S5_iiiiPKf
	.p2align	8
	.type	_ZN4vllm38concat_and_cache_mla_rope_fused_kernelIN3c108BFloat16ES2_Lb0EttLNS_18Fp8KVCacheDataTypeE0EEEvPKlPT_S7_PKS6_PKT0_illlliPT3_S5_iiiiPKf,@function
_ZN4vllm38concat_and_cache_mla_rope_fused_kernelIN3c108BFloat16ES2_Lb0EttLNS_18Fp8KVCacheDataTypeE0EEEvPKlPT_S7_PKS6_PKT0_illlliPT3_S5_iiiiPKf: ; @_ZN4vllm38concat_and_cache_mla_rope_fused_kernelIN3c108BFloat16ES2_Lb0EttLNS_18Fp8KVCacheDataTypeE0EEEvPKlPT_S7_PKS6_PKT0_illlliPT3_S5_iiiiPKf
; %bb.0:
	s_load_dwordx2 s[2:3], s[4:5], 0x60
	s_mov_b32 s7, 0
	s_lshl_b64 s[0:1], s[6:7], 3
	s_waitcnt lgkmcnt(0)
	s_add_u32 s2, s2, s0
	s_addc_u32 s3, s3, s1
	s_load_dwordx2 s[24:25], s[2:3], 0x0
	s_waitcnt lgkmcnt(0)
	v_cmp_lt_i64_e64 s[2:3], s[24:25], 0
	s_and_b64 vcc, exec, s[2:3]
	s_cbranch_vccnz .LBB35_13
; %bb.1:
	s_load_dword s7, s[4:5], 0x28
	s_load_dwordx2 s[2:3], s[4:5], 0x0
	s_load_dwordx4 s[16:19], s[4:5], 0x10
	v_lshlrev_b32_e32 v1, 1, v0
	s_waitcnt lgkmcnt(0)
	s_ashr_i32 s26, s7, 31
	s_add_u32 s0, s2, s0
	s_addc_u32 s1, s3, s1
	s_load_dwordx2 s[20:21], s[0:1], 0x0
	s_load_dwordx2 s[22:23], s[4:5], 0x20
	s_load_dwordx8 s[8:15], s[4:5], 0x30
	s_load_dwordx2 s[2:3], s[4:5], 0x58
	s_load_dword s28, s[4:5], 0x50
	s_waitcnt lgkmcnt(0)
	s_mul_i32 s0, s20, s26
	s_mul_hi_u32 s1, s20, s7
	s_mul_i32 s21, s21, s7
	s_add_i32 s0, s1, s0
	s_add_i32 s27, s0, s21
	s_lshr_b32 s0, s7, 31
	s_mul_i32 s26, s20, s7
	s_add_i32 s7, s7, s0
	s_ashr_i32 s20, s7, 1
	s_mul_i32 s7, s20, s28
	v_cmp_gt_i32_e32 vcc, s7, v0
	s_and_saveexec_b64 s[28:29], vcc
	s_cbranch_execz .LBB35_4
; %bb.2:
	s_lshl_b64 s[0:1], s[26:27], 1
	s_add_u32 s33, s22, s0
	s_addc_u32 s30, s23, s1
	s_load_dwordx2 s[0:1], s[4:5], 0x8
	s_mul_i32 s9, s6, s9
	s_mul_hi_u32 s31, s6, s8
	s_add_i32 s9, s31, s9
	s_load_dword s31, s[4:5], 0x8c
	s_mul_i32 s8, s6, s8
	s_ashr_i32 s21, s20, 31
	s_lshl_b64 s[8:9], s[8:9], 1
	s_waitcnt lgkmcnt(0)
	s_add_u32 s34, s0, s8
	s_addc_u32 s0, s1, s9
	s_abs_i32 s35, s20
	v_cvt_f32_u32_e32 v2, s35
	s_sub_i32 s1, 0, s35
	s_and_b32 s36, s31, 0xffff
	v_mov_b32_e32 v5, s30
	v_rcp_iflag_f32_e32 v2, v2
	s_lshl_b64 s[30:31], s[20:21], 1
	s_sub_i32 s37, 0, s20
	s_lshl_b32 s39, s36, 1
	v_mul_f32_e32 v2, 0x4f7ffffe, v2
	v_cvt_u32_f32_e32 v2, v2
	s_mov_b64 s[8:9], 0
	v_mov_b32_e32 v6, s31
	v_mov_b32_e32 v7, s0
	v_mul_lo_u32 v3, s1, v2
	v_mul_hi_u32 v3, v2, v3
	s_lshl_b32 s1, s20, 1
	v_add_u32_e32 v3, v2, v3
	s_sub_i32 s38, 0, s1
	s_movk_i32 s31, 0x7fff
	v_mov_b32_e32 v8, 0x7fc00000
	v_mov_b32_e32 v9, 0x7fc0
	s_mov_b32 s40, 0x5040100
	v_mov_b32_e32 v2, v1
	v_mov_b32_e32 v4, v0
.LBB35_3:                               ; =>This Inner Loop Header: Depth=1
	v_sub_u32_e32 v11, 0, v4
	v_max_i32_e32 v11, v4, v11
	v_mul_hi_u32 v12, v11, v3
	v_mul_lo_u32 v13, v12, s35
	v_sub_u32_e32 v11, v11, v13
	v_add_u32_e32 v14, 1, v12
	v_cmp_le_u32_e32 vcc, s35, v11
	v_subrev_u32_e32 v13, s35, v11
	v_cndmask_b32_e32 v12, v12, v14, vcc
	v_cndmask_b32_e32 v11, v11, v13, vcc
	v_ashrrev_i32_e32 v10, 31, v4
	v_add_u32_e32 v13, 1, v12
	v_cmp_le_u32_e32 vcc, s35, v11
	v_xor_b32_e32 v10, s21, v10
	v_cndmask_b32_e32 v11, v12, v13, vcc
	v_xor_b32_e32 v11, v11, v10
	v_sub_u32_e32 v14, v11, v10
	v_mad_u64_u32 v[10:11], s[0:1], s37, v14, v[4:5]
	v_ashrrev_i32_e32 v11, 31, v10
	v_lshlrev_b64 v[10:11], 1, v[10:11]
	v_ashrrev_i32_e32 v16, 31, v14
	v_add_co_u32_e32 v10, vcc, s33, v10
	v_mul_lo_u32 v17, v14, s11
	v_mad_u64_u32 v[12:13], s[0:1], v14, s10, 0
	v_mul_lo_u32 v16, v16, s10
	v_addc_co_u32_e32 v11, vcc, v5, v11, vcc
	v_add3_u32 v13, v13, v17, v16
	v_add_co_u32_e32 v16, vcc, s30, v10
	v_mad_u64_u32 v[14:15], s[0:1], s38, v14, v[2:3]
	v_lshlrev_b64 v[12:13], 1, v[12:13]
	v_addc_co_u32_e32 v17, vcc, v11, v6, vcc
	v_ashrrev_i32_e32 v15, 31, v14
	v_add_co_u32_e32 v12, vcc, s34, v12
	v_lshlrev_b64 v[14:15], 1, v[14:15]
	v_addc_co_u32_e32 v13, vcc, v7, v13, vcc
	global_load_ushort v18, v[10:11], off
	global_load_ushort v19, v[16:17], off
	v_add_co_u32_e32 v10, vcc, v12, v14
	v_addc_co_u32_e32 v11, vcc, v13, v15, vcc
	global_load_dword v12, v[10:11], off
	v_add_u32_e32 v4, s36, v4
	v_cmp_le_i32_e32 vcc, s7, v4
	s_or_b64 s[8:9], vcc, s[8:9]
	v_add_u32_e32 v2, s39, v2
	s_waitcnt vmcnt(2)
	v_lshlrev_b32_e32 v13, 16, v18
	s_waitcnt vmcnt(1)
	v_lshlrev_b32_e32 v15, 16, v19
	v_mov_b32_e32 v16, v13
	s_waitcnt vmcnt(0)
	v_and_b32_e32 v18, 0xffff0000, v12
	v_lshlrev_b32_e32 v14, 16, v12
	v_mov_b32_e32 v12, v15
	v_pk_mul_f32 v[12:13], v[12:13], v[18:19] op_sel_hi:[1,0]
	v_mov_b32_e32 v17, v14
	v_bfe_u32 v18, v12, 16, 1
	v_bfe_u32 v19, v13, 16, 1
	v_pk_mul_f32 v[14:15], v[16:17], v[14:15]
	v_add3_u32 v16, v13, v19, s31
	v_add3_u32 v17, v12, v18, s31
	v_bfe_u32 v18, v14, 16, 1
	v_bfe_u32 v19, v15, 16, 1
	v_and_b32_e32 v17, 0xffff0000, v17
	v_and_b32_e32 v16, 0xffff0000, v16
	v_add3_u32 v19, v15, v19, s31
	v_add3_u32 v18, v14, v18, s31
	v_cmp_o_f32_e32 vcc, v12, v12
	v_cmp_o_f32_e64 s[0:1], v13, v13
	v_and_b32_e32 v18, 0xffff0000, v18
	v_and_b32_e32 v19, 0xffff0000, v19
	v_cndmask_b32_e64 v13, v8, v16, s[0:1]
	v_cndmask_b32_e32 v12, v8, v17, vcc
	v_cmp_o_f32_e32 vcc, v14, v14
	v_cmp_o_f32_e64 s[0:1], v15, v15
	v_cndmask_b32_e64 v15, v8, v19, s[0:1]
	v_cndmask_b32_e32 v14, v8, v18, vcc
	v_pk_add_f32 v[16:17], v[14:15], v[12:13] neg_lo:[0,1] neg_hi:[0,1]
	v_pk_add_f32 v[12:13], v[14:15], v[12:13]
	v_bfe_u32 v12, v16, 16, 1
	v_bfe_u32 v14, v13, 16, 1
	v_add3_u32 v14, v13, v14, s31
	v_add3_u32 v12, v16, v12, s31
	v_lshrrev_b32_e32 v12, 16, v12
	v_lshrrev_b32_e32 v14, 16, v14
	v_cmp_o_f32_e32 vcc, v13, v13
	v_cmp_o_f32_e64 s[0:1], v16, v16
	v_cndmask_b32_e64 v12, v9, v12, s[0:1]
	v_cndmask_b32_e32 v13, v9, v14, vcc
	v_perm_b32 v12, v13, v12, s40
	global_store_dword v[10:11], v12, off
	s_andn2_b64 exec, exec, s[8:9]
	s_cbranch_execnz .LBB35_3
.LBB35_4:
	s_or_b64 exec, exec, s[28:29]
	s_load_dwordx4 s[8:11], s[4:5], 0x68
	s_waitcnt lgkmcnt(0)
	s_ashr_i32 s31, s11, 31
	s_mov_b32 s30, s11
	s_or_b64 s[0:1], s[24:25], s[30:31]
	s_mov_b32 s0, 0
	s_cmp_lg_u64 s[0:1], 0
	s_cbranch_scc0 .LBB35_14
; %bb.5:
	s_add_u32 s0, s30, s31
	s_mov_b32 s28, s31
	s_mov_b32 s29, s31
	s_addc_u32 s1, s31, s31
	s_xor_b64 s[36:37], s[0:1], s[28:29]
	v_cvt_f32_u32_e32 v2, s36
	v_cvt_f32_u32_e32 v3, s37
	s_sub_u32 s0, 0, s36
	s_subb_u32 s1, 0, s37
	v_madmk_f32 v2, v3, 0x4f800000, v2
	v_rcp_f32_e32 v2, v2
	v_mul_f32_e32 v2, 0x5f7ffffc, v2
	v_mul_f32_e32 v3, 0x2f800000, v2
	v_trunc_f32_e32 v3, v3
	v_madmk_f32 v2, v3, 0xcf800000, v2
	v_cvt_u32_f32_e32 v3, v3
	v_cvt_u32_f32_e32 v2, v2
	v_readfirstlane_b32 s7, v3
	v_readfirstlane_b32 s11, v2
	s_mul_i32 s21, s0, s7
	s_mul_hi_u32 s38, s0, s11
	s_mul_i32 s33, s1, s11
	s_add_i32 s21, s38, s21
	s_add_i32 s21, s21, s33
	s_mul_i32 s39, s0, s11
	s_mul_hi_u32 s33, s11, s21
	s_mul_i32 s38, s11, s21
	s_mul_hi_u32 s11, s11, s39
	s_add_u32 s11, s11, s38
	s_addc_u32 s33, 0, s33
	s_mul_hi_u32 s40, s7, s39
	s_mul_i32 s39, s7, s39
	s_add_u32 s11, s11, s39
	s_mul_hi_u32 s38, s7, s21
	s_addc_u32 s11, s33, s40
	s_addc_u32 s33, s38, 0
	s_mul_i32 s21, s7, s21
	s_add_u32 s11, s11, s21
	s_addc_u32 s21, 0, s33
	v_add_co_u32_e32 v2, vcc, s11, v2
	s_cmp_lg_u64 vcc, 0
	s_addc_u32 s7, s7, s21
	v_readfirstlane_b32 s21, v2
	s_mul_i32 s11, s0, s7
	s_mul_hi_u32 s33, s0, s21
	s_add_i32 s11, s33, s11
	s_mul_i32 s1, s1, s21
	s_add_i32 s11, s11, s1
	s_mul_i32 s0, s0, s21
	s_mul_hi_u32 s33, s7, s0
	s_mul_i32 s38, s7, s0
	s_mul_i32 s40, s21, s11
	s_mul_hi_u32 s0, s21, s0
	s_mul_hi_u32 s39, s21, s11
	s_add_u32 s0, s0, s40
	s_addc_u32 s21, 0, s39
	s_add_u32 s0, s0, s38
	s_mul_hi_u32 s1, s7, s11
	s_addc_u32 s0, s21, s33
	s_addc_u32 s1, s1, 0
	s_mul_i32 s11, s7, s11
	s_add_u32 s0, s0, s11
	s_addc_u32 s1, 0, s1
	v_add_co_u32_e32 v2, vcc, s0, v2
	s_cmp_lg_u64 vcc, 0
	s_addc_u32 s7, s7, s1
	s_ashr_i32 s38, s25, 31
	s_add_u32 s0, s24, s38
	s_mov_b32 s39, s38
	s_addc_u32 s1, s25, s38
	s_xor_b64 s[40:41], s[0:1], s[38:39]
	v_readfirstlane_b32 s11, v2
	s_mul_i32 s1, s40, s7
	s_mul_hi_u32 s21, s40, s11
	s_mul_hi_u32 s0, s40, s7
	s_add_u32 s1, s21, s1
	s_addc_u32 s0, 0, s0
	s_mul_hi_u32 s33, s41, s11
	s_mul_i32 s11, s41, s11
	s_add_u32 s1, s1, s11
	s_mul_hi_u32 s21, s41, s7
	s_addc_u32 s0, s0, s33
	s_addc_u32 s1, s21, 0
	s_mul_i32 s7, s41, s7
	s_add_u32 s7, s0, s7
	s_addc_u32 s11, 0, s1
	s_mul_i32 s0, s36, s11
	s_mul_hi_u32 s1, s36, s7
	s_add_i32 s0, s1, s0
	s_mul_i32 s1, s37, s7
	s_add_i32 s21, s0, s1
	s_mul_i32 s1, s36, s7
	v_mov_b32_e32 v2, s1
	s_sub_i32 s0, s41, s21
	v_sub_co_u32_e32 v2, vcc, s40, v2
	s_cmp_lg_u64 vcc, 0
	s_subb_u32 s33, s0, s37
	v_subrev_co_u32_e64 v3, s[0:1], s36, v2
	s_cmp_lg_u64 s[0:1], 0
	s_subb_u32 s0, s33, 0
	s_cmp_ge_u32 s0, s37
	v_readfirstlane_b32 s33, v3
	s_cselect_b32 s1, -1, 0
	s_cmp_ge_u32 s33, s36
	s_cselect_b32 s33, -1, 0
	s_cmp_eq_u32 s0, s37
	s_cselect_b32 s0, s33, s1
	s_add_u32 s1, s7, 1
	s_addc_u32 s33, s11, 0
	s_add_u32 s40, s7, 2
	s_addc_u32 s42, s11, 0
	s_cmp_lg_u32 s0, 0
	s_cselect_b32 s0, s40, s1
	s_cselect_b32 s1, s42, s33
	s_cmp_lg_u64 vcc, 0
	s_subb_u32 s21, s41, s21
	s_cmp_ge_u32 s21, s37
	v_readfirstlane_b32 s40, v2
	s_cselect_b32 s33, -1, 0
	s_cmp_ge_u32 s40, s36
	s_cselect_b32 s36, -1, 0
	s_cmp_eq_u32 s21, s37
	s_cselect_b32 s21, s36, s33
	s_cmp_lg_u32 s21, 0
	s_cselect_b32 s1, s1, s11
	s_cselect_b32 s0, s0, s7
	s_xor_b64 s[28:29], s[38:39], s[28:29]
	s_xor_b64 s[0:1], s[0:1], s[28:29]
	s_sub_u32 s28, s0, s28
	s_subb_u32 s29, s1, s29
	s_cbranch_execnz .LBB35_7
.LBB35_6:
	v_cvt_f32_u32_e32 v2, s30
	s_sub_i32 s0, 0, s30
	s_mov_b32 s29, 0
	v_rcp_iflag_f32_e32 v2, v2
	v_mul_f32_e32 v2, 0x4f7ffffe, v2
	v_cvt_u32_f32_e32 v2, v2
	v_readfirstlane_b32 s1, v2
	s_mul_i32 s0, s0, s1
	s_mul_hi_u32 s0, s1, s0
	s_add_i32 s1, s1, s0
	s_mul_hi_u32 s0, s24, s1
	s_mul_i32 s7, s0, s30
	s_sub_i32 s7, s24, s7
	s_add_i32 s1, s0, 1
	s_sub_i32 s11, s7, s30
	s_cmp_ge_u32 s7, s30
	s_cselect_b32 s0, s1, s0
	s_cselect_b32 s7, s11, s7
	s_add_i32 s1, s0, 1
	s_cmp_ge_u32 s7, s30
	s_cselect_b32 s28, s1, s0
.LBB35_7:
	s_mul_i32 s0, s28, s31
	s_mul_hi_u32 s1, s28, s30
	s_add_i32 s0, s1, s0
	s_mul_i32 s1, s29, s30
	s_add_i32 s0, s0, s1
	s_mul_i32 s1, s28, s30
	s_sub_u32 s33, s24, s1
	s_subb_u32 s7, s25, s0
	v_cmp_gt_i32_e32 vcc, s20, v0
	s_mul_hi_u32 s36, s28, s8
	s_mul_i32 s37, s29, s8
	s_mul_i32 s30, s28, s8
	s_mul_hi_u32 s29, s33, s9
	s_mul_i32 s7, s7, s9
	s_mul_i32 s24, s33, s9
	s_and_saveexec_b64 s[34:35], vcc
	s_cbranch_execz .LBB35_10
; %bb.8:
	s_load_dword s0, s[4:5], 0x8c
	s_ashr_i32 s21, s20, 31
	s_ashr_i32 s25, s8, 31
	;; [unrolled: 1-line block ×4, first 2 shown]
	s_waitcnt lgkmcnt(0)
	s_and_b32 s38, s0, 0xffff
	s_lshl_b64 s[0:1], s[26:27], 1
	s_add_u32 s0, s22, s0
	s_addc_u32 s1, s23, s1
	v_mov_b32_e32 v3, s1
	v_add_co_u32_e32 v2, vcc, s0, v1
	s_mul_i32 s0, s13, s6
	s_mul_hi_u32 s1, s12, s6
	s_add_i32 s1, s1, s0
	s_mul_i32 s0, s12, s6
	s_lshl_b32 s26, s38, 1
	s_lshl_b64 s[22:23], s[20:21], 1
	s_lshl_b64 s[0:1], s[0:1], 1
	v_addc_co_u32_e32 v3, vcc, 0, v3, vcc
	v_lshlrev_b32_e32 v5, 2, v0
	s_add_u32 s0, s16, s0
	v_add_co_u32_e32 v1, vcc, s0, v5
	s_mul_i32 s0, s28, s25
	s_mul_i32 s12, s33, s39
	s_addc_u32 s1, s17, s1
	s_add_i32 s0, s36, s0
	s_add_i32 s12, s29, s12
	;; [unrolled: 1-line block ×4, first 2 shown]
	v_mov_b32_e32 v4, s1
	s_lshl_b32 s21, s38, 2
	s_lshl_b64 s[0:1], s[30:31], 1
	s_lshl_b64 s[12:13], s[24:25], 1
	s_add_u32 s12, s0, s12
	s_addc_u32 s13, s1, s13
	s_lshl_b64 s[0:1], s[10:11], 1
	s_add_u32 s0, s2, s0
	s_addc_u32 s1, s3, s1
	s_add_u32 s0, s0, s12
	v_addc_co_u32_e32 v4, vcc, 0, v4, vcc
	s_addc_u32 s1, s1, s13
	s_mov_b32 s27, 0
	v_mov_b32_e32 v6, s1
	v_add_co_u32_e32 v5, vcc, s0, v5
	v_addc_co_u32_e32 v6, vcc, 0, v6, vcc
	s_mov_b64 s[12:13], 0
	v_mov_b32_e32 v7, s23
	s_movk_i32 s11, 0x7fff
	v_mov_b32_e32 v8, 0x7fc00000
	v_mov_b32_e32 v9, 0x7fc0
	s_mov_b32 s23, 0x5040100
	v_mov_b32_e32 v10, s27
	s_mov_b64 s[16:17], 0
	v_mov_b32_e32 v11, v0
.LBB35_9:                               ; =>This Inner Loop Header: Depth=1
	v_add_co_u32_e32 v12, vcc, s22, v2
	v_addc_co_u32_e32 v13, vcc, v3, v7, vcc
	v_mov_b32_e32 v16, s17
	v_add_co_u32_e32 v14, vcc, s16, v1
	global_load_ushort v17, v[2:3], off
	global_load_ushort v18, v[12:13], off
	v_addc_co_u32_e32 v15, vcc, v4, v16, vcc
	global_load_dword v21, v[14:15], off
	v_add_co_u32_e32 v2, vcc, s26, v2
	v_addc_co_u32_e32 v3, vcc, v3, v10, vcc
	v_add_co_u32_e32 v12, vcc, s16, v5
	v_addc_co_u32_e32 v13, vcc, v6, v16, vcc
	v_add_u32_e32 v11, s38, v11
	s_add_u32 s16, s16, s21
	s_addc_u32 s17, s17, 0
	v_cmp_le_i32_e32 vcc, s20, v11
	s_or_b64 s[12:13], vcc, s[12:13]
	s_waitcnt vmcnt(2)
	v_lshlrev_b32_e32 v17, 16, v17
	s_waitcnt vmcnt(1)
	v_lshlrev_b32_e32 v19, 16, v18
	v_mov_b32_e32 v16, v19
	v_mov_b32_e32 v20, v17
	s_waitcnt vmcnt(0)
	v_and_b32_e32 v22, 0xffff0000, v21
	v_lshlrev_b32_e32 v18, 16, v21
	v_pk_mul_f32 v[16:17], v[16:17], v[22:23] op_sel_hi:[1,0]
	v_mov_b32_e32 v21, v18
	v_bfe_u32 v22, v16, 16, 1
	v_bfe_u32 v23, v17, 16, 1
	v_pk_mul_f32 v[18:19], v[20:21], v[18:19]
	v_add3_u32 v20, v17, v23, s11
	v_add3_u32 v21, v16, v22, s11
	v_bfe_u32 v22, v18, 16, 1
	v_bfe_u32 v23, v19, 16, 1
	v_and_b32_e32 v21, 0xffff0000, v21
	v_and_b32_e32 v20, 0xffff0000, v20
	v_add3_u32 v23, v19, v23, s11
	v_add3_u32 v22, v18, v22, s11
	v_cmp_o_f32_e32 vcc, v16, v16
	v_cmp_o_f32_e64 s[0:1], v17, v17
	v_and_b32_e32 v22, 0xffff0000, v22
	v_and_b32_e32 v23, 0xffff0000, v23
	v_cndmask_b32_e64 v17, v8, v20, s[0:1]
	v_cndmask_b32_e32 v16, v8, v21, vcc
	v_cmp_o_f32_e32 vcc, v18, v18
	v_cmp_o_f32_e64 s[0:1], v19, v19
	v_cndmask_b32_e64 v19, v8, v23, s[0:1]
	v_cndmask_b32_e32 v18, v8, v22, vcc
	v_pk_add_f32 v[20:21], v[18:19], v[16:17] neg_lo:[0,1] neg_hi:[0,1]
	v_pk_add_f32 v[16:17], v[18:19], v[16:17]
	v_bfe_u32 v16, v20, 16, 1
	v_bfe_u32 v18, v17, 16, 1
	v_add3_u32 v18, v17, v18, s11
	v_add3_u32 v16, v20, v16, s11
	v_lshrrev_b32_e32 v16, 16, v16
	v_lshrrev_b32_e32 v18, 16, v18
	v_cmp_o_f32_e32 vcc, v17, v17
	v_cmp_o_f32_e64 s[0:1], v20, v20
	v_cndmask_b32_e64 v16, v9, v16, s[0:1]
	v_cndmask_b32_e32 v17, v9, v18, vcc
	v_perm_b32 v16, v17, v16, s23
	global_store_dword v[14:15], v16, off
	global_store_dword v[12:13], v16, off
	s_andn2_b64 exec, exec, s[12:13]
	s_cbranch_execnz .LBB35_9
.LBB35_10:
	s_or_b64 exec, exec, s[34:35]
	v_cmp_gt_i32_e32 vcc, s10, v0
	s_and_saveexec_b64 s[0:1], vcc
	s_cbranch_execz .LBB35_13
; %bb.11:
	s_mul_i32 s0, s6, s15
	s_mul_hi_u32 s1, s6, s14
	s_add_i32 s1, s1, s0
	s_mul_i32 s0, s6, s14
	s_lshl_b64 s[0:1], s[0:1], 1
	s_add_u32 s6, s18, s0
	s_addc_u32 s11, s19, s1
	s_ashr_i32 s0, s8, 31
	s_mul_i32 s0, s28, s0
	s_add_i32 s0, s36, s0
	s_add_i32 s31, s0, s37
	s_lshl_b64 s[0:1], s[30:31], 1
	s_add_u32 s2, s2, s0
	s_addc_u32 s3, s3, s1
	s_ashr_i32 s0, s9, 31
	s_mul_i32 s33, s33, s0
	s_add_i32 s0, s29, s33
	s_load_dword s4, s[4:5], 0x8c
	s_add_i32 s25, s0, s7
	s_lshl_b64 s[0:1], s[24:25], 1
	s_add_u32 s2, s2, s0
	s_addc_u32 s5, s3, s1
	s_waitcnt lgkmcnt(0)
	s_and_b32 s3, s4, 0xffff
	s_mov_b64 s[0:1], 0
	v_mov_b32_e32 v2, s11
	v_mov_b32_e32 v3, s5
.LBB35_12:                              ; =>This Inner Loop Header: Depth=1
	v_ashrrev_i32_e32 v1, 31, v0
	v_lshlrev_b64 v[4:5], 1, v[0:1]
	v_add_co_u32_e32 v6, vcc, s6, v4
	v_addc_co_u32_e32 v7, vcc, v2, v5, vcc
	global_load_ushort v1, v[6:7], off
	v_add_co_u32_e32 v4, vcc, s2, v4
	v_addc_co_u32_e32 v5, vcc, v3, v5, vcc
	v_add_u32_e32 v0, s3, v0
	v_cmp_le_i32_e32 vcc, s10, v0
	s_or_b64 s[0:1], vcc, s[0:1]
	s_waitcnt vmcnt(0)
	global_store_short v[4:5], v1, off
	s_andn2_b64 exec, exec, s[0:1]
	s_cbranch_execnz .LBB35_12
.LBB35_13:
	s_endpgm
.LBB35_14:
                                        ; implicit-def: $sgpr28_sgpr29
	s_branch .LBB35_6
	.section	.rodata,"a",@progbits
	.p2align	6, 0x0
	.amdhsa_kernel _ZN4vllm38concat_and_cache_mla_rope_fused_kernelIN3c108BFloat16ES2_Lb0EttLNS_18Fp8KVCacheDataTypeE0EEEvPKlPT_S7_PKS6_PKT0_illlliPT3_S5_iiiiPKf
		.amdhsa_group_segment_fixed_size 0
		.amdhsa_private_segment_fixed_size 0
		.amdhsa_kernarg_size 384
		.amdhsa_user_sgpr_count 6
		.amdhsa_user_sgpr_private_segment_buffer 1
		.amdhsa_user_sgpr_dispatch_ptr 0
		.amdhsa_user_sgpr_queue_ptr 0
		.amdhsa_user_sgpr_kernarg_segment_ptr 1
		.amdhsa_user_sgpr_dispatch_id 0
		.amdhsa_user_sgpr_flat_scratch_init 0
		.amdhsa_user_sgpr_kernarg_preload_length 0
		.amdhsa_user_sgpr_kernarg_preload_offset 0
		.amdhsa_user_sgpr_private_segment_size 0
		.amdhsa_uses_dynamic_stack 0
		.amdhsa_system_sgpr_private_segment_wavefront_offset 0
		.amdhsa_system_sgpr_workgroup_id_x 1
		.amdhsa_system_sgpr_workgroup_id_y 0
		.amdhsa_system_sgpr_workgroup_id_z 0
		.amdhsa_system_sgpr_workgroup_info 0
		.amdhsa_system_vgpr_workitem_id 0
		.amdhsa_next_free_vgpr 24
		.amdhsa_next_free_sgpr 43
		.amdhsa_accum_offset 24
		.amdhsa_reserve_vcc 1
		.amdhsa_reserve_flat_scratch 0
		.amdhsa_float_round_mode_32 0
		.amdhsa_float_round_mode_16_64 0
		.amdhsa_float_denorm_mode_32 3
		.amdhsa_float_denorm_mode_16_64 3
		.amdhsa_dx10_clamp 1
		.amdhsa_ieee_mode 1
		.amdhsa_fp16_overflow 0
		.amdhsa_tg_split 0
		.amdhsa_exception_fp_ieee_invalid_op 0
		.amdhsa_exception_fp_denorm_src 0
		.amdhsa_exception_fp_ieee_div_zero 0
		.amdhsa_exception_fp_ieee_overflow 0
		.amdhsa_exception_fp_ieee_underflow 0
		.amdhsa_exception_fp_ieee_inexact 0
		.amdhsa_exception_int_div_zero 0
	.end_amdhsa_kernel
	.section	.text._ZN4vllm38concat_and_cache_mla_rope_fused_kernelIN3c108BFloat16ES2_Lb0EttLNS_18Fp8KVCacheDataTypeE0EEEvPKlPT_S7_PKS6_PKT0_illlliPT3_S5_iiiiPKf,"axG",@progbits,_ZN4vllm38concat_and_cache_mla_rope_fused_kernelIN3c108BFloat16ES2_Lb0EttLNS_18Fp8KVCacheDataTypeE0EEEvPKlPT_S7_PKS6_PKT0_illlliPT3_S5_iiiiPKf,comdat
.Lfunc_end35:
	.size	_ZN4vllm38concat_and_cache_mla_rope_fused_kernelIN3c108BFloat16ES2_Lb0EttLNS_18Fp8KVCacheDataTypeE0EEEvPKlPT_S7_PKS6_PKT0_illlliPT3_S5_iiiiPKf, .Lfunc_end35-_ZN4vllm38concat_and_cache_mla_rope_fused_kernelIN3c108BFloat16ES2_Lb0EttLNS_18Fp8KVCacheDataTypeE0EEEvPKlPT_S7_PKS6_PKT0_illlliPT3_S5_iiiiPKf
                                        ; -- End function
	.section	.AMDGPU.csdata,"",@progbits
; Kernel info:
; codeLenInByte = 2520
; NumSgprs: 47
; NumVgprs: 24
; NumAgprs: 0
; TotalNumVgprs: 24
; ScratchSize: 0
; MemoryBound: 0
; FloatMode: 240
; IeeeMode: 1
; LDSByteSize: 0 bytes/workgroup (compile time only)
; SGPRBlocks: 5
; VGPRBlocks: 2
; NumSGPRsForWavesPerEU: 47
; NumVGPRsForWavesPerEU: 24
; AccumOffset: 24
; Occupancy: 8
; WaveLimiterHint : 1
; COMPUTE_PGM_RSRC2:SCRATCH_EN: 0
; COMPUTE_PGM_RSRC2:USER_SGPR: 6
; COMPUTE_PGM_RSRC2:TRAP_HANDLER: 0
; COMPUTE_PGM_RSRC2:TGID_X_EN: 1
; COMPUTE_PGM_RSRC2:TGID_Y_EN: 0
; COMPUTE_PGM_RSRC2:TGID_Z_EN: 0
; COMPUTE_PGM_RSRC2:TIDIG_COMP_CNT: 0
; COMPUTE_PGM_RSRC3_GFX90A:ACCUM_OFFSET: 5
; COMPUTE_PGM_RSRC3_GFX90A:TG_SPLIT: 0
	.section	.text._ZN4vllm38concat_and_cache_mla_rope_fused_kernelIffLb1E14__hip_bfloat16S1_LNS_18Fp8KVCacheDataTypeE0EEEvPKlPT_S6_PKS5_PKT0_illlliPT3_S4_iiiiPKf,"axG",@progbits,_ZN4vllm38concat_and_cache_mla_rope_fused_kernelIffLb1E14__hip_bfloat16S1_LNS_18Fp8KVCacheDataTypeE0EEEvPKlPT_S6_PKS5_PKT0_illlliPT3_S4_iiiiPKf,comdat
	.protected	_ZN4vllm38concat_and_cache_mla_rope_fused_kernelIffLb1E14__hip_bfloat16S1_LNS_18Fp8KVCacheDataTypeE0EEEvPKlPT_S6_PKS5_PKT0_illlliPT3_S4_iiiiPKf ; -- Begin function _ZN4vllm38concat_and_cache_mla_rope_fused_kernelIffLb1E14__hip_bfloat16S1_LNS_18Fp8KVCacheDataTypeE0EEEvPKlPT_S6_PKS5_PKT0_illlliPT3_S4_iiiiPKf
	.globl	_ZN4vllm38concat_and_cache_mla_rope_fused_kernelIffLb1E14__hip_bfloat16S1_LNS_18Fp8KVCacheDataTypeE0EEEvPKlPT_S6_PKS5_PKT0_illlliPT3_S4_iiiiPKf
	.p2align	8
	.type	_ZN4vllm38concat_and_cache_mla_rope_fused_kernelIffLb1E14__hip_bfloat16S1_LNS_18Fp8KVCacheDataTypeE0EEEvPKlPT_S6_PKS5_PKT0_illlliPT3_S4_iiiiPKf,@function
_ZN4vllm38concat_and_cache_mla_rope_fused_kernelIffLb1E14__hip_bfloat16S1_LNS_18Fp8KVCacheDataTypeE0EEEvPKlPT_S6_PKS5_PKT0_illlliPT3_S4_iiiiPKf: ; @_ZN4vllm38concat_and_cache_mla_rope_fused_kernelIffLb1E14__hip_bfloat16S1_LNS_18Fp8KVCacheDataTypeE0EEEvPKlPT_S6_PKS5_PKT0_illlliPT3_S4_iiiiPKf
; %bb.0:
	s_load_dwordx2 s[2:3], s[4:5], 0x60
	s_mov_b32 s7, 0
	s_lshl_b64 s[0:1], s[6:7], 3
	s_waitcnt lgkmcnt(0)
	s_add_u32 s2, s2, s0
	s_addc_u32 s3, s3, s1
	s_load_dwordx2 s[30:31], s[2:3], 0x0
	s_waitcnt lgkmcnt(0)
	v_cmp_lt_i64_e64 s[2:3], s[30:31], 0
	s_and_b64 vcc, exec, s[2:3]
	s_cbranch_vccnz .LBB36_13
; %bb.1:
	s_load_dword s22, s[4:5], 0x28
	s_load_dwordx2 s[2:3], s[4:5], 0x0
	s_load_dwordx4 s[16:19], s[4:5], 0x10
	s_waitcnt lgkmcnt(0)
	s_ashr_i32 s7, s22, 31
	s_add_u32 s0, s2, s0
	s_addc_u32 s1, s3, s1
	s_load_dwordx2 s[20:21], s[0:1], 0x0
	s_load_dwordx2 s[2:3], s[4:5], 0x20
	s_load_dwordx8 s[8:15], s[4:5], 0x30
	s_load_dwordx2 s[24:25], s[4:5], 0x58
	s_load_dword s23, s[4:5], 0x50
	s_waitcnt lgkmcnt(0)
	s_mul_i32 s0, s20, s7
	s_mul_hi_u32 s1, s20, s22
	s_mul_i32 s7, s21, s22
	s_add_i32 s0, s1, s0
	s_add_i32 s1, s0, s7
	s_mul_i32 s0, s20, s22
	s_lshl_b64 s[28:29], s[0:1], 2
	s_add_u32 s7, s2, s28
	s_addc_u32 s33, s3, s29
	s_lshr_b32 s0, s22, 31
	s_add_i32 s22, s22, s0
	s_ashr_i32 s26, s22, 1
	s_mul_i32 s22, s26, s23
	v_cmp_gt_i32_e32 vcc, s22, v0
	s_and_saveexec_b64 s[0:1], vcc
	s_cbranch_execz .LBB36_4
; %bb.2:
	s_load_dwordx2 s[20:21], s[4:5], 0x8
	s_load_dword s35, s[4:5], 0x8c
	s_mul_i32 s9, s6, s9
	s_mul_hi_u32 s23, s6, s8
	s_add_i32 s9, s23, s9
	s_mul_i32 s8, s6, s8
	s_ashr_i32 s27, s26, 31
	s_lshl_b64 s[8:9], s[8:9], 2
	s_waitcnt lgkmcnt(0)
	s_add_u32 s23, s20, s8
	s_addc_u32 s37, s21, s9
	s_abs_i32 s34, s26
	v_cvt_f32_u32_e32 v1, s34
	s_sub_i32 s20, 0, s34
	s_mov_b64 s[8:9], 0
	s_and_b32 s35, s35, 0xffff
	v_rcp_iflag_f32_e32 v2, v1
	v_mov_b32_e32 v1, s33
	s_sub_i32 s36, 0, s26
	v_mov_b32_e32 v5, s37
	v_mul_f32_e32 v2, 0x4f7ffffe, v2
	v_cvt_u32_f32_e32 v2, v2
	v_mul_lo_u32 v3, s20, v2
	v_mul_hi_u32 v3, v2, v3
	s_lshl_b64 s[20:21], s[26:27], 2
	v_add_u32_e32 v3, v2, v3
	v_mov_b32_e32 v4, s21
	v_mov_b32_e32 v2, v0
.LBB36_3:                               ; =>This Inner Loop Header: Depth=1
	v_sub_u32_e32 v7, 0, v2
	v_max_i32_e32 v7, v2, v7
	v_mul_hi_u32 v8, v7, v3
	v_mul_lo_u32 v9, v8, s34
	v_sub_u32_e32 v7, v7, v9
	v_add_u32_e32 v10, 1, v8
	v_cmp_le_u32_e32 vcc, s34, v7
	v_subrev_u32_e32 v9, s34, v7
	v_cndmask_b32_e32 v8, v8, v10, vcc
	v_cndmask_b32_e32 v7, v7, v9, vcc
	v_ashrrev_i32_e32 v6, 31, v2
	v_add_u32_e32 v9, 1, v8
	v_cmp_le_u32_e32 vcc, s34, v7
	v_xor_b32_e32 v6, s27, v6
	v_cndmask_b32_e32 v7, v8, v9, vcc
	v_xor_b32_e32 v7, v7, v6
	v_sub_u32_e32 v8, v7, v6
	v_mad_u64_u32 v[6:7], s[38:39], s36, v8, v[2:3]
	v_ashrrev_i32_e32 v10, 31, v8
	v_ashrrev_i32_e32 v7, 31, v6
	v_mul_lo_u32 v11, v8, s11
	v_mad_u64_u32 v[8:9], s[38:39], v8, s10, 0
	v_mul_lo_u32 v10, v10, s10
	v_lshlrev_b64 v[6:7], 2, v[6:7]
	v_add3_u32 v9, v9, v11, v10
	v_add_co_u32_e32 v10, vcc, s7, v6
	v_addc_co_u32_e32 v11, vcc, v1, v7, vcc
	v_add_co_u32_e32 v12, vcc, s20, v10
	v_lshlrev_b64 v[8:9], 2, v[8:9]
	v_addc_co_u32_e32 v13, vcc, v11, v4, vcc
	v_add_co_u32_e32 v8, vcc, s23, v8
	v_addc_co_u32_e32 v9, vcc, v5, v9, vcc
	v_add_co_u32_e32 v6, vcc, v8, v6
	;; [unrolled: 2-line block ×3, first 2 shown]
	global_load_dword v14, v[10:11], off
	global_load_dword v15, v[12:13], off
	v_addc_co_u32_e32 v9, vcc, v7, v4, vcc
	global_load_dword v10, v[6:7], off
	global_load_dword v11, v[8:9], off
	v_add_u32_e32 v2, s35, v2
	v_cmp_le_i32_e32 vcc, s22, v2
	s_or_b64 s[8:9], vcc, s[8:9]
	s_waitcnt vmcnt(0)
	v_mul_f32_e32 v12, v15, v11
	v_mul_f32_e32 v11, v14, v11
	v_fma_f32 v12, v14, v10, -v12
	v_fmac_f32_e32 v11, v15, v10
	global_store_dword v[6:7], v12, off
	global_store_dword v[8:9], v11, off
	s_andn2_b64 exec, exec, s[8:9]
	s_cbranch_execnz .LBB36_3
.LBB36_4:
	s_or_b64 exec, exec, s[0:1]
	s_load_dwordx4 s[20:23], s[4:5], 0x68
	s_waitcnt lgkmcnt(0)
	s_ashr_i32 s9, s23, 31
	s_mov_b32 s8, s23
	s_or_b64 s[0:1], s[30:31], s[8:9]
	s_mov_b32 s0, 0
	s_cmp_lg_u64 s[0:1], 0
	s_cbranch_scc0 .LBB36_14
; %bb.5:
	s_add_u32 s0, s8, s9
	s_mov_b32 s10, s9
	s_mov_b32 s11, s9
	s_addc_u32 s1, s9, s9
	s_xor_b64 s[36:37], s[0:1], s[10:11]
	v_cvt_f32_u32_e32 v1, s36
	v_cvt_f32_u32_e32 v2, s37
	s_sub_u32 s0, 0, s36
	s_subb_u32 s1, 0, s37
	v_madmk_f32 v1, v2, 0x4f800000, v1
	v_rcp_f32_e32 v1, v1
	v_mul_f32_e32 v1, 0x5f7ffffc, v1
	v_mul_f32_e32 v2, 0x2f800000, v1
	v_trunc_f32_e32 v2, v2
	v_madmk_f32 v1, v2, 0xcf800000, v1
	v_cvt_u32_f32_e32 v2, v2
	v_cvt_u32_f32_e32 v1, v1
	v_readfirstlane_b32 s23, v2
	v_readfirstlane_b32 s27, v1
	s_mul_i32 s38, s0, s23
	s_mul_hi_u32 s40, s0, s27
	s_mul_i32 s39, s1, s27
	s_add_i32 s38, s40, s38
	s_add_i32 s38, s38, s39
	s_mul_i32 s41, s0, s27
	s_mul_hi_u32 s39, s27, s38
	s_mul_i32 s40, s27, s38
	s_mul_hi_u32 s27, s27, s41
	s_add_u32 s27, s27, s40
	s_addc_u32 s39, 0, s39
	s_mul_hi_u32 s42, s23, s41
	s_mul_i32 s41, s23, s41
	s_add_u32 s27, s27, s41
	s_mul_hi_u32 s40, s23, s38
	s_addc_u32 s27, s39, s42
	s_addc_u32 s39, s40, 0
	s_mul_i32 s38, s23, s38
	s_add_u32 s27, s27, s38
	s_addc_u32 s38, 0, s39
	v_add_co_u32_e32 v1, vcc, s27, v1
	s_cmp_lg_u64 vcc, 0
	s_addc_u32 s23, s23, s38
	v_readfirstlane_b32 s38, v1
	s_mul_i32 s27, s0, s23
	s_mul_hi_u32 s39, s0, s38
	s_add_i32 s27, s39, s27
	s_mul_i32 s1, s1, s38
	s_add_i32 s27, s27, s1
	s_mul_i32 s0, s0, s38
	s_mul_hi_u32 s39, s23, s0
	s_mul_i32 s40, s23, s0
	s_mul_i32 s42, s38, s27
	s_mul_hi_u32 s0, s38, s0
	s_mul_hi_u32 s41, s38, s27
	s_add_u32 s0, s0, s42
	s_addc_u32 s38, 0, s41
	s_add_u32 s0, s0, s40
	s_mul_hi_u32 s1, s23, s27
	s_addc_u32 s0, s38, s39
	s_addc_u32 s1, s1, 0
	s_mul_i32 s27, s23, s27
	s_add_u32 s0, s0, s27
	s_addc_u32 s1, 0, s1
	v_add_co_u32_e32 v1, vcc, s0, v1
	s_cmp_lg_u64 vcc, 0
	s_addc_u32 s23, s23, s1
	s_ashr_i32 s38, s31, 31
	s_add_u32 s0, s30, s38
	s_mov_b32 s39, s38
	s_addc_u32 s1, s31, s38
	s_xor_b64 s[40:41], s[0:1], s[38:39]
	v_readfirstlane_b32 s27, v1
	s_mul_i32 s1, s40, s23
	s_mul_hi_u32 s42, s40, s27
	s_mul_hi_u32 s0, s40, s23
	s_add_u32 s1, s42, s1
	s_addc_u32 s0, 0, s0
	s_mul_hi_u32 s43, s41, s27
	s_mul_i32 s27, s41, s27
	s_add_u32 s1, s1, s27
	s_mul_hi_u32 s42, s41, s23
	s_addc_u32 s0, s0, s43
	s_addc_u32 s1, s42, 0
	s_mul_i32 s23, s41, s23
	s_add_u32 s23, s0, s23
	s_addc_u32 s27, 0, s1
	s_mul_i32 s0, s36, s27
	s_mul_hi_u32 s1, s36, s23
	s_add_i32 s0, s1, s0
	s_mul_i32 s1, s37, s23
	s_add_i32 s42, s0, s1
	s_mul_i32 s1, s36, s23
	v_mov_b32_e32 v1, s1
	s_sub_i32 s0, s41, s42
	v_sub_co_u32_e32 v1, vcc, s40, v1
	s_cmp_lg_u64 vcc, 0
	s_subb_u32 s40, s0, s37
	v_subrev_co_u32_e64 v2, s[0:1], s36, v1
	s_cmp_lg_u64 s[0:1], 0
	s_subb_u32 s0, s40, 0
	s_cmp_ge_u32 s0, s37
	v_readfirstlane_b32 s40, v2
	s_cselect_b32 s1, -1, 0
	s_cmp_ge_u32 s40, s36
	s_cselect_b32 s40, -1, 0
	s_cmp_eq_u32 s0, s37
	s_cselect_b32 s0, s40, s1
	s_add_u32 s1, s23, 1
	s_addc_u32 s40, s27, 0
	s_add_u32 s43, s23, 2
	s_addc_u32 s44, s27, 0
	s_cmp_lg_u32 s0, 0
	s_cselect_b32 s0, s43, s1
	s_cselect_b32 s1, s44, s40
	s_cmp_lg_u64 vcc, 0
	s_subb_u32 s40, s41, s42
	s_cmp_ge_u32 s40, s37
	v_readfirstlane_b32 s42, v1
	s_cselect_b32 s41, -1, 0
	s_cmp_ge_u32 s42, s36
	s_cselect_b32 s36, -1, 0
	s_cmp_eq_u32 s40, s37
	s_cselect_b32 s36, s36, s41
	s_cmp_lg_u32 s36, 0
	s_cselect_b32 s1, s1, s27
	s_cselect_b32 s0, s0, s23
	s_xor_b64 s[10:11], s[38:39], s[10:11]
	s_xor_b64 s[0:1], s[0:1], s[10:11]
	s_sub_u32 s10, s0, s10
	s_subb_u32 s11, s1, s11
	s_cbranch_execnz .LBB36_7
.LBB36_6:
	v_cvt_f32_u32_e32 v1, s8
	s_sub_i32 s0, 0, s8
	s_mov_b32 s11, 0
	v_rcp_iflag_f32_e32 v1, v1
	v_mul_f32_e32 v1, 0x4f7ffffe, v1
	v_cvt_u32_f32_e32 v1, v1
	v_readfirstlane_b32 s1, v1
	s_mul_i32 s0, s0, s1
	s_mul_hi_u32 s0, s1, s0
	s_add_i32 s1, s1, s0
	s_mul_hi_u32 s0, s30, s1
	s_mul_i32 s10, s0, s8
	s_sub_i32 s10, s30, s10
	s_add_i32 s1, s0, 1
	s_sub_i32 s23, s10, s8
	s_cmp_ge_u32 s10, s8
	s_cselect_b32 s0, s1, s0
	s_cselect_b32 s10, s23, s10
	s_add_i32 s1, s0, 1
	s_cmp_ge_u32 s10, s8
	s_cselect_b32 s10, s1, s0
.LBB36_7:
	s_mul_i32 s0, s10, s9
	s_mul_hi_u32 s1, s10, s8
	s_add_i32 s0, s1, s0
	s_mul_i32 s1, s11, s8
	s_add_i32 s0, s0, s1
	s_mul_i32 s1, s10, s8
	s_sub_u32 s38, s30, s1
	s_subb_u32 s0, s31, s0
	v_cmp_gt_i32_e32 vcc, s26, v0
	s_mul_hi_u32 s40, s10, s20
	s_mul_i32 s41, s11, s20
	s_mul_i32 s34, s10, s20
	s_mul_hi_u32 s39, s38, s21
	s_mul_i32 s11, s0, s21
	s_mul_i32 s30, s38, s21
	s_and_saveexec_b64 s[36:37], vcc
	s_cbranch_execz .LBB36_10
; %bb.8:
	s_load_dword s8, s[4:5], 0x8c
	s_mul_i32 s0, s6, s13
	s_mul_hi_u32 s1, s6, s12
	s_add_i32 s1, s1, s0
	s_mul_i32 s0, s6, s12
	s_ashr_i32 s27, s26, 31
	s_lshl_b64 s[0:1], s[0:1], 2
	s_add_u32 s42, s16, s0
	s_addc_u32 s43, s17, s1
	s_waitcnt lgkmcnt(0)
	s_and_b32 s44, s8, 0xffff
	s_ashr_i32 s31, s20, 31
	s_ashr_i32 s48, s21, 31
	s_ashr_i32 s23, s22, 31
	s_lshl_b32 s45, s44, 2
	s_lshl_b64 s[8:9], s[26:27], 2
	s_add_u32 s12, s28, s8
	s_addc_u32 s13, s29, s9
	s_add_u32 s28, s2, s12
	s_addc_u32 s29, s3, s13
	;; [unrolled: 2-line block ×3, first 2 shown]
	s_add_u32 s46, s16, s0
	s_mul_i32 s0, s10, s31
	s_mul_i32 s2, s38, s48
	s_addc_u32 s47, s17, s1
	s_add_i32 s0, s40, s0
	s_add_i32 s2, s39, s2
	;; [unrolled: 1-line block ×4, first 2 shown]
	s_lshl_b64 s[12:13], s[26:27], 1
	s_lshl_b64 s[0:1], s[34:35], 1
	;; [unrolled: 1-line block ×3, first 2 shown]
	s_add_u32 s2, s0, s2
	s_addc_u32 s3, s1, s3
	s_lshl_b64 s[0:1], s[22:23], 1
	s_add_u32 s0, s2, s0
	s_addc_u32 s1, s3, s1
	s_add_u32 s0, s24, s0
	v_lshlrev_b32_e32 v1, 1, v0
	s_addc_u32 s1, s25, s1
	s_mov_b32 s49, 0
	v_mov_b32_e32 v3, s1
	v_add_co_u32_e32 v4, vcc, s0, v1
	v_lshlrev_b32_e32 v2, 2, v0
	v_addc_co_u32_e32 v5, vcc, 0, v3, vcc
	s_lshl_b32 s23, s44, 1
	s_mov_b64 s[16:17], 0
	v_mov_b32_e32 v1, s13
	v_mov_b32_e32 v3, s49
	;; [unrolled: 1-line block ×3, first 2 shown]
.LBB36_9:                               ; =>This Inner Loop Header: Depth=1
	v_mov_b32_e32 v9, s29
	v_add_co_u32_e32 v8, vcc, s28, v2
	v_mov_b32_e32 v7, s33
	v_mov_b32_e32 v11, s43
	v_add_co_u32_e64 v10, s[0:1], s42, v2
	v_mov_b32_e32 v13, s47
	v_add_co_u32_e64 v12, s[2:3], s46, v2
	v_add_co_u32_e64 v14, s[8:9], s7, v2
	v_addc_co_u32_e32 v9, vcc, 0, v9, vcc
	v_addc_co_u32_e64 v15, s[8:9], 0, v7, s[8:9]
	v_addc_co_u32_e64 v11, vcc, 0, v11, s[0:1]
	v_addc_co_u32_e64 v13, vcc, 0, v13, s[2:3]
	global_load_dword v7, v[8:9], off
	global_load_dword v16, v[12:13], off
	;; [unrolled: 1-line block ×4, first 2 shown]
	s_add_u32 s7, s7, s45
	s_addc_u32 s33, s33, 0
	s_add_u32 s28, s28, s45
	s_addc_u32 s29, s29, 0
	s_add_u32 s46, s46, s45
	v_add_co_u32_e32 v8, vcc, s12, v4
	s_addc_u32 s47, s47, 0
	v_addc_co_u32_e32 v9, vcc, v5, v1, vcc
	v_add_u32_e32 v6, s44, v6
	s_add_u32 s42, s42, s45
	v_cmp_le_i32_e32 vcc, s26, v6
	s_addc_u32 s43, s43, 0
	s_or_b64 s[16:17], vcc, s[16:17]
	s_waitcnt vmcnt(2)
	v_mul_f32_e32 v14, v7, v16
	s_waitcnt vmcnt(1)
	v_mul_f32_e32 v15, v17, v16
	s_waitcnt vmcnt(0)
	v_fma_f32 v14, v17, v18, -v14
	v_fmac_f32_e32 v15, v7, v18
	global_store_dword v[10:11], v14, off
	global_store_dword v[12:13], v15, off
	global_store_short v[4:5], v14, off
	global_store_short v[8:9], v15, off
	v_add_co_u32_e32 v4, vcc, s23, v4
	v_addc_co_u32_e32 v5, vcc, v5, v3, vcc
	s_andn2_b64 exec, exec, s[16:17]
	s_cbranch_execnz .LBB36_9
.LBB36_10:
	s_or_b64 exec, exec, s[36:37]
	v_cmp_gt_i32_e32 vcc, s22, v0
	s_and_saveexec_b64 s[0:1], vcc
	s_cbranch_execz .LBB36_13
; %bb.11:
	s_mul_i32 s0, s6, s15
	s_mul_hi_u32 s1, s6, s14
	s_add_i32 s1, s1, s0
	s_mul_i32 s0, s6, s14
	s_lshl_b64 s[0:1], s[0:1], 2
	s_add_u32 s2, s18, s0
	s_addc_u32 s6, s19, s1
	s_ashr_i32 s0, s20, 31
	s_mul_i32 s0, s10, s0
	s_add_i32 s0, s40, s0
	s_add_i32 s35, s0, s41
	s_lshl_b64 s[0:1], s[34:35], 1
	s_add_u32 s3, s24, s0
	s_addc_u32 s7, s25, s1
	s_ashr_i32 s0, s21, 31
	s_mul_i32 s38, s38, s0
	s_add_i32 s0, s39, s38
	s_load_dword s4, s[4:5], 0x8c
	s_add_i32 s31, s0, s11
	s_lshl_b64 s[0:1], s[30:31], 1
	s_add_u32 s3, s3, s0
	s_addc_u32 s5, s7, s1
	s_waitcnt lgkmcnt(0)
	s_and_b32 s4, s4, 0xffff
	s_mov_b64 s[0:1], 0
	v_mov_b32_e32 v2, s6
	v_mov_b32_e32 v3, s5
.LBB36_12:                              ; =>This Inner Loop Header: Depth=1
	v_ashrrev_i32_e32 v1, 31, v0
	v_lshlrev_b64 v[4:5], 2, v[0:1]
	v_add_co_u32_e32 v4, vcc, s2, v4
	v_addc_co_u32_e32 v5, vcc, v2, v5, vcc
	global_load_ushort v6, v[4:5], off
	v_lshlrev_b64 v[4:5], 1, v[0:1]
	v_add_co_u32_e32 v4, vcc, s3, v4
	v_addc_co_u32_e32 v5, vcc, v3, v5, vcc
	v_add_u32_e32 v0, s4, v0
	v_cmp_le_i32_e32 vcc, s22, v0
	s_or_b64 s[0:1], vcc, s[0:1]
	s_waitcnt vmcnt(0)
	global_store_short v[4:5], v6, off
	s_andn2_b64 exec, exec, s[0:1]
	s_cbranch_execnz .LBB36_12
.LBB36_13:
	s_endpgm
.LBB36_14:
                                        ; implicit-def: $sgpr10_sgpr11
	s_branch .LBB36_6
	.section	.rodata,"a",@progbits
	.p2align	6, 0x0
	.amdhsa_kernel _ZN4vllm38concat_and_cache_mla_rope_fused_kernelIffLb1E14__hip_bfloat16S1_LNS_18Fp8KVCacheDataTypeE0EEEvPKlPT_S6_PKS5_PKT0_illlliPT3_S4_iiiiPKf
		.amdhsa_group_segment_fixed_size 0
		.amdhsa_private_segment_fixed_size 0
		.amdhsa_kernarg_size 384
		.amdhsa_user_sgpr_count 6
		.amdhsa_user_sgpr_private_segment_buffer 1
		.amdhsa_user_sgpr_dispatch_ptr 0
		.amdhsa_user_sgpr_queue_ptr 0
		.amdhsa_user_sgpr_kernarg_segment_ptr 1
		.amdhsa_user_sgpr_dispatch_id 0
		.amdhsa_user_sgpr_flat_scratch_init 0
		.amdhsa_user_sgpr_kernarg_preload_length 0
		.amdhsa_user_sgpr_kernarg_preload_offset 0
		.amdhsa_user_sgpr_private_segment_size 0
		.amdhsa_uses_dynamic_stack 0
		.amdhsa_system_sgpr_private_segment_wavefront_offset 0
		.amdhsa_system_sgpr_workgroup_id_x 1
		.amdhsa_system_sgpr_workgroup_id_y 0
		.amdhsa_system_sgpr_workgroup_id_z 0
		.amdhsa_system_sgpr_workgroup_info 0
		.amdhsa_system_vgpr_workitem_id 0
		.amdhsa_next_free_vgpr 19
		.amdhsa_next_free_sgpr 50
		.amdhsa_accum_offset 20
		.amdhsa_reserve_vcc 1
		.amdhsa_reserve_flat_scratch 0
		.amdhsa_float_round_mode_32 0
		.amdhsa_float_round_mode_16_64 0
		.amdhsa_float_denorm_mode_32 3
		.amdhsa_float_denorm_mode_16_64 3
		.amdhsa_dx10_clamp 1
		.amdhsa_ieee_mode 1
		.amdhsa_fp16_overflow 0
		.amdhsa_tg_split 0
		.amdhsa_exception_fp_ieee_invalid_op 0
		.amdhsa_exception_fp_denorm_src 0
		.amdhsa_exception_fp_ieee_div_zero 0
		.amdhsa_exception_fp_ieee_overflow 0
		.amdhsa_exception_fp_ieee_underflow 0
		.amdhsa_exception_fp_ieee_inexact 0
		.amdhsa_exception_int_div_zero 0
	.end_amdhsa_kernel
	.section	.text._ZN4vllm38concat_and_cache_mla_rope_fused_kernelIffLb1E14__hip_bfloat16S1_LNS_18Fp8KVCacheDataTypeE0EEEvPKlPT_S6_PKS5_PKT0_illlliPT3_S4_iiiiPKf,"axG",@progbits,_ZN4vllm38concat_and_cache_mla_rope_fused_kernelIffLb1E14__hip_bfloat16S1_LNS_18Fp8KVCacheDataTypeE0EEEvPKlPT_S6_PKS5_PKT0_illlliPT3_S4_iiiiPKf,comdat
.Lfunc_end36:
	.size	_ZN4vllm38concat_and_cache_mla_rope_fused_kernelIffLb1E14__hip_bfloat16S1_LNS_18Fp8KVCacheDataTypeE0EEEvPKlPT_S6_PKS5_PKT0_illlliPT3_S4_iiiiPKf, .Lfunc_end36-_ZN4vllm38concat_and_cache_mla_rope_fused_kernelIffLb1E14__hip_bfloat16S1_LNS_18Fp8KVCacheDataTypeE0EEEvPKlPT_S6_PKS5_PKT0_illlliPT3_S4_iiiiPKf
                                        ; -- End function
	.section	.AMDGPU.csdata,"",@progbits
; Kernel info:
; codeLenInByte = 2024
; NumSgprs: 54
; NumVgprs: 19
; NumAgprs: 0
; TotalNumVgprs: 19
; ScratchSize: 0
; MemoryBound: 0
; FloatMode: 240
; IeeeMode: 1
; LDSByteSize: 0 bytes/workgroup (compile time only)
; SGPRBlocks: 6
; VGPRBlocks: 2
; NumSGPRsForWavesPerEU: 54
; NumVGPRsForWavesPerEU: 19
; AccumOffset: 20
; Occupancy: 8
; WaveLimiterHint : 1
; COMPUTE_PGM_RSRC2:SCRATCH_EN: 0
; COMPUTE_PGM_RSRC2:USER_SGPR: 6
; COMPUTE_PGM_RSRC2:TRAP_HANDLER: 0
; COMPUTE_PGM_RSRC2:TGID_X_EN: 1
; COMPUTE_PGM_RSRC2:TGID_Y_EN: 0
; COMPUTE_PGM_RSRC2:TGID_Z_EN: 0
; COMPUTE_PGM_RSRC2:TIDIG_COMP_CNT: 0
; COMPUTE_PGM_RSRC3_GFX90A:ACCUM_OFFSET: 4
; COMPUTE_PGM_RSRC3_GFX90A:TG_SPLIT: 0
	.section	.text._ZN4vllm38concat_and_cache_mla_rope_fused_kernelIffLb0E14__hip_bfloat16S1_LNS_18Fp8KVCacheDataTypeE0EEEvPKlPT_S6_PKS5_PKT0_illlliPT3_S4_iiiiPKf,"axG",@progbits,_ZN4vllm38concat_and_cache_mla_rope_fused_kernelIffLb0E14__hip_bfloat16S1_LNS_18Fp8KVCacheDataTypeE0EEEvPKlPT_S6_PKS5_PKT0_illlliPT3_S4_iiiiPKf,comdat
	.protected	_ZN4vllm38concat_and_cache_mla_rope_fused_kernelIffLb0E14__hip_bfloat16S1_LNS_18Fp8KVCacheDataTypeE0EEEvPKlPT_S6_PKS5_PKT0_illlliPT3_S4_iiiiPKf ; -- Begin function _ZN4vllm38concat_and_cache_mla_rope_fused_kernelIffLb0E14__hip_bfloat16S1_LNS_18Fp8KVCacheDataTypeE0EEEvPKlPT_S6_PKS5_PKT0_illlliPT3_S4_iiiiPKf
	.globl	_ZN4vllm38concat_and_cache_mla_rope_fused_kernelIffLb0E14__hip_bfloat16S1_LNS_18Fp8KVCacheDataTypeE0EEEvPKlPT_S6_PKS5_PKT0_illlliPT3_S4_iiiiPKf
	.p2align	8
	.type	_ZN4vllm38concat_and_cache_mla_rope_fused_kernelIffLb0E14__hip_bfloat16S1_LNS_18Fp8KVCacheDataTypeE0EEEvPKlPT_S6_PKS5_PKT0_illlliPT3_S4_iiiiPKf,@function
_ZN4vllm38concat_and_cache_mla_rope_fused_kernelIffLb0E14__hip_bfloat16S1_LNS_18Fp8KVCacheDataTypeE0EEEvPKlPT_S6_PKS5_PKT0_illlliPT3_S4_iiiiPKf: ; @_ZN4vllm38concat_and_cache_mla_rope_fused_kernelIffLb0E14__hip_bfloat16S1_LNS_18Fp8KVCacheDataTypeE0EEEvPKlPT_S6_PKS5_PKT0_illlliPT3_S4_iiiiPKf
; %bb.0:
	s_load_dwordx2 s[2:3], s[4:5], 0x60
	s_mov_b32 s7, 0
	s_lshl_b64 s[0:1], s[6:7], 3
	s_waitcnt lgkmcnt(0)
	s_add_u32 s2, s2, s0
	s_addc_u32 s3, s3, s1
	s_load_dwordx2 s[24:25], s[2:3], 0x0
	s_waitcnt lgkmcnt(0)
	v_cmp_lt_i64_e64 s[2:3], s[24:25], 0
	s_and_b64 vcc, exec, s[2:3]
	s_cbranch_vccnz .LBB37_13
; %bb.1:
	s_load_dword s7, s[4:5], 0x28
	s_load_dwordx2 s[2:3], s[4:5], 0x0
	s_load_dwordx4 s[16:19], s[4:5], 0x10
	s_waitcnt lgkmcnt(0)
	s_ashr_i32 s26, s7, 31
	s_add_u32 s0, s2, s0
	s_addc_u32 s1, s3, s1
	s_load_dwordx2 s[20:21], s[0:1], 0x0
	s_load_dwordx2 s[22:23], s[4:5], 0x20
	s_load_dwordx8 s[8:15], s[4:5], 0x30
	s_load_dwordx2 s[2:3], s[4:5], 0x58
	s_load_dword s28, s[4:5], 0x50
	s_waitcnt lgkmcnt(0)
	s_mul_i32 s0, s20, s26
	s_mul_hi_u32 s1, s20, s7
	s_mul_i32 s21, s21, s7
	s_add_i32 s0, s1, s0
	s_add_i32 s27, s0, s21
	s_lshr_b32 s0, s7, 31
	s_mul_i32 s26, s20, s7
	s_add_i32 s7, s7, s0
	s_ashr_i32 s20, s7, 1
	s_mul_i32 s7, s20, s28
	v_cmp_gt_i32_e32 vcc, s7, v0
	s_and_saveexec_b64 s[0:1], vcc
	s_cbranch_execz .LBB37_4
; %bb.2:
	s_lshl_b64 s[28:29], s[26:27], 2
	s_add_u32 s30, s22, s28
	s_addc_u32 s38, s23, s29
	s_load_dwordx2 s[28:29], s[4:5], 0x8
	s_load_dword s34, s[4:5], 0x8c
	s_mul_i32 s9, s6, s9
	s_mul_hi_u32 s31, s6, s8
	s_add_i32 s9, s31, s9
	s_mul_i32 s8, s6, s8
	s_ashr_i32 s21, s20, 31
	s_lshl_b64 s[8:9], s[8:9], 2
	s_waitcnt lgkmcnt(0)
	s_add_u32 s31, s28, s8
	s_addc_u32 s39, s29, s9
	s_abs_i32 s33, s20
	v_cvt_f32_u32_e32 v1, s33
	s_sub_i32 s8, 0, s33
	s_and_b32 s34, s34, 0xffff
	s_lshl_b64 s[28:29], s[20:21], 2
	v_rcp_iflag_f32_e32 v1, v1
	s_sub_i32 s35, 0, s20
	s_lshl_b32 s37, s34, 1
	v_mov_b32_e32 v3, s38
	v_mul_f32_e32 v1, 0x4f7ffffe, v1
	v_cvt_u32_f32_e32 v1, v1
	v_mov_b32_e32 v5, s29
	v_mov_b32_e32 v6, s39
	;; [unrolled: 1-line block ×3, first 2 shown]
	v_mul_lo_u32 v2, s8, v1
	v_mul_hi_u32 v2, v1, v2
	s_lshl_b32 s8, s20, 1
	v_add_u32_e32 v1, v1, v2
	s_sub_i32 s36, 0, s8
	v_lshlrev_b32_e32 v2, 1, v0
	s_mov_b64 s[8:9], 0
.LBB37_3:                               ; =>This Inner Loop Header: Depth=1
	v_sub_u32_e32 v8, 0, v4
	v_max_i32_e32 v8, v4, v8
	v_mul_hi_u32 v9, v8, v1
	v_mul_lo_u32 v10, v9, s33
	v_sub_u32_e32 v8, v8, v10
	v_add_u32_e32 v11, 1, v9
	v_cmp_le_u32_e32 vcc, s33, v8
	v_subrev_u32_e32 v10, s33, v8
	v_cndmask_b32_e32 v9, v9, v11, vcc
	v_cndmask_b32_e32 v8, v8, v10, vcc
	v_ashrrev_i32_e32 v7, 31, v4
	v_add_u32_e32 v10, 1, v9
	v_cmp_le_u32_e32 vcc, s33, v8
	v_xor_b32_e32 v7, s21, v7
	v_cndmask_b32_e32 v8, v9, v10, vcc
	v_xor_b32_e32 v8, v8, v7
	v_sub_u32_e32 v7, v8, v7
	v_mad_u64_u32 v[8:9], s[38:39], s35, v7, v[4:5]
	v_ashrrev_i32_e32 v9, 31, v8
	v_lshlrev_b64 v[8:9], 2, v[8:9]
	v_ashrrev_i32_e32 v14, 31, v7
	v_add_co_u32_e32 v8, vcc, s30, v8
	v_mul_lo_u32 v15, v7, s11
	v_mad_u64_u32 v[10:11], s[38:39], v7, s10, 0
	v_mad_u64_u32 v[12:13], s[38:39], s36, v7, v[2:3]
	v_mul_lo_u32 v7, v14, s10
	v_addc_co_u32_e32 v9, vcc, v3, v9, vcc
	v_add3_u32 v11, v11, v15, v7
	v_add_co_u32_e32 v14, vcc, s28, v8
	v_lshlrev_b64 v[10:11], 2, v[10:11]
	v_addc_co_u32_e32 v15, vcc, v9, v5, vcc
	v_ashrrev_i32_e32 v13, 31, v12
	v_add_co_u32_e32 v7, vcc, s31, v10
	v_lshlrev_b64 v[12:13], 2, v[12:13]
	v_addc_co_u32_e32 v10, vcc, v6, v11, vcc
	global_load_dword v16, v[8:9], off
	global_load_dword v17, v[14:15], off
	v_add_co_u32_e32 v8, vcc, v7, v12
	v_addc_co_u32_e32 v9, vcc, v10, v13, vcc
	global_load_dwordx2 v[10:11], v[8:9], off
	v_add_u32_e32 v4, s34, v4
	v_cmp_le_i32_e32 vcc, s7, v4
	v_add_u32_e32 v2, s37, v2
	s_or_b64 s[8:9], vcc, s[8:9]
	s_waitcnt vmcnt(0)
	v_mul_f32_e32 v7, v17, v11
	v_mul_f32_e32 v13, v16, v11
	v_fma_f32 v12, v16, v10, -v7
	v_fmac_f32_e32 v13, v17, v10
	global_store_dwordx2 v[8:9], v[12:13], off
	s_andn2_b64 exec, exec, s[8:9]
	s_cbranch_execnz .LBB37_3
.LBB37_4:
	s_or_b64 exec, exec, s[0:1]
	s_load_dwordx4 s[8:11], s[4:5], 0x68
	s_waitcnt lgkmcnt(0)
	s_ashr_i32 s29, s11, 31
	s_mov_b32 s28, s11
	s_or_b64 s[0:1], s[24:25], s[28:29]
	s_mov_b32 s0, 0
	s_cmp_lg_u64 s[0:1], 0
	s_cbranch_scc0 .LBB37_14
; %bb.5:
	s_add_u32 s0, s28, s29
	s_mov_b32 s34, s29
	s_mov_b32 s35, s29
	s_addc_u32 s1, s29, s29
	s_xor_b64 s[36:37], s[0:1], s[34:35]
	v_cvt_f32_u32_e32 v1, s36
	v_cvt_f32_u32_e32 v2, s37
	s_sub_u32 s0, 0, s36
	s_subb_u32 s1, 0, s37
	v_madmk_f32 v1, v2, 0x4f800000, v1
	v_rcp_f32_e32 v1, v1
	v_mul_f32_e32 v1, 0x5f7ffffc, v1
	v_mul_f32_e32 v2, 0x2f800000, v1
	v_trunc_f32_e32 v2, v2
	v_madmk_f32 v1, v2, 0xcf800000, v1
	v_cvt_u32_f32_e32 v2, v2
	v_cvt_u32_f32_e32 v1, v1
	v_readfirstlane_b32 s7, v2
	v_readfirstlane_b32 s11, v1
	s_mul_i32 s21, s0, s7
	s_mul_hi_u32 s38, s0, s11
	s_mul_i32 s33, s1, s11
	s_add_i32 s21, s38, s21
	s_add_i32 s21, s21, s33
	s_mul_i32 s39, s0, s11
	s_mul_hi_u32 s33, s11, s21
	s_mul_i32 s38, s11, s21
	s_mul_hi_u32 s11, s11, s39
	s_add_u32 s11, s11, s38
	s_addc_u32 s33, 0, s33
	s_mul_hi_u32 s40, s7, s39
	s_mul_i32 s39, s7, s39
	s_add_u32 s11, s11, s39
	s_mul_hi_u32 s38, s7, s21
	s_addc_u32 s11, s33, s40
	s_addc_u32 s33, s38, 0
	s_mul_i32 s21, s7, s21
	s_add_u32 s11, s11, s21
	s_addc_u32 s21, 0, s33
	v_add_co_u32_e32 v1, vcc, s11, v1
	s_cmp_lg_u64 vcc, 0
	s_addc_u32 s7, s7, s21
	v_readfirstlane_b32 s21, v1
	s_mul_i32 s11, s0, s7
	s_mul_hi_u32 s33, s0, s21
	s_add_i32 s11, s33, s11
	s_mul_i32 s1, s1, s21
	s_add_i32 s11, s11, s1
	s_mul_i32 s0, s0, s21
	s_mul_hi_u32 s33, s7, s0
	s_mul_i32 s38, s7, s0
	s_mul_i32 s40, s21, s11
	s_mul_hi_u32 s0, s21, s0
	s_mul_hi_u32 s39, s21, s11
	s_add_u32 s0, s0, s40
	s_addc_u32 s21, 0, s39
	s_add_u32 s0, s0, s38
	s_mul_hi_u32 s1, s7, s11
	s_addc_u32 s0, s21, s33
	s_addc_u32 s1, s1, 0
	s_mul_i32 s11, s7, s11
	s_add_u32 s0, s0, s11
	s_addc_u32 s1, 0, s1
	v_add_co_u32_e32 v1, vcc, s0, v1
	s_cmp_lg_u64 vcc, 0
	s_addc_u32 s7, s7, s1
	s_ashr_i32 s38, s25, 31
	s_add_u32 s0, s24, s38
	s_mov_b32 s39, s38
	s_addc_u32 s1, s25, s38
	s_xor_b64 s[40:41], s[0:1], s[38:39]
	v_readfirstlane_b32 s11, v1
	s_mul_i32 s1, s40, s7
	s_mul_hi_u32 s21, s40, s11
	s_mul_hi_u32 s0, s40, s7
	s_add_u32 s1, s21, s1
	s_addc_u32 s0, 0, s0
	s_mul_hi_u32 s33, s41, s11
	s_mul_i32 s11, s41, s11
	s_add_u32 s1, s1, s11
	s_mul_hi_u32 s21, s41, s7
	s_addc_u32 s0, s0, s33
	s_addc_u32 s1, s21, 0
	s_mul_i32 s7, s41, s7
	s_add_u32 s7, s0, s7
	s_addc_u32 s11, 0, s1
	s_mul_i32 s0, s36, s11
	s_mul_hi_u32 s1, s36, s7
	s_add_i32 s0, s1, s0
	s_mul_i32 s1, s37, s7
	s_add_i32 s21, s0, s1
	s_mul_i32 s1, s36, s7
	v_mov_b32_e32 v1, s1
	s_sub_i32 s0, s41, s21
	v_sub_co_u32_e32 v1, vcc, s40, v1
	s_cmp_lg_u64 vcc, 0
	s_subb_u32 s33, s0, s37
	v_subrev_co_u32_e64 v2, s[0:1], s36, v1
	s_cmp_lg_u64 s[0:1], 0
	s_subb_u32 s0, s33, 0
	s_cmp_ge_u32 s0, s37
	v_readfirstlane_b32 s33, v2
	s_cselect_b32 s1, -1, 0
	s_cmp_ge_u32 s33, s36
	s_cselect_b32 s33, -1, 0
	s_cmp_eq_u32 s0, s37
	s_cselect_b32 s0, s33, s1
	s_add_u32 s1, s7, 1
	s_addc_u32 s33, s11, 0
	s_add_u32 s40, s7, 2
	s_addc_u32 s42, s11, 0
	s_cmp_lg_u32 s0, 0
	s_cselect_b32 s0, s40, s1
	s_cselect_b32 s1, s42, s33
	s_cmp_lg_u64 vcc, 0
	s_subb_u32 s21, s41, s21
	s_cmp_ge_u32 s21, s37
	v_readfirstlane_b32 s40, v1
	s_cselect_b32 s33, -1, 0
	s_cmp_ge_u32 s40, s36
	s_cselect_b32 s36, -1, 0
	s_cmp_eq_u32 s21, s37
	s_cselect_b32 s21, s36, s33
	s_cmp_lg_u32 s21, 0
	s_cselect_b32 s1, s1, s11
	s_cselect_b32 s0, s0, s7
	s_xor_b64 s[34:35], s[38:39], s[34:35]
	s_xor_b64 s[0:1], s[0:1], s[34:35]
	s_sub_u32 s0, s0, s34
	s_subb_u32 s1, s1, s35
	s_cbranch_execnz .LBB37_7
.LBB37_6:
	v_cvt_f32_u32_e32 v1, s28
	s_sub_i32 s0, 0, s28
	s_mov_b32 s1, 0
	v_rcp_iflag_f32_e32 v1, v1
	v_mul_f32_e32 v1, 0x4f7ffffe, v1
	v_cvt_u32_f32_e32 v1, v1
	v_readfirstlane_b32 s7, v1
	s_mul_i32 s0, s0, s7
	s_mul_hi_u32 s0, s7, s0
	s_add_i32 s7, s7, s0
	s_mul_hi_u32 s0, s24, s7
	s_mul_i32 s11, s0, s28
	s_sub_i32 s11, s24, s11
	s_add_i32 s7, s0, 1
	s_sub_i32 s21, s11, s28
	s_cmp_ge_u32 s11, s28
	s_cselect_b32 s0, s7, s0
	s_cselect_b32 s11, s21, s11
	s_add_i32 s7, s0, 1
	s_cmp_ge_u32 s11, s28
	s_cselect_b32 s0, s7, s0
.LBB37_7:
	s_mul_i32 s7, s0, s29
	s_mul_hi_u32 s11, s0, s28
	s_add_i32 s7, s11, s7
	s_mul_i32 s11, s1, s28
	s_add_i32 s11, s7, s11
	s_mul_i32 s7, s0, s28
	s_sub_u32 s7, s24, s7
	s_subb_u32 s11, s25, s11
	v_cmp_gt_i32_e32 vcc, s20, v0
	s_mul_hi_u32 s34, s0, s8
	s_mul_i32 s35, s1, s8
	s_mul_i32 s28, s0, s8
	s_mul_hi_u32 s33, s7, s9
	s_mul_i32 s1, s11, s9
	s_mul_i32 s24, s7, s9
	s_and_saveexec_b64 s[30:31], vcc
	s_cbranch_execz .LBB37_10
; %bb.8:
	s_load_dword s25, s[4:5], 0x8c
	s_ashr_i32 s21, s20, 31
	s_ashr_i32 s29, s8, 31
	;; [unrolled: 1-line block ×4, first 2 shown]
	s_waitcnt lgkmcnt(0)
	s_and_b32 s36, s25, 0xffff
	s_lshl_b64 s[26:27], s[26:27], 2
	s_add_u32 s22, s22, s26
	v_lshlrev_b32_e32 v1, 2, v0
	s_addc_u32 s23, s23, s27
	v_mov_b32_e32 v3, s23
	v_add_co_u32_e32 v2, vcc, s22, v1
	s_lshl_b64 s[22:23], s[20:21], 2
	s_mul_i32 s13, s13, s6
	s_mul_hi_u32 s21, s12, s6
	s_add_i32 s13, s21, s13
	s_mul_i32 s12, s12, s6
	s_lshl_b32 s26, s36, 2
	s_lshl_b64 s[12:13], s[12:13], 2
	v_addc_co_u32_e32 v3, vcc, 0, v3, vcc
	v_lshlrev_b32_e32 v4, 3, v0
	s_add_u32 s12, s16, s12
	v_add_co_u32_e32 v4, vcc, s12, v4
	s_mul_i32 s12, s0, s29
	s_mul_i32 s21, s7, s37
	s_addc_u32 s13, s17, s13
	s_add_i32 s12, s34, s12
	s_add_i32 s21, s33, s21
	;; [unrolled: 1-line block ×4, first 2 shown]
	v_mov_b32_e32 v5, s13
	s_lshl_b32 s16, s36, 3
	s_lshl_b64 s[12:13], s[28:29], 1
	s_lshl_b64 s[38:39], s[24:25], 1
	s_add_u32 s21, s12, s38
	s_addc_u32 s25, s13, s39
	s_lshl_b64 s[12:13], s[10:11], 1
	s_add_u32 s11, s2, s12
	v_addc_co_u32_e32 v5, vcc, 0, v5, vcc
	s_addc_u32 s12, s3, s13
	v_add_co_u32_e32 v4, vcc, 4, v4
	s_add_u32 s11, s11, s21
	v_addc_co_u32_e32 v5, vcc, 0, v5, vcc
	s_addc_u32 s12, s12, s25
	s_mov_b32 s40, 0
	v_mov_b32_e32 v7, s12
	v_add_co_u32_e32 v6, vcc, s11, v1
	v_addc_co_u32_e32 v7, vcc, 0, v7, vcc
	s_mov_b64 s[12:13], 0
	v_mov_b32_e32 v1, s23
	s_mov_b32 s11, 0x5040100
	v_mov_b32_e32 v8, s40
	v_mov_b32_e32 v9, s40
	v_mov_b32_e32 v10, v0
	s_mov_b32 s17, s40
.LBB37_9:                               ; =>This Inner Loop Header: Depth=1
	v_add_co_u32_e32 v12, vcc, s22, v2
	v_addc_co_u32_e32 v13, vcc, v3, v1, vcc
	global_load_dword v14, v[12:13], off
	global_load_dwordx2 v[16:17], v[4:5], off offset:-4
	global_load_dword v18, v[2:3], off
	v_add_co_u32_e32 v2, vcc, s26, v2
	v_add_u32_e32 v10, s36, v10
	v_addc_co_u32_e32 v3, vcc, v3, v8, vcc
	v_cmp_le_i32_e32 vcc, s20, v10
	s_or_b64 s[12:13], vcc, s[12:13]
	s_waitcnt vmcnt(1)
	v_pk_mul_f32 v[12:13], v[14:15], v[16:17] op_sel_hi:[0,1]
	s_waitcnt vmcnt(0)
	v_pk_fma_f32 v[14:15], v[18:19], v[16:17], v[12:13] op_sel:[0,0,1] op_sel_hi:[1,1,0] neg_lo:[0,0,1] neg_hi:[0,0,1]
	v_pk_fma_f32 v[12:13], v[18:19], v[16:17], v[12:13] op_sel:[0,0,1] op_sel_hi:[0,1,0]
	v_mov_b32_e32 v15, v13
	v_perm_b32 v11, v13, v14, s11
	global_store_dwordx2 v[4:5], v[14:15], off offset:-4
	global_store_dword v[6:7], v11, off
	v_add_co_u32_e32 v4, vcc, s16, v4
	v_addc_co_u32_e32 v5, vcc, v5, v9, vcc
	v_add_co_u32_e32 v6, vcc, s26, v6
	v_addc_co_u32_e32 v7, vcc, v7, v8, vcc
	s_andn2_b64 exec, exec, s[12:13]
	s_cbranch_execnz .LBB37_9
.LBB37_10:
	s_or_b64 exec, exec, s[30:31]
	v_cmp_gt_i32_e32 vcc, s10, v0
	s_and_saveexec_b64 s[12:13], vcc
	s_cbranch_execz .LBB37_13
; %bb.11:
	s_mul_i32 s11, s6, s15
	s_mul_hi_u32 s12, s6, s14
	s_add_i32 s13, s12, s11
	s_mul_i32 s12, s6, s14
	s_lshl_b64 s[12:13], s[12:13], 2
	s_add_u32 s6, s18, s12
	s_addc_u32 s11, s19, s13
	s_ashr_i32 s8, s8, 31
	s_mul_i32 s0, s0, s8
	s_add_i32 s0, s34, s0
	s_add_i32 s29, s0, s35
	s_lshl_b64 s[12:13], s[28:29], 1
	s_add_u32 s2, s2, s12
	s_addc_u32 s3, s3, s13
	s_ashr_i32 s0, s9, 31
	s_mul_i32 s7, s7, s0
	s_add_i32 s0, s33, s7
	s_load_dword s4, s[4:5], 0x8c
	s_add_i32 s25, s0, s1
	s_lshl_b64 s[0:1], s[24:25], 1
	s_add_u32 s2, s2, s0
	s_addc_u32 s5, s3, s1
	s_waitcnt lgkmcnt(0)
	s_and_b32 s3, s4, 0xffff
	s_mov_b64 s[0:1], 0
	v_mov_b32_e32 v2, s11
	v_mov_b32_e32 v3, s5
.LBB37_12:                              ; =>This Inner Loop Header: Depth=1
	v_ashrrev_i32_e32 v1, 31, v0
	v_lshlrev_b64 v[4:5], 2, v[0:1]
	v_add_co_u32_e32 v4, vcc, s6, v4
	v_addc_co_u32_e32 v5, vcc, v2, v5, vcc
	global_load_ushort v6, v[4:5], off
	v_lshlrev_b64 v[4:5], 1, v[0:1]
	v_add_co_u32_e32 v4, vcc, s2, v4
	v_addc_co_u32_e32 v5, vcc, v3, v5, vcc
	v_add_u32_e32 v0, s3, v0
	v_cmp_le_i32_e32 vcc, s10, v0
	s_or_b64 s[0:1], vcc, s[0:1]
	s_waitcnt vmcnt(0)
	global_store_short v[4:5], v6, off
	s_andn2_b64 exec, exec, s[0:1]
	s_cbranch_execnz .LBB37_12
.LBB37_13:
	s_endpgm
.LBB37_14:
                                        ; implicit-def: $sgpr0_sgpr1
	s_branch .LBB37_6
	.section	.rodata,"a",@progbits
	.p2align	6, 0x0
	.amdhsa_kernel _ZN4vllm38concat_and_cache_mla_rope_fused_kernelIffLb0E14__hip_bfloat16S1_LNS_18Fp8KVCacheDataTypeE0EEEvPKlPT_S6_PKS5_PKT0_illlliPT3_S4_iiiiPKf
		.amdhsa_group_segment_fixed_size 0
		.amdhsa_private_segment_fixed_size 0
		.amdhsa_kernarg_size 384
		.amdhsa_user_sgpr_count 6
		.amdhsa_user_sgpr_private_segment_buffer 1
		.amdhsa_user_sgpr_dispatch_ptr 0
		.amdhsa_user_sgpr_queue_ptr 0
		.amdhsa_user_sgpr_kernarg_segment_ptr 1
		.amdhsa_user_sgpr_dispatch_id 0
		.amdhsa_user_sgpr_flat_scratch_init 0
		.amdhsa_user_sgpr_kernarg_preload_length 0
		.amdhsa_user_sgpr_kernarg_preload_offset 0
		.amdhsa_user_sgpr_private_segment_size 0
		.amdhsa_uses_dynamic_stack 0
		.amdhsa_system_sgpr_private_segment_wavefront_offset 0
		.amdhsa_system_sgpr_workgroup_id_x 1
		.amdhsa_system_sgpr_workgroup_id_y 0
		.amdhsa_system_sgpr_workgroup_id_z 0
		.amdhsa_system_sgpr_workgroup_info 0
		.amdhsa_system_vgpr_workitem_id 0
		.amdhsa_next_free_vgpr 20
		.amdhsa_next_free_sgpr 43
		.amdhsa_accum_offset 20
		.amdhsa_reserve_vcc 1
		.amdhsa_reserve_flat_scratch 0
		.amdhsa_float_round_mode_32 0
		.amdhsa_float_round_mode_16_64 0
		.amdhsa_float_denorm_mode_32 3
		.amdhsa_float_denorm_mode_16_64 3
		.amdhsa_dx10_clamp 1
		.amdhsa_ieee_mode 1
		.amdhsa_fp16_overflow 0
		.amdhsa_tg_split 0
		.amdhsa_exception_fp_ieee_invalid_op 0
		.amdhsa_exception_fp_denorm_src 0
		.amdhsa_exception_fp_ieee_div_zero 0
		.amdhsa_exception_fp_ieee_overflow 0
		.amdhsa_exception_fp_ieee_underflow 0
		.amdhsa_exception_fp_ieee_inexact 0
		.amdhsa_exception_int_div_zero 0
	.end_amdhsa_kernel
	.section	.text._ZN4vllm38concat_and_cache_mla_rope_fused_kernelIffLb0E14__hip_bfloat16S1_LNS_18Fp8KVCacheDataTypeE0EEEvPKlPT_S6_PKS5_PKT0_illlliPT3_S4_iiiiPKf,"axG",@progbits,_ZN4vllm38concat_and_cache_mla_rope_fused_kernelIffLb0E14__hip_bfloat16S1_LNS_18Fp8KVCacheDataTypeE0EEEvPKlPT_S6_PKS5_PKT0_illlliPT3_S4_iiiiPKf,comdat
.Lfunc_end37:
	.size	_ZN4vllm38concat_and_cache_mla_rope_fused_kernelIffLb0E14__hip_bfloat16S1_LNS_18Fp8KVCacheDataTypeE0EEEvPKlPT_S6_PKS5_PKT0_illlliPT3_S4_iiiiPKf, .Lfunc_end37-_ZN4vllm38concat_and_cache_mla_rope_fused_kernelIffLb0E14__hip_bfloat16S1_LNS_18Fp8KVCacheDataTypeE0EEEvPKlPT_S6_PKS5_PKT0_illlliPT3_S4_iiiiPKf
                                        ; -- End function
	.section	.AMDGPU.csdata,"",@progbits
; Kernel info:
; codeLenInByte = 1964
; NumSgprs: 47
; NumVgprs: 20
; NumAgprs: 0
; TotalNumVgprs: 20
; ScratchSize: 0
; MemoryBound: 0
; FloatMode: 240
; IeeeMode: 1
; LDSByteSize: 0 bytes/workgroup (compile time only)
; SGPRBlocks: 5
; VGPRBlocks: 2
; NumSGPRsForWavesPerEU: 47
; NumVGPRsForWavesPerEU: 20
; AccumOffset: 20
; Occupancy: 8
; WaveLimiterHint : 1
; COMPUTE_PGM_RSRC2:SCRATCH_EN: 0
; COMPUTE_PGM_RSRC2:USER_SGPR: 6
; COMPUTE_PGM_RSRC2:TRAP_HANDLER: 0
; COMPUTE_PGM_RSRC2:TGID_X_EN: 1
; COMPUTE_PGM_RSRC2:TGID_Y_EN: 0
; COMPUTE_PGM_RSRC2:TGID_Z_EN: 0
; COMPUTE_PGM_RSRC2:TIDIG_COMP_CNT: 0
; COMPUTE_PGM_RSRC3_GFX90A:ACCUM_OFFSET: 4
; COMPUTE_PGM_RSRC3_GFX90A:TG_SPLIT: 0
	.section	.text._ZN4vllm38concat_and_cache_mla_rope_fused_kernelIfN3c104HalfELb1E14__hip_bfloat16S3_LNS_18Fp8KVCacheDataTypeE0EEEvPKlPT_S8_PKS7_PKT0_illlliPT3_S6_iiiiPKf,"axG",@progbits,_ZN4vllm38concat_and_cache_mla_rope_fused_kernelIfN3c104HalfELb1E14__hip_bfloat16S3_LNS_18Fp8KVCacheDataTypeE0EEEvPKlPT_S8_PKS7_PKT0_illlliPT3_S6_iiiiPKf,comdat
	.protected	_ZN4vllm38concat_and_cache_mla_rope_fused_kernelIfN3c104HalfELb1E14__hip_bfloat16S3_LNS_18Fp8KVCacheDataTypeE0EEEvPKlPT_S8_PKS7_PKT0_illlliPT3_S6_iiiiPKf ; -- Begin function _ZN4vllm38concat_and_cache_mla_rope_fused_kernelIfN3c104HalfELb1E14__hip_bfloat16S3_LNS_18Fp8KVCacheDataTypeE0EEEvPKlPT_S8_PKS7_PKT0_illlliPT3_S6_iiiiPKf
	.globl	_ZN4vllm38concat_and_cache_mla_rope_fused_kernelIfN3c104HalfELb1E14__hip_bfloat16S3_LNS_18Fp8KVCacheDataTypeE0EEEvPKlPT_S8_PKS7_PKT0_illlliPT3_S6_iiiiPKf
	.p2align	8
	.type	_ZN4vllm38concat_and_cache_mla_rope_fused_kernelIfN3c104HalfELb1E14__hip_bfloat16S3_LNS_18Fp8KVCacheDataTypeE0EEEvPKlPT_S8_PKS7_PKT0_illlliPT3_S6_iiiiPKf,@function
_ZN4vllm38concat_and_cache_mla_rope_fused_kernelIfN3c104HalfELb1E14__hip_bfloat16S3_LNS_18Fp8KVCacheDataTypeE0EEEvPKlPT_S8_PKS7_PKT0_illlliPT3_S6_iiiiPKf: ; @_ZN4vllm38concat_and_cache_mla_rope_fused_kernelIfN3c104HalfELb1E14__hip_bfloat16S3_LNS_18Fp8KVCacheDataTypeE0EEEvPKlPT_S8_PKS7_PKT0_illlliPT3_S6_iiiiPKf
; %bb.0:
	s_load_dwordx2 s[2:3], s[4:5], 0x60
	s_mov_b32 s7, 0
	s_lshl_b64 s[0:1], s[6:7], 3
	s_waitcnt lgkmcnt(0)
	s_add_u32 s2, s2, s0
	s_addc_u32 s3, s3, s1
	s_load_dwordx2 s[26:27], s[2:3], 0x0
	s_waitcnt lgkmcnt(0)
	v_cmp_lt_i64_e64 s[2:3], s[26:27], 0
	s_and_b64 vcc, exec, s[2:3]
	s_cbranch_vccnz .LBB38_13
; %bb.1:
	s_load_dword s28, s[4:5], 0x28
	s_load_dwordx2 s[2:3], s[4:5], 0x0
	s_load_dwordx4 s[16:19], s[4:5], 0x10
	s_waitcnt lgkmcnt(0)
	s_ashr_i32 s7, s28, 31
	s_add_u32 s0, s2, s0
	s_addc_u32 s1, s3, s1
	s_load_dwordx2 s[20:21], s[0:1], 0x0
	s_load_dwordx2 s[22:23], s[4:5], 0x20
	s_load_dwordx8 s[8:15], s[4:5], 0x30
	s_load_dwordx2 s[2:3], s[4:5], 0x58
	s_load_dword s29, s[4:5], 0x50
	s_waitcnt lgkmcnt(0)
	s_mul_i32 s0, s20, s7
	s_mul_hi_u32 s1, s20, s28
	s_mul_i32 s7, s21, s28
	s_add_i32 s0, s1, s0
	s_add_i32 s1, s0, s7
	s_mul_i32 s0, s20, s28
	s_lshl_b64 s[24:25], s[0:1], 1
	s_add_u32 s7, s22, s24
	s_addc_u32 s33, s23, s25
	s_lshr_b32 s0, s28, 31
	s_add_i32 s28, s28, s0
	s_ashr_i32 s20, s28, 1
	s_mul_i32 s34, s20, s29
	v_cmp_gt_i32_e32 vcc, s34, v0
	s_and_saveexec_b64 s[0:1], vcc
	s_cbranch_execz .LBB38_4
; %bb.2:
	s_load_dwordx2 s[28:29], s[4:5], 0x8
	s_mul_i32 s9, s6, s9
	s_mul_hi_u32 s30, s6, s8
	s_add_i32 s9, s30, s9
	s_load_dword s30, s[4:5], 0x8c
	s_mul_i32 s8, s6, s8
	s_ashr_i32 s21, s20, 31
	s_lshl_b64 s[8:9], s[8:9], 2
	s_waitcnt lgkmcnt(0)
	s_add_u32 s35, s28, s8
	s_addc_u32 s31, s29, s9
	s_abs_i32 s36, s20
	v_cvt_f32_u32_e32 v1, s36
	s_sub_i32 s28, 0, s36
	s_and_b32 s37, s30, 0xffff
	v_mov_b32_e32 v5, s31
	v_rcp_iflag_f32_e32 v2, v1
	s_lshl_b64 s[30:31], s[20:21], 2
	s_mov_b64 s[8:9], 0
	v_mov_b32_e32 v1, s33
	v_mul_f32_e32 v2, 0x4f7ffffe, v2
	v_cvt_u32_f32_e32 v2, v2
	s_sub_i32 s38, 0, s20
	v_mov_b32_e32 v6, s31
	v_mul_lo_u32 v3, s28, v2
	v_mul_hi_u32 v3, v2, v3
	s_lshl_b64 s[28:29], s[20:21], 1
	v_add_u32_e32 v3, v2, v3
	v_mov_b32_e32 v4, s29
	v_mov_b32_e32 v2, v0
.LBB38_3:                               ; =>This Inner Loop Header: Depth=1
	v_sub_u32_e32 v8, 0, v2
	v_max_i32_e32 v8, v2, v8
	v_mul_hi_u32 v9, v8, v3
	v_mul_lo_u32 v10, v9, s36
	v_sub_u32_e32 v8, v8, v10
	v_add_u32_e32 v11, 1, v9
	v_cmp_le_u32_e32 vcc, s36, v8
	v_subrev_u32_e32 v10, s36, v8
	v_cndmask_b32_e32 v9, v9, v11, vcc
	v_cndmask_b32_e32 v8, v8, v10, vcc
	v_ashrrev_i32_e32 v7, 31, v2
	v_add_u32_e32 v10, 1, v9
	v_cmp_le_u32_e32 vcc, s36, v8
	v_xor_b32_e32 v7, s21, v7
	v_cndmask_b32_e32 v8, v9, v10, vcc
	v_xor_b32_e32 v8, v8, v7
	v_sub_u32_e32 v7, v8, v7
	v_mad_u64_u32 v[8:9], s[40:41], s38, v7, v[2:3]
	v_ashrrev_i32_e32 v12, 31, v7
	v_ashrrev_i32_e32 v9, 31, v8
	v_mul_lo_u32 v14, v7, s11
	v_mad_u64_u32 v[10:11], s[40:41], v7, s10, 0
	v_mul_lo_u32 v7, v12, s10
	v_lshlrev_b64 v[12:13], 1, v[8:9]
	v_add_co_u32_e32 v12, vcc, s7, v12
	v_addc_co_u32_e32 v13, vcc, v1, v13, vcc
	v_add3_u32 v11, v11, v14, v7
	v_add_co_u32_e32 v14, vcc, s28, v12
	v_lshlrev_b64 v[10:11], 2, v[10:11]
	v_addc_co_u32_e32 v15, vcc, v13, v4, vcc
	v_add_co_u32_e32 v7, vcc, s35, v10
	v_lshlrev_b64 v[8:9], 2, v[8:9]
	v_addc_co_u32_e32 v10, vcc, v5, v11, vcc
	global_load_ushort v16, v[12:13], off
	global_load_ushort v17, v[14:15], off
	v_add_co_u32_e32 v8, vcc, v7, v8
	v_addc_co_u32_e32 v9, vcc, v10, v9, vcc
	v_add_co_u32_e32 v10, vcc, s30, v8
	v_addc_co_u32_e32 v11, vcc, v9, v6, vcc
	global_load_dword v7, v[8:9], off
	global_load_dword v12, v[10:11], off
	v_add_u32_e32 v2, s37, v2
	v_cmp_le_i32_e32 vcc, s34, v2
	s_or_b64 s[8:9], vcc, s[8:9]
	s_waitcnt vmcnt(3)
	v_cvt_f32_f16_e32 v13, v16
	s_waitcnt vmcnt(2)
	v_cvt_f32_f16_e32 v14, v17
	s_waitcnt vmcnt(0)
	v_mul_f32_e32 v13, v12, v13
	v_mul_f32_e32 v12, v12, v14
	v_fma_mix_f32 v13, v7, v17, v13 op_sel_hi:[0,1,0]
	v_fma_mix_f32 v7, v7, v16, -v12 op_sel_hi:[0,1,0]
	global_store_dword v[8:9], v7, off
	global_store_dword v[10:11], v13, off
	s_andn2_b64 exec, exec, s[8:9]
	s_cbranch_execnz .LBB38_3
.LBB38_4:
	s_or_b64 exec, exec, s[0:1]
	s_load_dwordx4 s[8:11], s[4:5], 0x68
	s_waitcnt lgkmcnt(0)
	s_ashr_i32 s31, s11, 31
	s_mov_b32 s30, s11
	s_or_b64 s[0:1], s[26:27], s[30:31]
	s_mov_b32 s0, 0
	s_cmp_lg_u64 s[0:1], 0
	s_cbranch_scc0 .LBB38_14
; %bb.5:
	s_add_u32 s0, s30, s31
	s_mov_b32 s28, s31
	s_mov_b32 s29, s31
	s_addc_u32 s1, s31, s31
	s_xor_b64 s[36:37], s[0:1], s[28:29]
	v_cvt_f32_u32_e32 v1, s36
	v_cvt_f32_u32_e32 v2, s37
	s_sub_u32 s0, 0, s36
	s_subb_u32 s1, 0, s37
	v_madmk_f32 v1, v2, 0x4f800000, v1
	v_rcp_f32_e32 v1, v1
	v_mul_f32_e32 v1, 0x5f7ffffc, v1
	v_mul_f32_e32 v2, 0x2f800000, v1
	v_trunc_f32_e32 v2, v2
	v_madmk_f32 v1, v2, 0xcf800000, v1
	v_cvt_u32_f32_e32 v2, v2
	v_cvt_u32_f32_e32 v1, v1
	v_readfirstlane_b32 s11, v2
	v_readfirstlane_b32 s21, v1
	s_mul_i32 s38, s0, s11
	s_mul_hi_u32 s40, s0, s21
	s_mul_i32 s39, s1, s21
	s_add_i32 s38, s40, s38
	s_add_i32 s38, s38, s39
	s_mul_i32 s41, s0, s21
	s_mul_hi_u32 s39, s21, s38
	s_mul_i32 s40, s21, s38
	s_mul_hi_u32 s21, s21, s41
	s_add_u32 s21, s21, s40
	s_addc_u32 s39, 0, s39
	s_mul_hi_u32 s42, s11, s41
	s_mul_i32 s41, s11, s41
	s_add_u32 s21, s21, s41
	s_mul_hi_u32 s40, s11, s38
	s_addc_u32 s21, s39, s42
	s_addc_u32 s39, s40, 0
	s_mul_i32 s38, s11, s38
	s_add_u32 s21, s21, s38
	s_addc_u32 s38, 0, s39
	v_add_co_u32_e32 v1, vcc, s21, v1
	s_cmp_lg_u64 vcc, 0
	s_addc_u32 s11, s11, s38
	v_readfirstlane_b32 s38, v1
	s_mul_i32 s21, s0, s11
	s_mul_hi_u32 s39, s0, s38
	s_add_i32 s21, s39, s21
	s_mul_i32 s1, s1, s38
	s_add_i32 s21, s21, s1
	s_mul_i32 s0, s0, s38
	s_mul_hi_u32 s39, s11, s0
	s_mul_i32 s40, s11, s0
	s_mul_i32 s42, s38, s21
	s_mul_hi_u32 s0, s38, s0
	s_mul_hi_u32 s41, s38, s21
	s_add_u32 s0, s0, s42
	s_addc_u32 s38, 0, s41
	s_add_u32 s0, s0, s40
	s_mul_hi_u32 s1, s11, s21
	s_addc_u32 s0, s38, s39
	s_addc_u32 s1, s1, 0
	s_mul_i32 s21, s11, s21
	s_add_u32 s0, s0, s21
	s_addc_u32 s1, 0, s1
	v_add_co_u32_e32 v1, vcc, s0, v1
	s_cmp_lg_u64 vcc, 0
	s_addc_u32 s11, s11, s1
	s_ashr_i32 s38, s27, 31
	s_add_u32 s0, s26, s38
	s_mov_b32 s39, s38
	s_addc_u32 s1, s27, s38
	s_xor_b64 s[40:41], s[0:1], s[38:39]
	v_readfirstlane_b32 s21, v1
	s_mul_i32 s1, s40, s11
	s_mul_hi_u32 s42, s40, s21
	s_mul_hi_u32 s0, s40, s11
	s_add_u32 s1, s42, s1
	s_addc_u32 s0, 0, s0
	s_mul_hi_u32 s43, s41, s21
	s_mul_i32 s21, s41, s21
	s_add_u32 s1, s1, s21
	s_mul_hi_u32 s42, s41, s11
	s_addc_u32 s0, s0, s43
	s_addc_u32 s1, s42, 0
	s_mul_i32 s11, s41, s11
	s_add_u32 s11, s0, s11
	s_addc_u32 s21, 0, s1
	s_mul_i32 s0, s36, s21
	s_mul_hi_u32 s1, s36, s11
	s_add_i32 s0, s1, s0
	s_mul_i32 s1, s37, s11
	s_add_i32 s42, s0, s1
	s_mul_i32 s1, s36, s11
	v_mov_b32_e32 v1, s1
	s_sub_i32 s0, s41, s42
	v_sub_co_u32_e32 v1, vcc, s40, v1
	s_cmp_lg_u64 vcc, 0
	s_subb_u32 s40, s0, s37
	v_subrev_co_u32_e64 v2, s[0:1], s36, v1
	s_cmp_lg_u64 s[0:1], 0
	s_subb_u32 s0, s40, 0
	s_cmp_ge_u32 s0, s37
	v_readfirstlane_b32 s40, v2
	s_cselect_b32 s1, -1, 0
	s_cmp_ge_u32 s40, s36
	s_cselect_b32 s40, -1, 0
	s_cmp_eq_u32 s0, s37
	s_cselect_b32 s0, s40, s1
	s_add_u32 s1, s11, 1
	s_addc_u32 s40, s21, 0
	s_add_u32 s43, s11, 2
	s_addc_u32 s44, s21, 0
	s_cmp_lg_u32 s0, 0
	s_cselect_b32 s0, s43, s1
	s_cselect_b32 s1, s44, s40
	s_cmp_lg_u64 vcc, 0
	s_subb_u32 s40, s41, s42
	s_cmp_ge_u32 s40, s37
	v_readfirstlane_b32 s42, v1
	s_cselect_b32 s41, -1, 0
	s_cmp_ge_u32 s42, s36
	s_cselect_b32 s36, -1, 0
	s_cmp_eq_u32 s40, s37
	s_cselect_b32 s36, s36, s41
	s_cmp_lg_u32 s36, 0
	s_cselect_b32 s1, s1, s21
	s_cselect_b32 s0, s0, s11
	s_xor_b64 s[28:29], s[38:39], s[28:29]
	s_xor_b64 s[0:1], s[0:1], s[28:29]
	s_sub_u32 s28, s0, s28
	s_subb_u32 s29, s1, s29
	s_cbranch_execnz .LBB38_7
.LBB38_6:
	v_cvt_f32_u32_e32 v1, s30
	s_sub_i32 s0, 0, s30
	s_mov_b32 s29, 0
	v_rcp_iflag_f32_e32 v1, v1
	v_mul_f32_e32 v1, 0x4f7ffffe, v1
	v_cvt_u32_f32_e32 v1, v1
	v_readfirstlane_b32 s1, v1
	s_mul_i32 s0, s0, s1
	s_mul_hi_u32 s0, s1, s0
	s_add_i32 s1, s1, s0
	s_mul_hi_u32 s0, s26, s1
	s_mul_i32 s11, s0, s30
	s_sub_i32 s11, s26, s11
	s_add_i32 s1, s0, 1
	s_sub_i32 s21, s11, s30
	s_cmp_ge_u32 s11, s30
	s_cselect_b32 s0, s1, s0
	s_cselect_b32 s11, s21, s11
	s_add_i32 s1, s0, 1
	s_cmp_ge_u32 s11, s30
	s_cselect_b32 s28, s1, s0
.LBB38_7:
	s_mul_i32 s0, s28, s31
	s_mul_hi_u32 s1, s28, s30
	s_add_i32 s0, s1, s0
	s_mul_i32 s1, s29, s30
	s_add_i32 s0, s0, s1
	s_mul_i32 s1, s28, s30
	s_sub_u32 s36, s26, s1
	s_subb_u32 s0, s27, s0
	v_cmp_gt_i32_e32 vcc, s20, v0
	s_mul_hi_u32 s38, s28, s8
	s_mul_i32 s39, s29, s8
	s_mul_i32 s30, s28, s8
	s_mul_hi_u32 s37, s36, s9
	s_mul_i32 s29, s0, s9
	s_mul_i32 s26, s36, s9
	s_and_saveexec_b64 s[34:35], vcc
	s_cbranch_execz .LBB38_10
; %bb.8:
	s_ashr_i32 s0, s8, 31
	s_mul_i32 s0, s28, s0
	s_add_i32 s0, s38, s0
	s_add_i32 s31, s0, s39
	s_ashr_i32 s0, s9, 31
	s_mul_i32 s0, s36, s0
	s_add_i32 s0, s37, s0
	s_add_i32 s27, s0, s29
	s_ashr_i32 s21, s20, 31
	s_lshl_b64 s[0:1], s[30:31], 1
	s_lshl_b64 s[40:41], s[26:27], 1
	s_add_u32 s44, s0, s40
	s_addc_u32 s41, s1, s41
	s_load_dword s40, s[4:5], 0x8c
	s_add_u32 s27, s44, s2
	s_addc_u32 s31, s41, s3
	s_ashr_i32 s11, s10, 31
	s_lshl_b64 s[0:1], s[10:11], 1
	s_add_u32 s11, s27, s0
	s_addc_u32 s27, s31, s1
	s_waitcnt lgkmcnt(0)
	s_and_b32 s31, s40, 0xffff
	s_lshl_b32 s40, s31, 1
	s_lshl_b64 s[42:43], s[20:21], 1
	s_add_u32 s24, s24, s42
	s_addc_u32 s25, s25, s43
	s_add_u32 s24, s22, s24
	s_addc_u32 s25, s23, s25
	s_lshl_b64 s[22:23], s[20:21], 2
	s_mul_i32 s13, s13, s6
	s_mul_hi_u32 s21, s12, s6
	s_add_i32 s13, s21, s13
	s_mul_i32 s12, s12, s6
	s_lshl_b64 s[12:13], s[12:13], 2
	s_add_u32 s12, s16, s12
	v_lshlrev_b32_e32 v1, 2, v0
	s_addc_u32 s13, s17, s13
	s_lshl_b32 s16, s31, 2
	v_add_co_u32_e32 v4, vcc, s12, v1
	s_add_u32 s12, s44, s42
	v_mov_b32_e32 v3, s13
	s_addc_u32 s13, s41, s43
	s_add_u32 s0, s12, s0
	s_addc_u32 s1, s13, s1
	s_mov_b32 s45, 0
	s_add_u32 s17, s2, s0
	v_lshlrev_b32_e32 v2, 1, v0
	v_addc_co_u32_e32 v5, vcc, 0, v3, vcc
	s_addc_u32 s21, s3, s1
	s_mov_b64 s[12:13], 0
	v_mov_b32_e32 v1, s23
	v_mov_b32_e32 v3, s45
	;; [unrolled: 1-line block ×3, first 2 shown]
.LBB38_9:                               ; =>This Inner Loop Header: Depth=1
	v_add_co_u32_e64 v10, s[0:1], s22, v4
	v_mov_b32_e32 v9, s25
	v_add_co_u32_e32 v8, vcc, s24, v2
	v_addc_co_u32_e64 v11, s[0:1], v5, v1, s[0:1]
	v_mov_b32_e32 v7, s33
	v_add_co_u32_e64 v12, s[0:1], s7, v2
	v_addc_co_u32_e32 v9, vcc, 0, v9, vcc
	global_load_dword v14, v[4:5], off
	v_addc_co_u32_e64 v13, s[0:1], 0, v7, s[0:1]
	global_load_ushort v7, v[8:9], off
	global_load_ushort v15, v[12:13], off
	global_load_dword v16, v[10:11], off
	s_add_u32 s7, s7, s40
	v_mov_b32_e32 v9, s27
	v_mov_b32_e32 v17, s21
	v_add_co_u32_e32 v8, vcc, s17, v2
	v_add_co_u32_e64 v12, s[0:1], s11, v2
	s_addc_u32 s33, s33, 0
	v_addc_co_u32_e64 v13, s[0:1], 0, v9, s[0:1]
	v_addc_co_u32_e32 v9, vcc, 0, v17, vcc
	s_add_u32 s24, s24, s40
	s_addc_u32 s25, s25, 0
	s_add_u32 s17, s17, s40
	s_addc_u32 s21, s21, 0
	v_add_u32_e32 v6, s31, v6
	s_add_u32 s11, s11, s40
	v_cmp_le_i32_e32 vcc, s20, v6
	s_addc_u32 s27, s27, 0
	s_or_b64 s[12:13], vcc, s[12:13]
	s_waitcnt vmcnt(2)
	v_cvt_f32_f16_e32 v17, v7
	s_waitcnt vmcnt(1)
	v_cvt_f32_f16_e32 v18, v15
	s_waitcnt vmcnt(0)
	v_mul_f32_e32 v17, v16, v17
	v_mul_f32_e32 v16, v16, v18
	v_fma_mix_f32 v15, v14, v15, -v17 op_sel_hi:[0,1,0]
	v_fma_mix_f32 v7, v14, v7, v16 op_sel_hi:[0,1,0]
	global_store_dword v[4:5], v15, off
	global_store_dword v[10:11], v7, off
	global_store_short v[12:13], v15, off
	global_store_short v[8:9], v7, off
	v_add_co_u32_e32 v4, vcc, s16, v4
	v_addc_co_u32_e32 v5, vcc, v5, v3, vcc
	s_andn2_b64 exec, exec, s[12:13]
	s_cbranch_execnz .LBB38_9
.LBB38_10:
	s_or_b64 exec, exec, s[34:35]
	v_cmp_gt_i32_e32 vcc, s10, v0
	s_and_saveexec_b64 s[0:1], vcc
	s_cbranch_execz .LBB38_13
; %bb.11:
	s_mul_i32 s0, s6, s15
	s_mul_hi_u32 s1, s6, s14
	s_add_i32 s1, s1, s0
	s_mul_i32 s0, s6, s14
	s_lshl_b64 s[0:1], s[0:1], 2
	s_add_u32 s6, s18, s0
	s_addc_u32 s7, s19, s1
	s_ashr_i32 s0, s8, 31
	s_mul_i32 s0, s28, s0
	s_add_i32 s0, s38, s0
	s_add_i32 s31, s0, s39
	s_lshl_b64 s[0:1], s[30:31], 1
	s_add_u32 s2, s2, s0
	s_addc_u32 s3, s3, s1
	s_ashr_i32 s0, s9, 31
	s_mul_i32 s36, s36, s0
	s_add_i32 s0, s37, s36
	s_load_dword s4, s[4:5], 0x8c
	s_add_i32 s27, s0, s29
	s_lshl_b64 s[0:1], s[26:27], 1
	s_add_u32 s2, s2, s0
	s_addc_u32 s5, s3, s1
	s_waitcnt lgkmcnt(0)
	s_and_b32 s3, s4, 0xffff
	s_mov_b64 s[0:1], 0
	v_mov_b32_e32 v2, s7
	v_mov_b32_e32 v3, s5
.LBB38_12:                              ; =>This Inner Loop Header: Depth=1
	v_ashrrev_i32_e32 v1, 31, v0
	v_lshlrev_b64 v[4:5], 2, v[0:1]
	v_add_co_u32_e32 v4, vcc, s6, v4
	v_addc_co_u32_e32 v5, vcc, v2, v5, vcc
	global_load_ushort v6, v[4:5], off
	v_lshlrev_b64 v[4:5], 1, v[0:1]
	v_add_co_u32_e32 v4, vcc, s2, v4
	v_addc_co_u32_e32 v5, vcc, v3, v5, vcc
	v_add_u32_e32 v0, s3, v0
	v_cmp_le_i32_e32 vcc, s10, v0
	s_or_b64 s[0:1], vcc, s[0:1]
	s_waitcnt vmcnt(0)
	global_store_short v[4:5], v6, off
	s_andn2_b64 exec, exec, s[0:1]
	s_cbranch_execnz .LBB38_12
.LBB38_13:
	s_endpgm
.LBB38_14:
                                        ; implicit-def: $sgpr28_sgpr29
	s_branch .LBB38_6
	.section	.rodata,"a",@progbits
	.p2align	6, 0x0
	.amdhsa_kernel _ZN4vllm38concat_and_cache_mla_rope_fused_kernelIfN3c104HalfELb1E14__hip_bfloat16S3_LNS_18Fp8KVCacheDataTypeE0EEEvPKlPT_S8_PKS7_PKT0_illlliPT3_S6_iiiiPKf
		.amdhsa_group_segment_fixed_size 0
		.amdhsa_private_segment_fixed_size 0
		.amdhsa_kernarg_size 384
		.amdhsa_user_sgpr_count 6
		.amdhsa_user_sgpr_private_segment_buffer 1
		.amdhsa_user_sgpr_dispatch_ptr 0
		.amdhsa_user_sgpr_queue_ptr 0
		.amdhsa_user_sgpr_kernarg_segment_ptr 1
		.amdhsa_user_sgpr_dispatch_id 0
		.amdhsa_user_sgpr_flat_scratch_init 0
		.amdhsa_user_sgpr_kernarg_preload_length 0
		.amdhsa_user_sgpr_kernarg_preload_offset 0
		.amdhsa_user_sgpr_private_segment_size 0
		.amdhsa_uses_dynamic_stack 0
		.amdhsa_system_sgpr_private_segment_wavefront_offset 0
		.amdhsa_system_sgpr_workgroup_id_x 1
		.amdhsa_system_sgpr_workgroup_id_y 0
		.amdhsa_system_sgpr_workgroup_id_z 0
		.amdhsa_system_sgpr_workgroup_info 0
		.amdhsa_system_vgpr_workitem_id 0
		.amdhsa_next_free_vgpr 19
		.amdhsa_next_free_sgpr 46
		.amdhsa_accum_offset 20
		.amdhsa_reserve_vcc 1
		.amdhsa_reserve_flat_scratch 0
		.amdhsa_float_round_mode_32 0
		.amdhsa_float_round_mode_16_64 0
		.amdhsa_float_denorm_mode_32 3
		.amdhsa_float_denorm_mode_16_64 3
		.amdhsa_dx10_clamp 1
		.amdhsa_ieee_mode 1
		.amdhsa_fp16_overflow 0
		.amdhsa_tg_split 0
		.amdhsa_exception_fp_ieee_invalid_op 0
		.amdhsa_exception_fp_denorm_src 0
		.amdhsa_exception_fp_ieee_div_zero 0
		.amdhsa_exception_fp_ieee_overflow 0
		.amdhsa_exception_fp_ieee_underflow 0
		.amdhsa_exception_fp_ieee_inexact 0
		.amdhsa_exception_int_div_zero 0
	.end_amdhsa_kernel
	.section	.text._ZN4vllm38concat_and_cache_mla_rope_fused_kernelIfN3c104HalfELb1E14__hip_bfloat16S3_LNS_18Fp8KVCacheDataTypeE0EEEvPKlPT_S8_PKS7_PKT0_illlliPT3_S6_iiiiPKf,"axG",@progbits,_ZN4vllm38concat_and_cache_mla_rope_fused_kernelIfN3c104HalfELb1E14__hip_bfloat16S3_LNS_18Fp8KVCacheDataTypeE0EEEvPKlPT_S8_PKS7_PKT0_illlliPT3_S6_iiiiPKf,comdat
.Lfunc_end38:
	.size	_ZN4vllm38concat_and_cache_mla_rope_fused_kernelIfN3c104HalfELb1E14__hip_bfloat16S3_LNS_18Fp8KVCacheDataTypeE0EEEvPKlPT_S8_PKS7_PKT0_illlliPT3_S6_iiiiPKf, .Lfunc_end38-_ZN4vllm38concat_and_cache_mla_rope_fused_kernelIfN3c104HalfELb1E14__hip_bfloat16S3_LNS_18Fp8KVCacheDataTypeE0EEEvPKlPT_S8_PKS7_PKT0_illlliPT3_S6_iiiiPKf
                                        ; -- End function
	.section	.AMDGPU.csdata,"",@progbits
; Kernel info:
; codeLenInByte = 2080
; NumSgprs: 50
; NumVgprs: 19
; NumAgprs: 0
; TotalNumVgprs: 19
; ScratchSize: 0
; MemoryBound: 0
; FloatMode: 240
; IeeeMode: 1
; LDSByteSize: 0 bytes/workgroup (compile time only)
; SGPRBlocks: 6
; VGPRBlocks: 2
; NumSGPRsForWavesPerEU: 50
; NumVGPRsForWavesPerEU: 19
; AccumOffset: 20
; Occupancy: 8
; WaveLimiterHint : 1
; COMPUTE_PGM_RSRC2:SCRATCH_EN: 0
; COMPUTE_PGM_RSRC2:USER_SGPR: 6
; COMPUTE_PGM_RSRC2:TRAP_HANDLER: 0
; COMPUTE_PGM_RSRC2:TGID_X_EN: 1
; COMPUTE_PGM_RSRC2:TGID_Y_EN: 0
; COMPUTE_PGM_RSRC2:TGID_Z_EN: 0
; COMPUTE_PGM_RSRC2:TIDIG_COMP_CNT: 0
; COMPUTE_PGM_RSRC3_GFX90A:ACCUM_OFFSET: 4
; COMPUTE_PGM_RSRC3_GFX90A:TG_SPLIT: 0
	.section	.text._ZN4vllm38concat_and_cache_mla_rope_fused_kernelIfN3c104HalfELb0E14__hip_bfloat16S3_LNS_18Fp8KVCacheDataTypeE0EEEvPKlPT_S8_PKS7_PKT0_illlliPT3_S6_iiiiPKf,"axG",@progbits,_ZN4vllm38concat_and_cache_mla_rope_fused_kernelIfN3c104HalfELb0E14__hip_bfloat16S3_LNS_18Fp8KVCacheDataTypeE0EEEvPKlPT_S8_PKS7_PKT0_illlliPT3_S6_iiiiPKf,comdat
	.protected	_ZN4vllm38concat_and_cache_mla_rope_fused_kernelIfN3c104HalfELb0E14__hip_bfloat16S3_LNS_18Fp8KVCacheDataTypeE0EEEvPKlPT_S8_PKS7_PKT0_illlliPT3_S6_iiiiPKf ; -- Begin function _ZN4vllm38concat_and_cache_mla_rope_fused_kernelIfN3c104HalfELb0E14__hip_bfloat16S3_LNS_18Fp8KVCacheDataTypeE0EEEvPKlPT_S8_PKS7_PKT0_illlliPT3_S6_iiiiPKf
	.globl	_ZN4vllm38concat_and_cache_mla_rope_fused_kernelIfN3c104HalfELb0E14__hip_bfloat16S3_LNS_18Fp8KVCacheDataTypeE0EEEvPKlPT_S8_PKS7_PKT0_illlliPT3_S6_iiiiPKf
	.p2align	8
	.type	_ZN4vllm38concat_and_cache_mla_rope_fused_kernelIfN3c104HalfELb0E14__hip_bfloat16S3_LNS_18Fp8KVCacheDataTypeE0EEEvPKlPT_S8_PKS7_PKT0_illlliPT3_S6_iiiiPKf,@function
_ZN4vllm38concat_and_cache_mla_rope_fused_kernelIfN3c104HalfELb0E14__hip_bfloat16S3_LNS_18Fp8KVCacheDataTypeE0EEEvPKlPT_S8_PKS7_PKT0_illlliPT3_S6_iiiiPKf: ; @_ZN4vllm38concat_and_cache_mla_rope_fused_kernelIfN3c104HalfELb0E14__hip_bfloat16S3_LNS_18Fp8KVCacheDataTypeE0EEEvPKlPT_S8_PKS7_PKT0_illlliPT3_S6_iiiiPKf
; %bb.0:
	s_load_dwordx2 s[2:3], s[4:5], 0x60
	s_mov_b32 s7, 0
	s_lshl_b64 s[0:1], s[6:7], 3
	s_waitcnt lgkmcnt(0)
	s_add_u32 s2, s2, s0
	s_addc_u32 s3, s3, s1
	s_load_dwordx2 s[24:25], s[2:3], 0x0
	s_waitcnt lgkmcnt(0)
	v_cmp_lt_i64_e64 s[2:3], s[24:25], 0
	s_and_b64 vcc, exec, s[2:3]
	s_cbranch_vccnz .LBB39_13
; %bb.1:
	s_load_dword s7, s[4:5], 0x28
	s_load_dwordx2 s[2:3], s[4:5], 0x0
	s_load_dwordx4 s[16:19], s[4:5], 0x10
	v_lshlrev_b32_e32 v1, 1, v0
	s_waitcnt lgkmcnt(0)
	s_ashr_i32 s26, s7, 31
	s_add_u32 s0, s2, s0
	s_addc_u32 s1, s3, s1
	s_load_dwordx2 s[20:21], s[0:1], 0x0
	s_load_dwordx2 s[22:23], s[4:5], 0x20
	s_load_dwordx8 s[8:15], s[4:5], 0x30
	s_load_dwordx2 s[2:3], s[4:5], 0x58
	s_load_dword s28, s[4:5], 0x50
	s_waitcnt lgkmcnt(0)
	s_mul_i32 s0, s20, s26
	s_mul_hi_u32 s1, s20, s7
	s_mul_i32 s21, s21, s7
	s_add_i32 s0, s1, s0
	s_add_i32 s27, s0, s21
	s_lshr_b32 s0, s7, 31
	s_mul_i32 s26, s20, s7
	s_add_i32 s7, s7, s0
	s_ashr_i32 s20, s7, 1
	s_mul_i32 s7, s20, s28
	v_cmp_gt_i32_e32 vcc, s7, v0
	s_and_saveexec_b64 s[0:1], vcc
	s_cbranch_execz .LBB39_4
; %bb.2:
	s_lshl_b64 s[28:29], s[26:27], 1
	s_add_u32 s30, s22, s28
	s_addc_u32 s38, s23, s29
	s_load_dwordx2 s[28:29], s[4:5], 0x8
	s_load_dword s34, s[4:5], 0x8c
	s_mul_i32 s9, s6, s9
	s_mul_hi_u32 s31, s6, s8
	s_add_i32 s9, s31, s9
	s_mul_i32 s8, s6, s8
	s_ashr_i32 s21, s20, 31
	s_lshl_b64 s[8:9], s[8:9], 2
	s_waitcnt lgkmcnt(0)
	s_add_u32 s31, s28, s8
	s_addc_u32 s39, s29, s9
	s_abs_i32 s33, s20
	v_cvt_f32_u32_e32 v2, s33
	s_sub_i32 s8, 0, s33
	s_and_b32 s34, s34, 0xffff
	s_lshl_b64 s[28:29], s[20:21], 1
	v_rcp_iflag_f32_e32 v2, v2
	s_sub_i32 s35, 0, s20
	s_lshl_b32 s37, s34, 1
	v_mov_b32_e32 v5, s38
	v_mul_f32_e32 v2, 0x4f7ffffe, v2
	v_cvt_u32_f32_e32 v2, v2
	v_mov_b32_e32 v6, s29
	v_mov_b32_e32 v7, s39
	;; [unrolled: 1-line block ×3, first 2 shown]
	v_mul_lo_u32 v3, s8, v2
	v_mul_hi_u32 v3, v2, v3
	s_lshl_b32 s8, s20, 1
	v_add_u32_e32 v3, v2, v3
	s_sub_i32 s36, 0, s8
	s_mov_b64 s[8:9], 0
	v_mov_b32_e32 v2, v1
.LBB39_3:                               ; =>This Inner Loop Header: Depth=1
	v_sub_u32_e32 v9, 0, v4
	v_max_i32_e32 v9, v4, v9
	v_mul_hi_u32 v10, v9, v3
	v_mul_lo_u32 v11, v10, s33
	v_sub_u32_e32 v9, v9, v11
	v_add_u32_e32 v12, 1, v10
	v_cmp_le_u32_e32 vcc, s33, v9
	v_subrev_u32_e32 v11, s33, v9
	v_cndmask_b32_e32 v10, v10, v12, vcc
	v_cndmask_b32_e32 v9, v9, v11, vcc
	v_ashrrev_i32_e32 v8, 31, v4
	v_add_u32_e32 v11, 1, v10
	v_cmp_le_u32_e32 vcc, s33, v9
	v_xor_b32_e32 v8, s21, v8
	v_cndmask_b32_e32 v9, v10, v11, vcc
	v_xor_b32_e32 v9, v9, v8
	v_sub_u32_e32 v12, v9, v8
	v_mad_u64_u32 v[8:9], s[38:39], s35, v12, v[4:5]
	v_ashrrev_i32_e32 v9, 31, v8
	v_lshlrev_b64 v[8:9], 1, v[8:9]
	v_ashrrev_i32_e32 v14, 31, v12
	v_add_co_u32_e32 v8, vcc, s30, v8
	v_mul_lo_u32 v15, v12, s11
	v_mad_u64_u32 v[10:11], s[38:39], v12, s10, 0
	v_mul_lo_u32 v14, v14, s10
	v_addc_co_u32_e32 v9, vcc, v5, v9, vcc
	v_add3_u32 v11, v11, v15, v14
	v_add_co_u32_e32 v14, vcc, s28, v8
	v_mad_u64_u32 v[12:13], s[38:39], s36, v12, v[2:3]
	v_lshlrev_b64 v[10:11], 2, v[10:11]
	v_addc_co_u32_e32 v15, vcc, v9, v6, vcc
	v_ashrrev_i32_e32 v13, 31, v12
	v_add_co_u32_e32 v10, vcc, s31, v10
	global_load_ushort v16, v[8:9], off
	global_load_ushort v17, v[14:15], off
	v_lshlrev_b64 v[12:13], 2, v[12:13]
	v_addc_co_u32_e32 v11, vcc, v7, v11, vcc
	v_add_co_u32_e32 v8, vcc, v10, v12
	v_addc_co_u32_e32 v9, vcc, v11, v13, vcc
	global_load_dwordx2 v[10:11], v[8:9], off
	v_add_u32_e32 v4, s34, v4
	v_cmp_le_i32_e32 vcc, s7, v4
	v_add_u32_e32 v2, s37, v2
	s_or_b64 s[8:9], vcc, s[8:9]
	s_waitcnt vmcnt(2)
	v_cvt_f32_f16_e32 v12, v16
	s_waitcnt vmcnt(1)
	v_cvt_f32_f16_e32 v13, v17
	s_waitcnt vmcnt(0)
	v_mul_f32_e32 v12, v11, v12
	v_mul_f32_e32 v13, v11, v13
	v_fma_mix_f32 v11, v10, v17, v12 op_sel_hi:[0,1,0]
	v_fma_mix_f32 v10, v10, v16, -v13 op_sel_hi:[0,1,0]
	global_store_dwordx2 v[8:9], v[10:11], off
	s_andn2_b64 exec, exec, s[8:9]
	s_cbranch_execnz .LBB39_3
.LBB39_4:
	s_or_b64 exec, exec, s[0:1]
	s_load_dwordx4 s[8:11], s[4:5], 0x68
	s_waitcnt lgkmcnt(0)
	s_ashr_i32 s29, s11, 31
	s_mov_b32 s28, s11
	s_or_b64 s[0:1], s[24:25], s[28:29]
	s_mov_b32 s0, 0
	s_cmp_lg_u64 s[0:1], 0
	s_cbranch_scc0 .LBB39_14
; %bb.5:
	s_add_u32 s0, s28, s29
	s_mov_b32 s34, s29
	s_mov_b32 s35, s29
	s_addc_u32 s1, s29, s29
	s_xor_b64 s[36:37], s[0:1], s[34:35]
	v_cvt_f32_u32_e32 v2, s36
	v_cvt_f32_u32_e32 v3, s37
	s_sub_u32 s0, 0, s36
	s_subb_u32 s1, 0, s37
	v_madmk_f32 v2, v3, 0x4f800000, v2
	v_rcp_f32_e32 v2, v2
	v_mul_f32_e32 v2, 0x5f7ffffc, v2
	v_mul_f32_e32 v3, 0x2f800000, v2
	v_trunc_f32_e32 v3, v3
	v_madmk_f32 v2, v3, 0xcf800000, v2
	v_cvt_u32_f32_e32 v3, v3
	v_cvt_u32_f32_e32 v2, v2
	v_readfirstlane_b32 s7, v3
	v_readfirstlane_b32 s11, v2
	s_mul_i32 s21, s0, s7
	s_mul_hi_u32 s38, s0, s11
	s_mul_i32 s33, s1, s11
	s_add_i32 s21, s38, s21
	s_add_i32 s21, s21, s33
	s_mul_i32 s39, s0, s11
	s_mul_hi_u32 s33, s11, s21
	s_mul_i32 s38, s11, s21
	s_mul_hi_u32 s11, s11, s39
	s_add_u32 s11, s11, s38
	s_addc_u32 s33, 0, s33
	s_mul_hi_u32 s40, s7, s39
	s_mul_i32 s39, s7, s39
	s_add_u32 s11, s11, s39
	s_mul_hi_u32 s38, s7, s21
	s_addc_u32 s11, s33, s40
	s_addc_u32 s33, s38, 0
	s_mul_i32 s21, s7, s21
	s_add_u32 s11, s11, s21
	s_addc_u32 s21, 0, s33
	v_add_co_u32_e32 v2, vcc, s11, v2
	s_cmp_lg_u64 vcc, 0
	s_addc_u32 s7, s7, s21
	v_readfirstlane_b32 s21, v2
	s_mul_i32 s11, s0, s7
	s_mul_hi_u32 s33, s0, s21
	s_add_i32 s11, s33, s11
	s_mul_i32 s1, s1, s21
	s_add_i32 s11, s11, s1
	s_mul_i32 s0, s0, s21
	s_mul_hi_u32 s33, s7, s0
	s_mul_i32 s38, s7, s0
	s_mul_i32 s40, s21, s11
	s_mul_hi_u32 s0, s21, s0
	s_mul_hi_u32 s39, s21, s11
	s_add_u32 s0, s0, s40
	s_addc_u32 s21, 0, s39
	s_add_u32 s0, s0, s38
	s_mul_hi_u32 s1, s7, s11
	s_addc_u32 s0, s21, s33
	s_addc_u32 s1, s1, 0
	s_mul_i32 s11, s7, s11
	s_add_u32 s0, s0, s11
	s_addc_u32 s1, 0, s1
	v_add_co_u32_e32 v2, vcc, s0, v2
	s_cmp_lg_u64 vcc, 0
	s_addc_u32 s7, s7, s1
	s_ashr_i32 s38, s25, 31
	s_add_u32 s0, s24, s38
	s_mov_b32 s39, s38
	s_addc_u32 s1, s25, s38
	s_xor_b64 s[40:41], s[0:1], s[38:39]
	v_readfirstlane_b32 s11, v2
	s_mul_i32 s1, s40, s7
	s_mul_hi_u32 s21, s40, s11
	s_mul_hi_u32 s0, s40, s7
	s_add_u32 s1, s21, s1
	s_addc_u32 s0, 0, s0
	s_mul_hi_u32 s33, s41, s11
	s_mul_i32 s11, s41, s11
	s_add_u32 s1, s1, s11
	s_mul_hi_u32 s21, s41, s7
	s_addc_u32 s0, s0, s33
	s_addc_u32 s1, s21, 0
	s_mul_i32 s7, s41, s7
	s_add_u32 s7, s0, s7
	s_addc_u32 s11, 0, s1
	s_mul_i32 s0, s36, s11
	s_mul_hi_u32 s1, s36, s7
	s_add_i32 s0, s1, s0
	s_mul_i32 s1, s37, s7
	s_add_i32 s21, s0, s1
	s_mul_i32 s1, s36, s7
	v_mov_b32_e32 v2, s1
	s_sub_i32 s0, s41, s21
	v_sub_co_u32_e32 v2, vcc, s40, v2
	s_cmp_lg_u64 vcc, 0
	s_subb_u32 s33, s0, s37
	v_subrev_co_u32_e64 v3, s[0:1], s36, v2
	s_cmp_lg_u64 s[0:1], 0
	s_subb_u32 s0, s33, 0
	s_cmp_ge_u32 s0, s37
	v_readfirstlane_b32 s33, v3
	s_cselect_b32 s1, -1, 0
	s_cmp_ge_u32 s33, s36
	s_cselect_b32 s33, -1, 0
	s_cmp_eq_u32 s0, s37
	s_cselect_b32 s0, s33, s1
	s_add_u32 s1, s7, 1
	s_addc_u32 s33, s11, 0
	s_add_u32 s40, s7, 2
	s_addc_u32 s42, s11, 0
	s_cmp_lg_u32 s0, 0
	s_cselect_b32 s0, s40, s1
	s_cselect_b32 s1, s42, s33
	s_cmp_lg_u64 vcc, 0
	s_subb_u32 s21, s41, s21
	s_cmp_ge_u32 s21, s37
	v_readfirstlane_b32 s40, v2
	s_cselect_b32 s33, -1, 0
	s_cmp_ge_u32 s40, s36
	s_cselect_b32 s36, -1, 0
	s_cmp_eq_u32 s21, s37
	s_cselect_b32 s21, s36, s33
	s_cmp_lg_u32 s21, 0
	s_cselect_b32 s1, s1, s11
	s_cselect_b32 s0, s0, s7
	s_xor_b64 s[34:35], s[38:39], s[34:35]
	s_xor_b64 s[0:1], s[0:1], s[34:35]
	s_sub_u32 s0, s0, s34
	s_subb_u32 s1, s1, s35
	s_cbranch_execnz .LBB39_7
.LBB39_6:
	v_cvt_f32_u32_e32 v2, s28
	s_sub_i32 s0, 0, s28
	s_mov_b32 s1, 0
	v_rcp_iflag_f32_e32 v2, v2
	v_mul_f32_e32 v2, 0x4f7ffffe, v2
	v_cvt_u32_f32_e32 v2, v2
	v_readfirstlane_b32 s7, v2
	s_mul_i32 s0, s0, s7
	s_mul_hi_u32 s0, s7, s0
	s_add_i32 s7, s7, s0
	s_mul_hi_u32 s0, s24, s7
	s_mul_i32 s11, s0, s28
	s_sub_i32 s11, s24, s11
	s_add_i32 s7, s0, 1
	s_sub_i32 s21, s11, s28
	s_cmp_ge_u32 s11, s28
	s_cselect_b32 s0, s7, s0
	s_cselect_b32 s11, s21, s11
	s_add_i32 s7, s0, 1
	s_cmp_ge_u32 s11, s28
	s_cselect_b32 s0, s7, s0
.LBB39_7:
	s_mul_i32 s7, s0, s29
	s_mul_hi_u32 s11, s0, s28
	s_add_i32 s7, s11, s7
	s_mul_i32 s11, s1, s28
	s_add_i32 s11, s7, s11
	s_mul_i32 s7, s0, s28
	s_sub_u32 s7, s24, s7
	s_subb_u32 s11, s25, s11
	v_cmp_gt_i32_e32 vcc, s20, v0
	s_mul_hi_u32 s34, s0, s8
	s_mul_i32 s35, s1, s8
	s_mul_i32 s28, s0, s8
	s_mul_hi_u32 s33, s7, s9
	s_mul_i32 s1, s11, s9
	s_mul_i32 s24, s7, s9
	s_and_saveexec_b64 s[30:31], vcc
	s_cbranch_execz .LBB39_10
; %bb.8:
	s_load_dword s25, s[4:5], 0x8c
	s_ashr_i32 s21, s20, 31
	s_ashr_i32 s29, s8, 31
	;; [unrolled: 1-line block ×4, first 2 shown]
	s_waitcnt lgkmcnt(0)
	s_and_b32 s36, s25, 0xffff
	s_lshl_b64 s[26:27], s[26:27], 1
	s_add_u32 s22, s22, s26
	s_addc_u32 s23, s23, s27
	v_mov_b32_e32 v3, s23
	v_add_co_u32_e32 v2, vcc, s22, v1
	s_lshl_b64 s[22:23], s[20:21], 1
	s_mul_i32 s13, s13, s6
	s_mul_hi_u32 s21, s12, s6
	s_add_i32 s13, s21, s13
	s_mul_i32 s12, s12, s6
	s_lshl_b32 s26, s36, 1
	s_lshl_b64 s[12:13], s[12:13], 2
	v_addc_co_u32_e32 v3, vcc, 0, v3, vcc
	v_lshlrev_b32_e32 v1, 3, v0
	s_add_u32 s12, s16, s12
	s_addc_u32 s13, s17, s13
	v_add_co_u32_e32 v1, vcc, s12, v1
	s_mul_i32 s12, s0, s29
	s_mul_i32 s17, s7, s37
	s_add_i32 s12, s34, s12
	s_add_i32 s17, s33, s17
	;; [unrolled: 1-line block ×4, first 2 shown]
	v_mov_b32_e32 v4, s13
	s_lshl_b32 s16, s36, 3
	s_lshl_b64 s[12:13], s[28:29], 1
	s_lshl_b64 s[38:39], s[24:25], 1
	s_add_u32 s17, s12, s38
	s_addc_u32 s25, s13, s39
	s_lshl_b64 s[12:13], s[10:11], 1
	s_add_u32 s11, s2, s12
	v_addc_co_u32_e32 v5, vcc, 0, v4, vcc
	s_addc_u32 s12, s3, s13
	v_add_co_u32_e32 v4, vcc, 4, v1
	s_add_u32 s11, s11, s17
	v_addc_co_u32_e32 v5, vcc, 0, v5, vcc
	v_lshlrev_b32_e32 v1, 2, v0
	s_addc_u32 s12, s12, s25
	s_mov_b32 s40, 0
	v_mov_b32_e32 v7, s12
	v_add_co_u32_e32 v6, vcc, s11, v1
	v_addc_co_u32_e32 v7, vcc, 0, v7, vcc
	s_lshl_b32 s11, s36, 2
	s_mov_b64 s[12:13], 0
	v_mov_b32_e32 v1, s23
	s_mov_b32 s17, 0x5040100
	v_mov_b32_e32 v8, s40
	v_mov_b32_e32 v9, s40
	v_mov_b32_e32 v10, s40
	v_mov_b32_e32 v11, v0
	s_mov_b32 s21, s40
	s_mov_b32 s25, s40
.LBB39_9:                               ; =>This Inner Loop Header: Depth=1
	v_add_co_u32_e32 v12, vcc, s22, v2
	global_load_ushort v16, v[2:3], off
	v_addc_co_u32_e32 v13, vcc, v3, v1, vcc
	global_load_ushort v17, v[12:13], off
	global_load_dwordx2 v[14:15], v[4:5], off offset:-4
	v_add_co_u32_e32 v2, vcc, s26, v2
	v_add_u32_e32 v11, s36, v11
	v_addc_co_u32_e32 v3, vcc, v3, v8, vcc
	v_cmp_le_i32_e32 vcc, s20, v11
	s_or_b64 s[12:13], vcc, s[12:13]
	s_waitcnt vmcnt(2)
	v_cvt_f32_f16_e32 v12, v16
	s_waitcnt vmcnt(1)
	v_cvt_f32_f16_e32 v16, v17
	s_waitcnt vmcnt(0)
	v_pk_mul_f32 v[16:17], v[14:15], v[16:17] op_sel_hi:[1,0]
	v_pk_fma_f32 v[18:19], v[14:15], v[12:13], v[16:17] op_sel:[0,0,1] op_sel_hi:[1,1,0] neg_lo:[0,0,1] neg_hi:[0,0,1]
	v_pk_fma_f32 v[12:13], v[14:15], v[12:13], v[16:17] op_sel:[0,0,1] op_sel_hi:[1,0,0]
	v_mov_b32_e32 v19, v13
	v_perm_b32 v12, v13, v18, s17
	global_store_dwordx2 v[4:5], v[18:19], off offset:-4
	global_store_dword v[6:7], v12, off
	v_add_co_u32_e32 v4, vcc, s16, v4
	v_addc_co_u32_e32 v5, vcc, v5, v9, vcc
	v_add_co_u32_e32 v6, vcc, s11, v6
	v_addc_co_u32_e32 v7, vcc, v7, v10, vcc
	s_andn2_b64 exec, exec, s[12:13]
	s_cbranch_execnz .LBB39_9
.LBB39_10:
	s_or_b64 exec, exec, s[30:31]
	v_cmp_gt_i32_e32 vcc, s10, v0
	s_and_saveexec_b64 s[12:13], vcc
	s_cbranch_execz .LBB39_13
; %bb.11:
	s_mul_i32 s11, s6, s15
	s_mul_hi_u32 s12, s6, s14
	s_add_i32 s13, s12, s11
	s_mul_i32 s12, s6, s14
	s_lshl_b64 s[12:13], s[12:13], 2
	s_add_u32 s6, s18, s12
	s_addc_u32 s11, s19, s13
	s_ashr_i32 s8, s8, 31
	s_mul_i32 s0, s0, s8
	s_add_i32 s0, s34, s0
	s_add_i32 s29, s0, s35
	s_lshl_b64 s[12:13], s[28:29], 1
	s_add_u32 s2, s2, s12
	s_addc_u32 s3, s3, s13
	s_ashr_i32 s0, s9, 31
	s_mul_i32 s7, s7, s0
	s_add_i32 s0, s33, s7
	s_load_dword s4, s[4:5], 0x8c
	s_add_i32 s25, s0, s1
	s_lshl_b64 s[0:1], s[24:25], 1
	s_add_u32 s2, s2, s0
	s_addc_u32 s5, s3, s1
	s_waitcnt lgkmcnt(0)
	s_and_b32 s3, s4, 0xffff
	s_mov_b64 s[0:1], 0
	v_mov_b32_e32 v2, s11
	v_mov_b32_e32 v3, s5
.LBB39_12:                              ; =>This Inner Loop Header: Depth=1
	v_ashrrev_i32_e32 v1, 31, v0
	v_lshlrev_b64 v[4:5], 2, v[0:1]
	v_add_co_u32_e32 v4, vcc, s6, v4
	v_addc_co_u32_e32 v5, vcc, v2, v5, vcc
	global_load_ushort v6, v[4:5], off
	v_lshlrev_b64 v[4:5], 1, v[0:1]
	v_add_co_u32_e32 v4, vcc, s2, v4
	v_addc_co_u32_e32 v5, vcc, v3, v5, vcc
	v_add_u32_e32 v0, s3, v0
	v_cmp_le_i32_e32 vcc, s10, v0
	s_or_b64 s[0:1], vcc, s[0:1]
	s_waitcnt vmcnt(0)
	global_store_short v[4:5], v6, off
	s_andn2_b64 exec, exec, s[0:1]
	s_cbranch_execnz .LBB39_12
.LBB39_13:
	s_endpgm
.LBB39_14:
                                        ; implicit-def: $sgpr0_sgpr1
	s_branch .LBB39_6
	.section	.rodata,"a",@progbits
	.p2align	6, 0x0
	.amdhsa_kernel _ZN4vllm38concat_and_cache_mla_rope_fused_kernelIfN3c104HalfELb0E14__hip_bfloat16S3_LNS_18Fp8KVCacheDataTypeE0EEEvPKlPT_S8_PKS7_PKT0_illlliPT3_S6_iiiiPKf
		.amdhsa_group_segment_fixed_size 0
		.amdhsa_private_segment_fixed_size 0
		.amdhsa_kernarg_size 384
		.amdhsa_user_sgpr_count 6
		.amdhsa_user_sgpr_private_segment_buffer 1
		.amdhsa_user_sgpr_dispatch_ptr 0
		.amdhsa_user_sgpr_queue_ptr 0
		.amdhsa_user_sgpr_kernarg_segment_ptr 1
		.amdhsa_user_sgpr_dispatch_id 0
		.amdhsa_user_sgpr_flat_scratch_init 0
		.amdhsa_user_sgpr_kernarg_preload_length 0
		.amdhsa_user_sgpr_kernarg_preload_offset 0
		.amdhsa_user_sgpr_private_segment_size 0
		.amdhsa_uses_dynamic_stack 0
		.amdhsa_system_sgpr_private_segment_wavefront_offset 0
		.amdhsa_system_sgpr_workgroup_id_x 1
		.amdhsa_system_sgpr_workgroup_id_y 0
		.amdhsa_system_sgpr_workgroup_id_z 0
		.amdhsa_system_sgpr_workgroup_info 0
		.amdhsa_system_vgpr_workitem_id 0
		.amdhsa_next_free_vgpr 20
		.amdhsa_next_free_sgpr 43
		.amdhsa_accum_offset 20
		.amdhsa_reserve_vcc 1
		.amdhsa_reserve_flat_scratch 0
		.amdhsa_float_round_mode_32 0
		.amdhsa_float_round_mode_16_64 0
		.amdhsa_float_denorm_mode_32 3
		.amdhsa_float_denorm_mode_16_64 3
		.amdhsa_dx10_clamp 1
		.amdhsa_ieee_mode 1
		.amdhsa_fp16_overflow 0
		.amdhsa_tg_split 0
		.amdhsa_exception_fp_ieee_invalid_op 0
		.amdhsa_exception_fp_denorm_src 0
		.amdhsa_exception_fp_ieee_div_zero 0
		.amdhsa_exception_fp_ieee_overflow 0
		.amdhsa_exception_fp_ieee_underflow 0
		.amdhsa_exception_fp_ieee_inexact 0
		.amdhsa_exception_int_div_zero 0
	.end_amdhsa_kernel
	.section	.text._ZN4vllm38concat_and_cache_mla_rope_fused_kernelIfN3c104HalfELb0E14__hip_bfloat16S3_LNS_18Fp8KVCacheDataTypeE0EEEvPKlPT_S8_PKS7_PKT0_illlliPT3_S6_iiiiPKf,"axG",@progbits,_ZN4vllm38concat_and_cache_mla_rope_fused_kernelIfN3c104HalfELb0E14__hip_bfloat16S3_LNS_18Fp8KVCacheDataTypeE0EEEvPKlPT_S8_PKS7_PKT0_illlliPT3_S6_iiiiPKf,comdat
.Lfunc_end39:
	.size	_ZN4vllm38concat_and_cache_mla_rope_fused_kernelIfN3c104HalfELb0E14__hip_bfloat16S3_LNS_18Fp8KVCacheDataTypeE0EEEvPKlPT_S8_PKS7_PKT0_illlliPT3_S6_iiiiPKf, .Lfunc_end39-_ZN4vllm38concat_and_cache_mla_rope_fused_kernelIfN3c104HalfELb0E14__hip_bfloat16S3_LNS_18Fp8KVCacheDataTypeE0EEEvPKlPT_S8_PKS7_PKT0_illlliPT3_S6_iiiiPKf
                                        ; -- End function
	.section	.AMDGPU.csdata,"",@progbits
; Kernel info:
; codeLenInByte = 2012
; NumSgprs: 47
; NumVgprs: 20
; NumAgprs: 0
; TotalNumVgprs: 20
; ScratchSize: 0
; MemoryBound: 0
; FloatMode: 240
; IeeeMode: 1
; LDSByteSize: 0 bytes/workgroup (compile time only)
; SGPRBlocks: 5
; VGPRBlocks: 2
; NumSGPRsForWavesPerEU: 47
; NumVGPRsForWavesPerEU: 20
; AccumOffset: 20
; Occupancy: 8
; WaveLimiterHint : 1
; COMPUTE_PGM_RSRC2:SCRATCH_EN: 0
; COMPUTE_PGM_RSRC2:USER_SGPR: 6
; COMPUTE_PGM_RSRC2:TRAP_HANDLER: 0
; COMPUTE_PGM_RSRC2:TGID_X_EN: 1
; COMPUTE_PGM_RSRC2:TGID_Y_EN: 0
; COMPUTE_PGM_RSRC2:TGID_Z_EN: 0
; COMPUTE_PGM_RSRC2:TIDIG_COMP_CNT: 0
; COMPUTE_PGM_RSRC3_GFX90A:ACCUM_OFFSET: 4
; COMPUTE_PGM_RSRC3_GFX90A:TG_SPLIT: 0
	.section	.text._ZN4vllm38concat_and_cache_mla_rope_fused_kernelIfN3c108BFloat16ELb1E14__hip_bfloat16S3_LNS_18Fp8KVCacheDataTypeE0EEEvPKlPT_S8_PKS7_PKT0_illlliPT3_S6_iiiiPKf,"axG",@progbits,_ZN4vllm38concat_and_cache_mla_rope_fused_kernelIfN3c108BFloat16ELb1E14__hip_bfloat16S3_LNS_18Fp8KVCacheDataTypeE0EEEvPKlPT_S8_PKS7_PKT0_illlliPT3_S6_iiiiPKf,comdat
	.protected	_ZN4vllm38concat_and_cache_mla_rope_fused_kernelIfN3c108BFloat16ELb1E14__hip_bfloat16S3_LNS_18Fp8KVCacheDataTypeE0EEEvPKlPT_S8_PKS7_PKT0_illlliPT3_S6_iiiiPKf ; -- Begin function _ZN4vllm38concat_and_cache_mla_rope_fused_kernelIfN3c108BFloat16ELb1E14__hip_bfloat16S3_LNS_18Fp8KVCacheDataTypeE0EEEvPKlPT_S8_PKS7_PKT0_illlliPT3_S6_iiiiPKf
	.globl	_ZN4vllm38concat_and_cache_mla_rope_fused_kernelIfN3c108BFloat16ELb1E14__hip_bfloat16S3_LNS_18Fp8KVCacheDataTypeE0EEEvPKlPT_S8_PKS7_PKT0_illlliPT3_S6_iiiiPKf
	.p2align	8
	.type	_ZN4vllm38concat_and_cache_mla_rope_fused_kernelIfN3c108BFloat16ELb1E14__hip_bfloat16S3_LNS_18Fp8KVCacheDataTypeE0EEEvPKlPT_S8_PKS7_PKT0_illlliPT3_S6_iiiiPKf,@function
_ZN4vllm38concat_and_cache_mla_rope_fused_kernelIfN3c108BFloat16ELb1E14__hip_bfloat16S3_LNS_18Fp8KVCacheDataTypeE0EEEvPKlPT_S8_PKS7_PKT0_illlliPT3_S6_iiiiPKf: ; @_ZN4vllm38concat_and_cache_mla_rope_fused_kernelIfN3c108BFloat16ELb1E14__hip_bfloat16S3_LNS_18Fp8KVCacheDataTypeE0EEEvPKlPT_S8_PKS7_PKT0_illlliPT3_S6_iiiiPKf
; %bb.0:
	s_load_dwordx2 s[2:3], s[4:5], 0x60
	s_mov_b32 s7, 0
	s_lshl_b64 s[0:1], s[6:7], 3
	s_waitcnt lgkmcnt(0)
	s_add_u32 s2, s2, s0
	s_addc_u32 s3, s3, s1
	s_load_dwordx2 s[26:27], s[2:3], 0x0
	s_waitcnt lgkmcnt(0)
	v_cmp_lt_i64_e64 s[2:3], s[26:27], 0
	s_and_b64 vcc, exec, s[2:3]
	s_cbranch_vccnz .LBB40_13
; %bb.1:
	s_load_dword s28, s[4:5], 0x28
	s_load_dwordx2 s[2:3], s[4:5], 0x0
	s_load_dwordx4 s[16:19], s[4:5], 0x10
	s_waitcnt lgkmcnt(0)
	s_ashr_i32 s7, s28, 31
	s_add_u32 s0, s2, s0
	s_addc_u32 s1, s3, s1
	s_load_dwordx2 s[20:21], s[0:1], 0x0
	s_load_dwordx2 s[22:23], s[4:5], 0x20
	s_load_dwordx8 s[8:15], s[4:5], 0x30
	s_load_dwordx2 s[2:3], s[4:5], 0x58
	s_load_dword s29, s[4:5], 0x50
	s_waitcnt lgkmcnt(0)
	s_mul_i32 s0, s20, s7
	s_mul_hi_u32 s1, s20, s28
	s_mul_i32 s7, s21, s28
	s_add_i32 s0, s1, s0
	s_add_i32 s1, s0, s7
	s_mul_i32 s0, s20, s28
	s_lshl_b64 s[24:25], s[0:1], 1
	s_add_u32 s7, s22, s24
	s_addc_u32 s33, s23, s25
	s_lshr_b32 s0, s28, 31
	s_add_i32 s28, s28, s0
	s_ashr_i32 s20, s28, 1
	s_mul_i32 s34, s20, s29
	v_cmp_gt_i32_e32 vcc, s34, v0
	s_and_saveexec_b64 s[0:1], vcc
	s_cbranch_execz .LBB40_4
; %bb.2:
	s_load_dwordx2 s[28:29], s[4:5], 0x8
	s_mul_i32 s9, s6, s9
	s_mul_hi_u32 s30, s6, s8
	s_add_i32 s9, s30, s9
	s_load_dword s30, s[4:5], 0x8c
	s_mul_i32 s8, s6, s8
	s_ashr_i32 s21, s20, 31
	s_lshl_b64 s[8:9], s[8:9], 2
	s_waitcnt lgkmcnt(0)
	s_add_u32 s35, s28, s8
	s_addc_u32 s31, s29, s9
	s_abs_i32 s36, s20
	v_cvt_f32_u32_e32 v1, s36
	s_sub_i32 s28, 0, s36
	s_and_b32 s37, s30, 0xffff
	v_mov_b32_e32 v5, s31
	v_rcp_iflag_f32_e32 v2, v1
	s_lshl_b64 s[30:31], s[20:21], 2
	s_mov_b64 s[8:9], 0
	v_mov_b32_e32 v1, s33
	v_mul_f32_e32 v2, 0x4f7ffffe, v2
	v_cvt_u32_f32_e32 v2, v2
	s_sub_i32 s38, 0, s20
	v_mov_b32_e32 v6, s31
	v_mul_lo_u32 v3, s28, v2
	v_mul_hi_u32 v3, v2, v3
	s_lshl_b64 s[28:29], s[20:21], 1
	v_add_u32_e32 v3, v2, v3
	v_mov_b32_e32 v4, s29
	v_mov_b32_e32 v2, v0
.LBB40_3:                               ; =>This Inner Loop Header: Depth=1
	v_sub_u32_e32 v8, 0, v2
	v_max_i32_e32 v8, v2, v8
	v_mul_hi_u32 v9, v8, v3
	v_mul_lo_u32 v10, v9, s36
	v_sub_u32_e32 v8, v8, v10
	v_add_u32_e32 v11, 1, v9
	v_cmp_le_u32_e32 vcc, s36, v8
	v_subrev_u32_e32 v10, s36, v8
	v_cndmask_b32_e32 v9, v9, v11, vcc
	v_cndmask_b32_e32 v8, v8, v10, vcc
	v_ashrrev_i32_e32 v7, 31, v2
	v_add_u32_e32 v10, 1, v9
	v_cmp_le_u32_e32 vcc, s36, v8
	v_xor_b32_e32 v7, s21, v7
	v_cndmask_b32_e32 v8, v9, v10, vcc
	v_xor_b32_e32 v8, v8, v7
	v_sub_u32_e32 v7, v8, v7
	v_mad_u64_u32 v[8:9], s[40:41], s38, v7, v[2:3]
	v_ashrrev_i32_e32 v12, 31, v7
	v_ashrrev_i32_e32 v9, 31, v8
	v_mul_lo_u32 v14, v7, s11
	v_mad_u64_u32 v[10:11], s[40:41], v7, s10, 0
	v_mul_lo_u32 v7, v12, s10
	v_lshlrev_b64 v[12:13], 1, v[8:9]
	v_add_co_u32_e32 v12, vcc, s7, v12
	v_addc_co_u32_e32 v13, vcc, v1, v13, vcc
	v_add3_u32 v11, v11, v14, v7
	v_add_co_u32_e32 v14, vcc, s28, v12
	v_lshlrev_b64 v[10:11], 2, v[10:11]
	v_addc_co_u32_e32 v15, vcc, v13, v4, vcc
	v_add_co_u32_e32 v7, vcc, s35, v10
	v_lshlrev_b64 v[8:9], 2, v[8:9]
	v_addc_co_u32_e32 v10, vcc, v5, v11, vcc
	v_add_co_u32_e32 v8, vcc, v7, v8
	v_addc_co_u32_e32 v9, vcc, v10, v9, vcc
	global_load_ushort v16, v[12:13], off
	global_load_ushort v17, v[14:15], off
	v_add_co_u32_e32 v10, vcc, s30, v8
	v_addc_co_u32_e32 v11, vcc, v9, v6, vcc
	global_load_dword v7, v[8:9], off
	global_load_dword v12, v[10:11], off
	v_add_u32_e32 v2, s37, v2
	v_cmp_le_i32_e32 vcc, s34, v2
	s_or_b64 s[8:9], vcc, s[8:9]
	s_waitcnt vmcnt(3)
	v_lshlrev_b32_e32 v13, 16, v16
	s_waitcnt vmcnt(2)
	v_lshlrev_b32_e32 v14, 16, v17
	s_waitcnt vmcnt(1)
	v_mul_f32_e32 v15, v7, v14
	s_waitcnt vmcnt(0)
	v_mul_f32_e32 v14, v12, v14
	v_fma_f32 v7, v7, v13, -v14
	v_fmac_f32_e32 v15, v12, v13
	global_store_dword v[8:9], v7, off
	global_store_dword v[10:11], v15, off
	s_andn2_b64 exec, exec, s[8:9]
	s_cbranch_execnz .LBB40_3
.LBB40_4:
	s_or_b64 exec, exec, s[0:1]
	s_load_dwordx4 s[8:11], s[4:5], 0x68
	s_waitcnt lgkmcnt(0)
	s_ashr_i32 s31, s11, 31
	s_mov_b32 s30, s11
	s_or_b64 s[0:1], s[26:27], s[30:31]
	s_mov_b32 s0, 0
	s_cmp_lg_u64 s[0:1], 0
	s_cbranch_scc0 .LBB40_14
; %bb.5:
	s_add_u32 s0, s30, s31
	s_mov_b32 s28, s31
	s_mov_b32 s29, s31
	s_addc_u32 s1, s31, s31
	s_xor_b64 s[36:37], s[0:1], s[28:29]
	v_cvt_f32_u32_e32 v1, s36
	v_cvt_f32_u32_e32 v2, s37
	s_sub_u32 s0, 0, s36
	s_subb_u32 s1, 0, s37
	v_madmk_f32 v1, v2, 0x4f800000, v1
	v_rcp_f32_e32 v1, v1
	v_mul_f32_e32 v1, 0x5f7ffffc, v1
	v_mul_f32_e32 v2, 0x2f800000, v1
	v_trunc_f32_e32 v2, v2
	v_madmk_f32 v1, v2, 0xcf800000, v1
	v_cvt_u32_f32_e32 v2, v2
	v_cvt_u32_f32_e32 v1, v1
	v_readfirstlane_b32 s11, v2
	v_readfirstlane_b32 s21, v1
	s_mul_i32 s38, s0, s11
	s_mul_hi_u32 s40, s0, s21
	s_mul_i32 s39, s1, s21
	s_add_i32 s38, s40, s38
	s_add_i32 s38, s38, s39
	s_mul_i32 s41, s0, s21
	s_mul_hi_u32 s39, s21, s38
	s_mul_i32 s40, s21, s38
	s_mul_hi_u32 s21, s21, s41
	s_add_u32 s21, s21, s40
	s_addc_u32 s39, 0, s39
	s_mul_hi_u32 s42, s11, s41
	s_mul_i32 s41, s11, s41
	s_add_u32 s21, s21, s41
	s_mul_hi_u32 s40, s11, s38
	s_addc_u32 s21, s39, s42
	s_addc_u32 s39, s40, 0
	s_mul_i32 s38, s11, s38
	s_add_u32 s21, s21, s38
	s_addc_u32 s38, 0, s39
	v_add_co_u32_e32 v1, vcc, s21, v1
	s_cmp_lg_u64 vcc, 0
	s_addc_u32 s11, s11, s38
	v_readfirstlane_b32 s38, v1
	s_mul_i32 s21, s0, s11
	s_mul_hi_u32 s39, s0, s38
	s_add_i32 s21, s39, s21
	s_mul_i32 s1, s1, s38
	s_add_i32 s21, s21, s1
	s_mul_i32 s0, s0, s38
	s_mul_hi_u32 s39, s11, s0
	s_mul_i32 s40, s11, s0
	s_mul_i32 s42, s38, s21
	s_mul_hi_u32 s0, s38, s0
	s_mul_hi_u32 s41, s38, s21
	s_add_u32 s0, s0, s42
	s_addc_u32 s38, 0, s41
	s_add_u32 s0, s0, s40
	s_mul_hi_u32 s1, s11, s21
	s_addc_u32 s0, s38, s39
	s_addc_u32 s1, s1, 0
	s_mul_i32 s21, s11, s21
	s_add_u32 s0, s0, s21
	s_addc_u32 s1, 0, s1
	v_add_co_u32_e32 v1, vcc, s0, v1
	s_cmp_lg_u64 vcc, 0
	s_addc_u32 s11, s11, s1
	s_ashr_i32 s38, s27, 31
	s_add_u32 s0, s26, s38
	s_mov_b32 s39, s38
	s_addc_u32 s1, s27, s38
	s_xor_b64 s[40:41], s[0:1], s[38:39]
	v_readfirstlane_b32 s21, v1
	s_mul_i32 s1, s40, s11
	s_mul_hi_u32 s42, s40, s21
	s_mul_hi_u32 s0, s40, s11
	s_add_u32 s1, s42, s1
	s_addc_u32 s0, 0, s0
	s_mul_hi_u32 s43, s41, s21
	s_mul_i32 s21, s41, s21
	s_add_u32 s1, s1, s21
	s_mul_hi_u32 s42, s41, s11
	s_addc_u32 s0, s0, s43
	s_addc_u32 s1, s42, 0
	s_mul_i32 s11, s41, s11
	s_add_u32 s11, s0, s11
	s_addc_u32 s21, 0, s1
	s_mul_i32 s0, s36, s21
	s_mul_hi_u32 s1, s36, s11
	s_add_i32 s0, s1, s0
	s_mul_i32 s1, s37, s11
	s_add_i32 s42, s0, s1
	s_mul_i32 s1, s36, s11
	v_mov_b32_e32 v1, s1
	s_sub_i32 s0, s41, s42
	v_sub_co_u32_e32 v1, vcc, s40, v1
	s_cmp_lg_u64 vcc, 0
	s_subb_u32 s40, s0, s37
	v_subrev_co_u32_e64 v2, s[0:1], s36, v1
	s_cmp_lg_u64 s[0:1], 0
	s_subb_u32 s0, s40, 0
	s_cmp_ge_u32 s0, s37
	v_readfirstlane_b32 s40, v2
	s_cselect_b32 s1, -1, 0
	s_cmp_ge_u32 s40, s36
	s_cselect_b32 s40, -1, 0
	s_cmp_eq_u32 s0, s37
	s_cselect_b32 s0, s40, s1
	s_add_u32 s1, s11, 1
	s_addc_u32 s40, s21, 0
	s_add_u32 s43, s11, 2
	s_addc_u32 s44, s21, 0
	s_cmp_lg_u32 s0, 0
	s_cselect_b32 s0, s43, s1
	s_cselect_b32 s1, s44, s40
	s_cmp_lg_u64 vcc, 0
	s_subb_u32 s40, s41, s42
	s_cmp_ge_u32 s40, s37
	v_readfirstlane_b32 s42, v1
	s_cselect_b32 s41, -1, 0
	s_cmp_ge_u32 s42, s36
	s_cselect_b32 s36, -1, 0
	s_cmp_eq_u32 s40, s37
	s_cselect_b32 s36, s36, s41
	s_cmp_lg_u32 s36, 0
	s_cselect_b32 s1, s1, s21
	s_cselect_b32 s0, s0, s11
	s_xor_b64 s[28:29], s[38:39], s[28:29]
	s_xor_b64 s[0:1], s[0:1], s[28:29]
	s_sub_u32 s28, s0, s28
	s_subb_u32 s29, s1, s29
	s_cbranch_execnz .LBB40_7
.LBB40_6:
	v_cvt_f32_u32_e32 v1, s30
	s_sub_i32 s0, 0, s30
	s_mov_b32 s29, 0
	v_rcp_iflag_f32_e32 v1, v1
	v_mul_f32_e32 v1, 0x4f7ffffe, v1
	v_cvt_u32_f32_e32 v1, v1
	v_readfirstlane_b32 s1, v1
	s_mul_i32 s0, s0, s1
	s_mul_hi_u32 s0, s1, s0
	s_add_i32 s1, s1, s0
	s_mul_hi_u32 s0, s26, s1
	s_mul_i32 s11, s0, s30
	s_sub_i32 s11, s26, s11
	s_add_i32 s1, s0, 1
	s_sub_i32 s21, s11, s30
	s_cmp_ge_u32 s11, s30
	s_cselect_b32 s0, s1, s0
	s_cselect_b32 s11, s21, s11
	s_add_i32 s1, s0, 1
	s_cmp_ge_u32 s11, s30
	s_cselect_b32 s28, s1, s0
.LBB40_7:
	s_mul_i32 s0, s28, s31
	s_mul_hi_u32 s1, s28, s30
	s_add_i32 s0, s1, s0
	s_mul_i32 s1, s29, s30
	s_add_i32 s0, s0, s1
	s_mul_i32 s1, s28, s30
	s_sub_u32 s36, s26, s1
	s_subb_u32 s0, s27, s0
	v_cmp_gt_i32_e32 vcc, s20, v0
	s_mul_hi_u32 s38, s28, s8
	s_mul_i32 s39, s29, s8
	s_mul_i32 s30, s28, s8
	s_mul_hi_u32 s37, s36, s9
	s_mul_i32 s29, s0, s9
	s_mul_i32 s26, s36, s9
	s_and_saveexec_b64 s[34:35], vcc
	s_cbranch_execz .LBB40_10
; %bb.8:
	s_ashr_i32 s0, s8, 31
	s_mul_i32 s0, s28, s0
	s_add_i32 s0, s38, s0
	s_add_i32 s31, s0, s39
	s_ashr_i32 s0, s9, 31
	s_mul_i32 s0, s36, s0
	s_add_i32 s0, s37, s0
	s_add_i32 s27, s0, s29
	s_ashr_i32 s21, s20, 31
	s_lshl_b64 s[0:1], s[30:31], 1
	s_lshl_b64 s[40:41], s[26:27], 1
	s_add_u32 s44, s0, s40
	s_addc_u32 s41, s1, s41
	s_load_dword s40, s[4:5], 0x8c
	s_add_u32 s27, s44, s2
	s_addc_u32 s31, s41, s3
	s_ashr_i32 s11, s10, 31
	s_lshl_b64 s[0:1], s[10:11], 1
	s_add_u32 s11, s27, s0
	s_addc_u32 s27, s31, s1
	s_waitcnt lgkmcnt(0)
	s_and_b32 s31, s40, 0xffff
	s_lshl_b32 s40, s31, 1
	s_lshl_b64 s[42:43], s[20:21], 1
	s_add_u32 s24, s24, s42
	s_addc_u32 s25, s25, s43
	s_add_u32 s24, s22, s24
	s_addc_u32 s25, s23, s25
	s_lshl_b64 s[22:23], s[20:21], 2
	s_mul_i32 s13, s13, s6
	s_mul_hi_u32 s21, s12, s6
	s_add_i32 s13, s21, s13
	s_mul_i32 s12, s12, s6
	s_lshl_b64 s[12:13], s[12:13], 2
	s_add_u32 s12, s16, s12
	v_lshlrev_b32_e32 v1, 2, v0
	s_addc_u32 s13, s17, s13
	s_lshl_b32 s16, s31, 2
	v_add_co_u32_e32 v4, vcc, s12, v1
	s_add_u32 s12, s44, s42
	v_mov_b32_e32 v3, s13
	s_addc_u32 s13, s41, s43
	s_add_u32 s0, s12, s0
	s_addc_u32 s1, s13, s1
	s_mov_b32 s45, 0
	s_add_u32 s17, s2, s0
	v_lshlrev_b32_e32 v2, 1, v0
	v_addc_co_u32_e32 v5, vcc, 0, v3, vcc
	s_addc_u32 s21, s3, s1
	s_mov_b64 s[12:13], 0
	v_mov_b32_e32 v1, s23
	v_mov_b32_e32 v3, s45
	;; [unrolled: 1-line block ×3, first 2 shown]
.LBB40_9:                               ; =>This Inner Loop Header: Depth=1
	v_add_co_u32_e64 v10, s[0:1], s22, v4
	v_addc_co_u32_e64 v11, s[0:1], v5, v1, s[0:1]
	v_mov_b32_e32 v7, s33
	v_mov_b32_e32 v9, s25
	v_add_co_u32_e32 v8, vcc, s24, v2
	v_add_co_u32_e64 v12, s[0:1], s7, v2
	global_load_dword v14, v[4:5], off
	v_addc_co_u32_e64 v13, s[0:1], 0, v7, s[0:1]
	v_addc_co_u32_e32 v9, vcc, 0, v9, vcc
	global_load_dword v7, v[10:11], off
	global_load_ushort v15, v[8:9], off
	global_load_ushort v16, v[12:13], off
	s_add_u32 s7, s7, s40
	s_addc_u32 s33, s33, 0
	s_add_u32 s24, s24, s40
	s_addc_u32 s25, s25, 0
	v_add_co_u32_e32 v8, vcc, s17, v2
	s_add_u32 s17, s17, s40
	v_mov_b32_e32 v9, s27
	v_mov_b32_e32 v17, s21
	v_add_co_u32_e64 v12, s[0:1], s11, v2
	s_addc_u32 s21, s21, 0
	v_add_u32_e32 v6, s31, v6
	v_addc_co_u32_e64 v13, s[0:1], 0, v9, s[0:1]
	v_addc_co_u32_e32 v9, vcc, 0, v17, vcc
	s_add_u32 s11, s11, s40
	v_cmp_le_i32_e32 vcc, s20, v6
	s_addc_u32 s27, s27, 0
	s_or_b64 s[12:13], vcc, s[12:13]
	s_waitcnt vmcnt(1)
	v_lshlrev_b32_e32 v15, 16, v15
	s_waitcnt vmcnt(0)
	v_lshlrev_b32_e32 v16, 16, v16
	v_mul_f32_e32 v17, v7, v15
	v_mul_f32_e32 v15, v14, v15
	v_fma_f32 v14, v14, v16, -v17
	v_fmac_f32_e32 v15, v7, v16
	global_store_dword v[4:5], v14, off
	global_store_dword v[10:11], v15, off
	global_store_short v[12:13], v14, off
	global_store_short v[8:9], v15, off
	v_add_co_u32_e32 v4, vcc, s16, v4
	v_addc_co_u32_e32 v5, vcc, v5, v3, vcc
	s_andn2_b64 exec, exec, s[12:13]
	s_cbranch_execnz .LBB40_9
.LBB40_10:
	s_or_b64 exec, exec, s[34:35]
	v_cmp_gt_i32_e32 vcc, s10, v0
	s_and_saveexec_b64 s[0:1], vcc
	s_cbranch_execz .LBB40_13
; %bb.11:
	s_mul_i32 s0, s6, s15
	s_mul_hi_u32 s1, s6, s14
	s_add_i32 s1, s1, s0
	s_mul_i32 s0, s6, s14
	s_lshl_b64 s[0:1], s[0:1], 2
	s_add_u32 s6, s18, s0
	s_addc_u32 s7, s19, s1
	s_ashr_i32 s0, s8, 31
	s_mul_i32 s0, s28, s0
	s_add_i32 s0, s38, s0
	s_add_i32 s31, s0, s39
	s_lshl_b64 s[0:1], s[30:31], 1
	s_add_u32 s2, s2, s0
	s_addc_u32 s3, s3, s1
	s_ashr_i32 s0, s9, 31
	s_mul_i32 s36, s36, s0
	s_add_i32 s0, s37, s36
	s_load_dword s4, s[4:5], 0x8c
	s_add_i32 s27, s0, s29
	s_lshl_b64 s[0:1], s[26:27], 1
	s_add_u32 s2, s2, s0
	s_addc_u32 s5, s3, s1
	s_waitcnt lgkmcnt(0)
	s_and_b32 s3, s4, 0xffff
	s_mov_b64 s[0:1], 0
	v_mov_b32_e32 v2, s7
	v_mov_b32_e32 v3, s5
.LBB40_12:                              ; =>This Inner Loop Header: Depth=1
	v_ashrrev_i32_e32 v1, 31, v0
	v_lshlrev_b64 v[4:5], 2, v[0:1]
	v_add_co_u32_e32 v4, vcc, s6, v4
	v_addc_co_u32_e32 v5, vcc, v2, v5, vcc
	global_load_ushort v6, v[4:5], off
	v_lshlrev_b64 v[4:5], 1, v[0:1]
	v_add_co_u32_e32 v4, vcc, s2, v4
	v_addc_co_u32_e32 v5, vcc, v3, v5, vcc
	v_add_u32_e32 v0, s3, v0
	v_cmp_le_i32_e32 vcc, s10, v0
	s_or_b64 s[0:1], vcc, s[0:1]
	s_waitcnt vmcnt(0)
	global_store_short v[4:5], v6, off
	s_andn2_b64 exec, exec, s[0:1]
	s_cbranch_execnz .LBB40_12
.LBB40_13:
	s_endpgm
.LBB40_14:
                                        ; implicit-def: $sgpr28_sgpr29
	s_branch .LBB40_6
	.section	.rodata,"a",@progbits
	.p2align	6, 0x0
	.amdhsa_kernel _ZN4vllm38concat_and_cache_mla_rope_fused_kernelIfN3c108BFloat16ELb1E14__hip_bfloat16S3_LNS_18Fp8KVCacheDataTypeE0EEEvPKlPT_S8_PKS7_PKT0_illlliPT3_S6_iiiiPKf
		.amdhsa_group_segment_fixed_size 0
		.amdhsa_private_segment_fixed_size 0
		.amdhsa_kernarg_size 384
		.amdhsa_user_sgpr_count 6
		.amdhsa_user_sgpr_private_segment_buffer 1
		.amdhsa_user_sgpr_dispatch_ptr 0
		.amdhsa_user_sgpr_queue_ptr 0
		.amdhsa_user_sgpr_kernarg_segment_ptr 1
		.amdhsa_user_sgpr_dispatch_id 0
		.amdhsa_user_sgpr_flat_scratch_init 0
		.amdhsa_user_sgpr_kernarg_preload_length 0
		.amdhsa_user_sgpr_kernarg_preload_offset 0
		.amdhsa_user_sgpr_private_segment_size 0
		.amdhsa_uses_dynamic_stack 0
		.amdhsa_system_sgpr_private_segment_wavefront_offset 0
		.amdhsa_system_sgpr_workgroup_id_x 1
		.amdhsa_system_sgpr_workgroup_id_y 0
		.amdhsa_system_sgpr_workgroup_id_z 0
		.amdhsa_system_sgpr_workgroup_info 0
		.amdhsa_system_vgpr_workitem_id 0
		.amdhsa_next_free_vgpr 18
		.amdhsa_next_free_sgpr 46
		.amdhsa_accum_offset 20
		.amdhsa_reserve_vcc 1
		.amdhsa_reserve_flat_scratch 0
		.amdhsa_float_round_mode_32 0
		.amdhsa_float_round_mode_16_64 0
		.amdhsa_float_denorm_mode_32 3
		.amdhsa_float_denorm_mode_16_64 3
		.amdhsa_dx10_clamp 1
		.amdhsa_ieee_mode 1
		.amdhsa_fp16_overflow 0
		.amdhsa_tg_split 0
		.amdhsa_exception_fp_ieee_invalid_op 0
		.amdhsa_exception_fp_denorm_src 0
		.amdhsa_exception_fp_ieee_div_zero 0
		.amdhsa_exception_fp_ieee_overflow 0
		.amdhsa_exception_fp_ieee_underflow 0
		.amdhsa_exception_fp_ieee_inexact 0
		.amdhsa_exception_int_div_zero 0
	.end_amdhsa_kernel
	.section	.text._ZN4vllm38concat_and_cache_mla_rope_fused_kernelIfN3c108BFloat16ELb1E14__hip_bfloat16S3_LNS_18Fp8KVCacheDataTypeE0EEEvPKlPT_S8_PKS7_PKT0_illlliPT3_S6_iiiiPKf,"axG",@progbits,_ZN4vllm38concat_and_cache_mla_rope_fused_kernelIfN3c108BFloat16ELb1E14__hip_bfloat16S3_LNS_18Fp8KVCacheDataTypeE0EEEvPKlPT_S8_PKS7_PKT0_illlliPT3_S6_iiiiPKf,comdat
.Lfunc_end40:
	.size	_ZN4vllm38concat_and_cache_mla_rope_fused_kernelIfN3c108BFloat16ELb1E14__hip_bfloat16S3_LNS_18Fp8KVCacheDataTypeE0EEEvPKlPT_S8_PKS7_PKT0_illlliPT3_S6_iiiiPKf, .Lfunc_end40-_ZN4vllm38concat_and_cache_mla_rope_fused_kernelIfN3c108BFloat16ELb1E14__hip_bfloat16S3_LNS_18Fp8KVCacheDataTypeE0EEEvPKlPT_S8_PKS7_PKT0_illlliPT3_S6_iiiiPKf
                                        ; -- End function
	.section	.AMDGPU.csdata,"",@progbits
; Kernel info:
; codeLenInByte = 2072
; NumSgprs: 50
; NumVgprs: 18
; NumAgprs: 0
; TotalNumVgprs: 18
; ScratchSize: 0
; MemoryBound: 0
; FloatMode: 240
; IeeeMode: 1
; LDSByteSize: 0 bytes/workgroup (compile time only)
; SGPRBlocks: 6
; VGPRBlocks: 2
; NumSGPRsForWavesPerEU: 50
; NumVGPRsForWavesPerEU: 18
; AccumOffset: 20
; Occupancy: 8
; WaveLimiterHint : 1
; COMPUTE_PGM_RSRC2:SCRATCH_EN: 0
; COMPUTE_PGM_RSRC2:USER_SGPR: 6
; COMPUTE_PGM_RSRC2:TRAP_HANDLER: 0
; COMPUTE_PGM_RSRC2:TGID_X_EN: 1
; COMPUTE_PGM_RSRC2:TGID_Y_EN: 0
; COMPUTE_PGM_RSRC2:TGID_Z_EN: 0
; COMPUTE_PGM_RSRC2:TIDIG_COMP_CNT: 0
; COMPUTE_PGM_RSRC3_GFX90A:ACCUM_OFFSET: 4
; COMPUTE_PGM_RSRC3_GFX90A:TG_SPLIT: 0
	.section	.text._ZN4vllm38concat_and_cache_mla_rope_fused_kernelIfN3c108BFloat16ELb0E14__hip_bfloat16S3_LNS_18Fp8KVCacheDataTypeE0EEEvPKlPT_S8_PKS7_PKT0_illlliPT3_S6_iiiiPKf,"axG",@progbits,_ZN4vllm38concat_and_cache_mla_rope_fused_kernelIfN3c108BFloat16ELb0E14__hip_bfloat16S3_LNS_18Fp8KVCacheDataTypeE0EEEvPKlPT_S8_PKS7_PKT0_illlliPT3_S6_iiiiPKf,comdat
	.protected	_ZN4vllm38concat_and_cache_mla_rope_fused_kernelIfN3c108BFloat16ELb0E14__hip_bfloat16S3_LNS_18Fp8KVCacheDataTypeE0EEEvPKlPT_S8_PKS7_PKT0_illlliPT3_S6_iiiiPKf ; -- Begin function _ZN4vllm38concat_and_cache_mla_rope_fused_kernelIfN3c108BFloat16ELb0E14__hip_bfloat16S3_LNS_18Fp8KVCacheDataTypeE0EEEvPKlPT_S8_PKS7_PKT0_illlliPT3_S6_iiiiPKf
	.globl	_ZN4vllm38concat_and_cache_mla_rope_fused_kernelIfN3c108BFloat16ELb0E14__hip_bfloat16S3_LNS_18Fp8KVCacheDataTypeE0EEEvPKlPT_S8_PKS7_PKT0_illlliPT3_S6_iiiiPKf
	.p2align	8
	.type	_ZN4vllm38concat_and_cache_mla_rope_fused_kernelIfN3c108BFloat16ELb0E14__hip_bfloat16S3_LNS_18Fp8KVCacheDataTypeE0EEEvPKlPT_S8_PKS7_PKT0_illlliPT3_S6_iiiiPKf,@function
_ZN4vllm38concat_and_cache_mla_rope_fused_kernelIfN3c108BFloat16ELb0E14__hip_bfloat16S3_LNS_18Fp8KVCacheDataTypeE0EEEvPKlPT_S8_PKS7_PKT0_illlliPT3_S6_iiiiPKf: ; @_ZN4vllm38concat_and_cache_mla_rope_fused_kernelIfN3c108BFloat16ELb0E14__hip_bfloat16S3_LNS_18Fp8KVCacheDataTypeE0EEEvPKlPT_S8_PKS7_PKT0_illlliPT3_S6_iiiiPKf
; %bb.0:
	s_load_dwordx2 s[2:3], s[4:5], 0x60
	s_mov_b32 s7, 0
	s_lshl_b64 s[0:1], s[6:7], 3
	s_waitcnt lgkmcnt(0)
	s_add_u32 s2, s2, s0
	s_addc_u32 s3, s3, s1
	s_load_dwordx2 s[24:25], s[2:3], 0x0
	s_waitcnt lgkmcnt(0)
	v_cmp_lt_i64_e64 s[2:3], s[24:25], 0
	s_and_b64 vcc, exec, s[2:3]
	s_cbranch_vccnz .LBB41_13
; %bb.1:
	s_load_dword s7, s[4:5], 0x28
	s_load_dwordx2 s[2:3], s[4:5], 0x0
	s_load_dwordx4 s[16:19], s[4:5], 0x10
	v_lshlrev_b32_e32 v1, 1, v0
	s_waitcnt lgkmcnt(0)
	s_ashr_i32 s26, s7, 31
	s_add_u32 s0, s2, s0
	s_addc_u32 s1, s3, s1
	s_load_dwordx2 s[20:21], s[0:1], 0x0
	s_load_dwordx2 s[22:23], s[4:5], 0x20
	s_load_dwordx8 s[8:15], s[4:5], 0x30
	s_load_dwordx2 s[2:3], s[4:5], 0x58
	s_load_dword s28, s[4:5], 0x50
	s_waitcnt lgkmcnt(0)
	s_mul_i32 s0, s20, s26
	s_mul_hi_u32 s1, s20, s7
	s_mul_i32 s21, s21, s7
	s_add_i32 s0, s1, s0
	s_add_i32 s27, s0, s21
	s_lshr_b32 s0, s7, 31
	s_mul_i32 s26, s20, s7
	s_add_i32 s7, s7, s0
	s_ashr_i32 s20, s7, 1
	s_mul_i32 s7, s20, s28
	v_cmp_gt_i32_e32 vcc, s7, v0
	s_and_saveexec_b64 s[0:1], vcc
	s_cbranch_execz .LBB41_4
; %bb.2:
	s_lshl_b64 s[28:29], s[26:27], 1
	s_add_u32 s30, s22, s28
	s_addc_u32 s38, s23, s29
	s_load_dwordx2 s[28:29], s[4:5], 0x8
	s_load_dword s34, s[4:5], 0x8c
	s_mul_i32 s9, s6, s9
	s_mul_hi_u32 s31, s6, s8
	s_add_i32 s9, s31, s9
	s_mul_i32 s8, s6, s8
	s_ashr_i32 s21, s20, 31
	s_lshl_b64 s[8:9], s[8:9], 2
	s_waitcnt lgkmcnt(0)
	s_add_u32 s31, s28, s8
	s_addc_u32 s39, s29, s9
	s_abs_i32 s33, s20
	v_cvt_f32_u32_e32 v2, s33
	s_sub_i32 s8, 0, s33
	s_and_b32 s34, s34, 0xffff
	s_lshl_b64 s[28:29], s[20:21], 1
	v_rcp_iflag_f32_e32 v2, v2
	s_sub_i32 s35, 0, s20
	s_lshl_b32 s37, s34, 1
	v_mov_b32_e32 v5, s38
	v_mul_f32_e32 v2, 0x4f7ffffe, v2
	v_cvt_u32_f32_e32 v2, v2
	v_mov_b32_e32 v6, s29
	v_mov_b32_e32 v7, s39
	;; [unrolled: 1-line block ×3, first 2 shown]
	v_mul_lo_u32 v3, s8, v2
	v_mul_hi_u32 v3, v2, v3
	s_lshl_b32 s8, s20, 1
	v_add_u32_e32 v3, v2, v3
	s_sub_i32 s36, 0, s8
	s_mov_b64 s[8:9], 0
	v_mov_b32_e32 v2, v1
.LBB41_3:                               ; =>This Inner Loop Header: Depth=1
	v_sub_u32_e32 v9, 0, v4
	v_max_i32_e32 v9, v4, v9
	v_mul_hi_u32 v10, v9, v3
	v_mul_lo_u32 v11, v10, s33
	v_sub_u32_e32 v9, v9, v11
	v_add_u32_e32 v12, 1, v10
	v_cmp_le_u32_e32 vcc, s33, v9
	v_subrev_u32_e32 v11, s33, v9
	v_cndmask_b32_e32 v10, v10, v12, vcc
	v_cndmask_b32_e32 v9, v9, v11, vcc
	v_ashrrev_i32_e32 v8, 31, v4
	v_add_u32_e32 v11, 1, v10
	v_cmp_le_u32_e32 vcc, s33, v9
	v_xor_b32_e32 v8, s21, v8
	v_cndmask_b32_e32 v9, v10, v11, vcc
	v_xor_b32_e32 v9, v9, v8
	v_sub_u32_e32 v12, v9, v8
	v_mad_u64_u32 v[8:9], s[38:39], s35, v12, v[4:5]
	v_ashrrev_i32_e32 v9, 31, v8
	v_lshlrev_b64 v[8:9], 1, v[8:9]
	v_ashrrev_i32_e32 v14, 31, v12
	v_add_co_u32_e32 v8, vcc, s30, v8
	v_mul_lo_u32 v15, v12, s11
	v_mad_u64_u32 v[10:11], s[38:39], v12, s10, 0
	v_mul_lo_u32 v14, v14, s10
	v_addc_co_u32_e32 v9, vcc, v5, v9, vcc
	v_add3_u32 v11, v11, v15, v14
	v_add_co_u32_e32 v14, vcc, s28, v8
	v_mad_u64_u32 v[12:13], s[38:39], s36, v12, v[2:3]
	v_lshlrev_b64 v[10:11], 2, v[10:11]
	v_addc_co_u32_e32 v15, vcc, v9, v6, vcc
	v_ashrrev_i32_e32 v13, 31, v12
	v_add_co_u32_e32 v10, vcc, s31, v10
	v_lshlrev_b64 v[12:13], 2, v[12:13]
	v_addc_co_u32_e32 v11, vcc, v7, v11, vcc
	global_load_ushort v16, v[8:9], off
	global_load_ushort v17, v[14:15], off
	v_add_co_u32_e32 v8, vcc, v10, v12
	v_addc_co_u32_e32 v9, vcc, v11, v13, vcc
	global_load_dwordx2 v[10:11], v[8:9], off
	v_add_u32_e32 v4, s34, v4
	v_cmp_le_i32_e32 vcc, s7, v4
	v_add_u32_e32 v2, s37, v2
	s_or_b64 s[8:9], vcc, s[8:9]
	s_waitcnt vmcnt(2)
	v_lshlrev_b32_e32 v14, 16, v16
	s_waitcnt vmcnt(1)
	v_lshlrev_b32_e32 v12, 16, v17
	s_waitcnt vmcnt(0)
	v_mul_f32_e32 v15, v11, v12
	v_mul_f32_e32 v13, v10, v12
	v_fma_f32 v12, v10, v14, -v15
	v_fmac_f32_e32 v13, v11, v14
	global_store_dwordx2 v[8:9], v[12:13], off
	s_andn2_b64 exec, exec, s[8:9]
	s_cbranch_execnz .LBB41_3
.LBB41_4:
	s_or_b64 exec, exec, s[0:1]
	s_load_dwordx4 s[8:11], s[4:5], 0x68
	s_waitcnt lgkmcnt(0)
	s_ashr_i32 s29, s11, 31
	s_mov_b32 s28, s11
	s_or_b64 s[0:1], s[24:25], s[28:29]
	s_mov_b32 s0, 0
	s_cmp_lg_u64 s[0:1], 0
	s_cbranch_scc0 .LBB41_14
; %bb.5:
	s_add_u32 s0, s28, s29
	s_mov_b32 s34, s29
	s_mov_b32 s35, s29
	s_addc_u32 s1, s29, s29
	s_xor_b64 s[36:37], s[0:1], s[34:35]
	v_cvt_f32_u32_e32 v2, s36
	v_cvt_f32_u32_e32 v3, s37
	s_sub_u32 s0, 0, s36
	s_subb_u32 s1, 0, s37
	v_madmk_f32 v2, v3, 0x4f800000, v2
	v_rcp_f32_e32 v2, v2
	v_mul_f32_e32 v2, 0x5f7ffffc, v2
	v_mul_f32_e32 v3, 0x2f800000, v2
	v_trunc_f32_e32 v3, v3
	v_madmk_f32 v2, v3, 0xcf800000, v2
	v_cvt_u32_f32_e32 v3, v3
	v_cvt_u32_f32_e32 v2, v2
	v_readfirstlane_b32 s7, v3
	v_readfirstlane_b32 s11, v2
	s_mul_i32 s21, s0, s7
	s_mul_hi_u32 s38, s0, s11
	s_mul_i32 s33, s1, s11
	s_add_i32 s21, s38, s21
	s_add_i32 s21, s21, s33
	s_mul_i32 s39, s0, s11
	s_mul_hi_u32 s33, s11, s21
	s_mul_i32 s38, s11, s21
	s_mul_hi_u32 s11, s11, s39
	s_add_u32 s11, s11, s38
	s_addc_u32 s33, 0, s33
	s_mul_hi_u32 s40, s7, s39
	s_mul_i32 s39, s7, s39
	s_add_u32 s11, s11, s39
	s_mul_hi_u32 s38, s7, s21
	s_addc_u32 s11, s33, s40
	s_addc_u32 s33, s38, 0
	s_mul_i32 s21, s7, s21
	s_add_u32 s11, s11, s21
	s_addc_u32 s21, 0, s33
	v_add_co_u32_e32 v2, vcc, s11, v2
	s_cmp_lg_u64 vcc, 0
	s_addc_u32 s7, s7, s21
	v_readfirstlane_b32 s21, v2
	s_mul_i32 s11, s0, s7
	s_mul_hi_u32 s33, s0, s21
	s_add_i32 s11, s33, s11
	s_mul_i32 s1, s1, s21
	s_add_i32 s11, s11, s1
	s_mul_i32 s0, s0, s21
	s_mul_hi_u32 s33, s7, s0
	s_mul_i32 s38, s7, s0
	s_mul_i32 s40, s21, s11
	s_mul_hi_u32 s0, s21, s0
	s_mul_hi_u32 s39, s21, s11
	s_add_u32 s0, s0, s40
	s_addc_u32 s21, 0, s39
	s_add_u32 s0, s0, s38
	s_mul_hi_u32 s1, s7, s11
	s_addc_u32 s0, s21, s33
	s_addc_u32 s1, s1, 0
	s_mul_i32 s11, s7, s11
	s_add_u32 s0, s0, s11
	s_addc_u32 s1, 0, s1
	v_add_co_u32_e32 v2, vcc, s0, v2
	s_cmp_lg_u64 vcc, 0
	s_addc_u32 s7, s7, s1
	s_ashr_i32 s38, s25, 31
	s_add_u32 s0, s24, s38
	s_mov_b32 s39, s38
	s_addc_u32 s1, s25, s38
	s_xor_b64 s[40:41], s[0:1], s[38:39]
	v_readfirstlane_b32 s11, v2
	s_mul_i32 s1, s40, s7
	s_mul_hi_u32 s21, s40, s11
	s_mul_hi_u32 s0, s40, s7
	s_add_u32 s1, s21, s1
	s_addc_u32 s0, 0, s0
	s_mul_hi_u32 s33, s41, s11
	s_mul_i32 s11, s41, s11
	s_add_u32 s1, s1, s11
	s_mul_hi_u32 s21, s41, s7
	s_addc_u32 s0, s0, s33
	s_addc_u32 s1, s21, 0
	s_mul_i32 s7, s41, s7
	s_add_u32 s7, s0, s7
	s_addc_u32 s11, 0, s1
	s_mul_i32 s0, s36, s11
	s_mul_hi_u32 s1, s36, s7
	s_add_i32 s0, s1, s0
	s_mul_i32 s1, s37, s7
	s_add_i32 s21, s0, s1
	s_mul_i32 s1, s36, s7
	v_mov_b32_e32 v2, s1
	s_sub_i32 s0, s41, s21
	v_sub_co_u32_e32 v2, vcc, s40, v2
	s_cmp_lg_u64 vcc, 0
	s_subb_u32 s33, s0, s37
	v_subrev_co_u32_e64 v3, s[0:1], s36, v2
	s_cmp_lg_u64 s[0:1], 0
	s_subb_u32 s0, s33, 0
	s_cmp_ge_u32 s0, s37
	v_readfirstlane_b32 s33, v3
	s_cselect_b32 s1, -1, 0
	s_cmp_ge_u32 s33, s36
	s_cselect_b32 s33, -1, 0
	s_cmp_eq_u32 s0, s37
	s_cselect_b32 s0, s33, s1
	s_add_u32 s1, s7, 1
	s_addc_u32 s33, s11, 0
	s_add_u32 s40, s7, 2
	s_addc_u32 s42, s11, 0
	s_cmp_lg_u32 s0, 0
	s_cselect_b32 s0, s40, s1
	s_cselect_b32 s1, s42, s33
	s_cmp_lg_u64 vcc, 0
	s_subb_u32 s21, s41, s21
	s_cmp_ge_u32 s21, s37
	v_readfirstlane_b32 s40, v2
	s_cselect_b32 s33, -1, 0
	s_cmp_ge_u32 s40, s36
	s_cselect_b32 s36, -1, 0
	s_cmp_eq_u32 s21, s37
	s_cselect_b32 s21, s36, s33
	s_cmp_lg_u32 s21, 0
	s_cselect_b32 s1, s1, s11
	s_cselect_b32 s0, s0, s7
	s_xor_b64 s[34:35], s[38:39], s[34:35]
	s_xor_b64 s[0:1], s[0:1], s[34:35]
	s_sub_u32 s0, s0, s34
	s_subb_u32 s1, s1, s35
	s_cbranch_execnz .LBB41_7
.LBB41_6:
	v_cvt_f32_u32_e32 v2, s28
	s_sub_i32 s0, 0, s28
	s_mov_b32 s1, 0
	v_rcp_iflag_f32_e32 v2, v2
	v_mul_f32_e32 v2, 0x4f7ffffe, v2
	v_cvt_u32_f32_e32 v2, v2
	v_readfirstlane_b32 s7, v2
	s_mul_i32 s0, s0, s7
	s_mul_hi_u32 s0, s7, s0
	s_add_i32 s7, s7, s0
	s_mul_hi_u32 s0, s24, s7
	s_mul_i32 s11, s0, s28
	s_sub_i32 s11, s24, s11
	s_add_i32 s7, s0, 1
	s_sub_i32 s21, s11, s28
	s_cmp_ge_u32 s11, s28
	s_cselect_b32 s0, s7, s0
	s_cselect_b32 s11, s21, s11
	s_add_i32 s7, s0, 1
	s_cmp_ge_u32 s11, s28
	s_cselect_b32 s0, s7, s0
.LBB41_7:
	s_mul_i32 s7, s0, s29
	s_mul_hi_u32 s11, s0, s28
	s_add_i32 s7, s11, s7
	s_mul_i32 s11, s1, s28
	s_add_i32 s11, s7, s11
	s_mul_i32 s7, s0, s28
	s_sub_u32 s7, s24, s7
	s_subb_u32 s11, s25, s11
	v_cmp_gt_i32_e32 vcc, s20, v0
	s_mul_hi_u32 s34, s0, s8
	s_mul_i32 s35, s1, s8
	s_mul_i32 s28, s0, s8
	s_mul_hi_u32 s33, s7, s9
	s_mul_i32 s1, s11, s9
	s_mul_i32 s24, s7, s9
	s_and_saveexec_b64 s[30:31], vcc
	s_cbranch_execz .LBB41_10
; %bb.8:
	s_load_dword s25, s[4:5], 0x8c
	s_ashr_i32 s21, s20, 31
	s_ashr_i32 s29, s8, 31
	;; [unrolled: 1-line block ×4, first 2 shown]
	s_waitcnt lgkmcnt(0)
	s_and_b32 s36, s25, 0xffff
	s_lshl_b64 s[26:27], s[26:27], 1
	s_add_u32 s22, s22, s26
	s_addc_u32 s23, s23, s27
	v_mov_b32_e32 v3, s23
	v_add_co_u32_e32 v2, vcc, s22, v1
	s_lshl_b64 s[22:23], s[20:21], 1
	s_mul_i32 s13, s13, s6
	s_mul_hi_u32 s21, s12, s6
	s_add_i32 s13, s21, s13
	s_mul_i32 s12, s12, s6
	s_lshl_b32 s26, s36, 1
	s_lshl_b64 s[12:13], s[12:13], 2
	v_addc_co_u32_e32 v3, vcc, 0, v3, vcc
	v_lshlrev_b32_e32 v1, 3, v0
	s_add_u32 s12, s16, s12
	s_addc_u32 s13, s17, s13
	v_add_co_u32_e32 v1, vcc, s12, v1
	s_mul_i32 s12, s0, s29
	s_mul_i32 s17, s7, s37
	s_add_i32 s12, s34, s12
	s_add_i32 s17, s33, s17
	;; [unrolled: 1-line block ×4, first 2 shown]
	v_mov_b32_e32 v4, s13
	s_lshl_b32 s16, s36, 3
	s_lshl_b64 s[12:13], s[28:29], 1
	s_lshl_b64 s[38:39], s[24:25], 1
	s_add_u32 s17, s12, s38
	s_addc_u32 s25, s13, s39
	s_lshl_b64 s[12:13], s[10:11], 1
	s_add_u32 s11, s2, s12
	v_addc_co_u32_e32 v5, vcc, 0, v4, vcc
	s_addc_u32 s12, s3, s13
	v_add_co_u32_e32 v4, vcc, 4, v1
	s_add_u32 s11, s11, s17
	v_addc_co_u32_e32 v5, vcc, 0, v5, vcc
	v_lshlrev_b32_e32 v1, 2, v0
	s_addc_u32 s12, s12, s25
	s_mov_b32 s40, 0
	v_mov_b32_e32 v7, s12
	v_add_co_u32_e32 v6, vcc, s11, v1
	v_addc_co_u32_e32 v7, vcc, 0, v7, vcc
	s_lshl_b32 s11, s36, 2
	s_mov_b64 s[12:13], 0
	v_mov_b32_e32 v1, s23
	s_mov_b32 s17, 0x5040100
	v_mov_b32_e32 v8, s40
	v_mov_b32_e32 v9, s40
	;; [unrolled: 1-line block ×4, first 2 shown]
	s_mov_b32 s21, s40
	s_mov_b32 s25, s40
.LBB41_9:                               ; =>This Inner Loop Header: Depth=1
	v_add_co_u32_e32 v12, vcc, s22, v2
	global_load_ushort v16, v[2:3], off
	v_addc_co_u32_e32 v13, vcc, v3, v1, vcc
	global_load_ushort v17, v[12:13], off
	global_load_dwordx2 v[14:15], v[4:5], off offset:-4
	v_add_co_u32_e32 v2, vcc, s26, v2
	v_add_u32_e32 v11, s36, v11
	v_addc_co_u32_e32 v3, vcc, v3, v8, vcc
	v_cmp_le_i32_e32 vcc, s20, v11
	s_or_b64 s[12:13], vcc, s[12:13]
	s_waitcnt vmcnt(2)
	v_lshlrev_b32_e32 v12, 16, v16
	s_waitcnt vmcnt(1)
	v_lshlrev_b32_e32 v16, 16, v17
	s_waitcnt vmcnt(0)
	v_pk_mul_f32 v[16:17], v[14:15], v[16:17] op_sel_hi:[1,0]
	v_pk_fma_f32 v[18:19], v[14:15], v[12:13], v[16:17] op_sel:[0,0,1] op_sel_hi:[1,1,0] neg_lo:[0,0,1] neg_hi:[0,0,1]
	v_pk_fma_f32 v[12:13], v[14:15], v[12:13], v[16:17] op_sel:[0,0,1] op_sel_hi:[1,0,0]
	v_mov_b32_e32 v19, v13
	v_perm_b32 v12, v13, v18, s17
	global_store_dwordx2 v[4:5], v[18:19], off offset:-4
	global_store_dword v[6:7], v12, off
	v_add_co_u32_e32 v4, vcc, s16, v4
	v_addc_co_u32_e32 v5, vcc, v5, v9, vcc
	v_add_co_u32_e32 v6, vcc, s11, v6
	v_addc_co_u32_e32 v7, vcc, v7, v10, vcc
	s_andn2_b64 exec, exec, s[12:13]
	s_cbranch_execnz .LBB41_9
.LBB41_10:
	s_or_b64 exec, exec, s[30:31]
	v_cmp_gt_i32_e32 vcc, s10, v0
	s_and_saveexec_b64 s[12:13], vcc
	s_cbranch_execz .LBB41_13
; %bb.11:
	s_mul_i32 s11, s6, s15
	s_mul_hi_u32 s12, s6, s14
	s_add_i32 s13, s12, s11
	s_mul_i32 s12, s6, s14
	s_lshl_b64 s[12:13], s[12:13], 2
	s_add_u32 s6, s18, s12
	s_addc_u32 s11, s19, s13
	s_ashr_i32 s8, s8, 31
	s_mul_i32 s0, s0, s8
	s_add_i32 s0, s34, s0
	s_add_i32 s29, s0, s35
	s_lshl_b64 s[12:13], s[28:29], 1
	s_add_u32 s2, s2, s12
	s_addc_u32 s3, s3, s13
	s_ashr_i32 s0, s9, 31
	s_mul_i32 s7, s7, s0
	s_add_i32 s0, s33, s7
	s_load_dword s4, s[4:5], 0x8c
	s_add_i32 s25, s0, s1
	s_lshl_b64 s[0:1], s[24:25], 1
	s_add_u32 s2, s2, s0
	s_addc_u32 s5, s3, s1
	s_waitcnt lgkmcnt(0)
	s_and_b32 s3, s4, 0xffff
	s_mov_b64 s[0:1], 0
	v_mov_b32_e32 v2, s11
	v_mov_b32_e32 v3, s5
.LBB41_12:                              ; =>This Inner Loop Header: Depth=1
	v_ashrrev_i32_e32 v1, 31, v0
	v_lshlrev_b64 v[4:5], 2, v[0:1]
	v_add_co_u32_e32 v4, vcc, s6, v4
	v_addc_co_u32_e32 v5, vcc, v2, v5, vcc
	global_load_ushort v6, v[4:5], off
	v_lshlrev_b64 v[4:5], 1, v[0:1]
	v_add_co_u32_e32 v4, vcc, s2, v4
	v_addc_co_u32_e32 v5, vcc, v3, v5, vcc
	v_add_u32_e32 v0, s3, v0
	v_cmp_le_i32_e32 vcc, s10, v0
	s_or_b64 s[0:1], vcc, s[0:1]
	s_waitcnt vmcnt(0)
	global_store_short v[4:5], v6, off
	s_andn2_b64 exec, exec, s[0:1]
	s_cbranch_execnz .LBB41_12
.LBB41_13:
	s_endpgm
.LBB41_14:
                                        ; implicit-def: $sgpr0_sgpr1
	s_branch .LBB41_6
	.section	.rodata,"a",@progbits
	.p2align	6, 0x0
	.amdhsa_kernel _ZN4vllm38concat_and_cache_mla_rope_fused_kernelIfN3c108BFloat16ELb0E14__hip_bfloat16S3_LNS_18Fp8KVCacheDataTypeE0EEEvPKlPT_S8_PKS7_PKT0_illlliPT3_S6_iiiiPKf
		.amdhsa_group_segment_fixed_size 0
		.amdhsa_private_segment_fixed_size 0
		.amdhsa_kernarg_size 384
		.amdhsa_user_sgpr_count 6
		.amdhsa_user_sgpr_private_segment_buffer 1
		.amdhsa_user_sgpr_dispatch_ptr 0
		.amdhsa_user_sgpr_queue_ptr 0
		.amdhsa_user_sgpr_kernarg_segment_ptr 1
		.amdhsa_user_sgpr_dispatch_id 0
		.amdhsa_user_sgpr_flat_scratch_init 0
		.amdhsa_user_sgpr_kernarg_preload_length 0
		.amdhsa_user_sgpr_kernarg_preload_offset 0
		.amdhsa_user_sgpr_private_segment_size 0
		.amdhsa_uses_dynamic_stack 0
		.amdhsa_system_sgpr_private_segment_wavefront_offset 0
		.amdhsa_system_sgpr_workgroup_id_x 1
		.amdhsa_system_sgpr_workgroup_id_y 0
		.amdhsa_system_sgpr_workgroup_id_z 0
		.amdhsa_system_sgpr_workgroup_info 0
		.amdhsa_system_vgpr_workitem_id 0
		.amdhsa_next_free_vgpr 20
		.amdhsa_next_free_sgpr 43
		.amdhsa_accum_offset 20
		.amdhsa_reserve_vcc 1
		.amdhsa_reserve_flat_scratch 0
		.amdhsa_float_round_mode_32 0
		.amdhsa_float_round_mode_16_64 0
		.amdhsa_float_denorm_mode_32 3
		.amdhsa_float_denorm_mode_16_64 3
		.amdhsa_dx10_clamp 1
		.amdhsa_ieee_mode 1
		.amdhsa_fp16_overflow 0
		.amdhsa_tg_split 0
		.amdhsa_exception_fp_ieee_invalid_op 0
		.amdhsa_exception_fp_denorm_src 0
		.amdhsa_exception_fp_ieee_div_zero 0
		.amdhsa_exception_fp_ieee_overflow 0
		.amdhsa_exception_fp_ieee_underflow 0
		.amdhsa_exception_fp_ieee_inexact 0
		.amdhsa_exception_int_div_zero 0
	.end_amdhsa_kernel
	.section	.text._ZN4vllm38concat_and_cache_mla_rope_fused_kernelIfN3c108BFloat16ELb0E14__hip_bfloat16S3_LNS_18Fp8KVCacheDataTypeE0EEEvPKlPT_S8_PKS7_PKT0_illlliPT3_S6_iiiiPKf,"axG",@progbits,_ZN4vllm38concat_and_cache_mla_rope_fused_kernelIfN3c108BFloat16ELb0E14__hip_bfloat16S3_LNS_18Fp8KVCacheDataTypeE0EEEvPKlPT_S8_PKS7_PKT0_illlliPT3_S6_iiiiPKf,comdat
.Lfunc_end41:
	.size	_ZN4vllm38concat_and_cache_mla_rope_fused_kernelIfN3c108BFloat16ELb0E14__hip_bfloat16S3_LNS_18Fp8KVCacheDataTypeE0EEEvPKlPT_S8_PKS7_PKT0_illlliPT3_S6_iiiiPKf, .Lfunc_end41-_ZN4vllm38concat_and_cache_mla_rope_fused_kernelIfN3c108BFloat16ELb0E14__hip_bfloat16S3_LNS_18Fp8KVCacheDataTypeE0EEEvPKlPT_S8_PKS7_PKT0_illlliPT3_S6_iiiiPKf
                                        ; -- End function
	.section	.AMDGPU.csdata,"",@progbits
; Kernel info:
; codeLenInByte = 2008
; NumSgprs: 47
; NumVgprs: 20
; NumAgprs: 0
; TotalNumVgprs: 20
; ScratchSize: 0
; MemoryBound: 0
; FloatMode: 240
; IeeeMode: 1
; LDSByteSize: 0 bytes/workgroup (compile time only)
; SGPRBlocks: 5
; VGPRBlocks: 2
; NumSGPRsForWavesPerEU: 47
; NumVGPRsForWavesPerEU: 20
; AccumOffset: 20
; Occupancy: 8
; WaveLimiterHint : 1
; COMPUTE_PGM_RSRC2:SCRATCH_EN: 0
; COMPUTE_PGM_RSRC2:USER_SGPR: 6
; COMPUTE_PGM_RSRC2:TRAP_HANDLER: 0
; COMPUTE_PGM_RSRC2:TGID_X_EN: 1
; COMPUTE_PGM_RSRC2:TGID_Y_EN: 0
; COMPUTE_PGM_RSRC2:TGID_Z_EN: 0
; COMPUTE_PGM_RSRC2:TIDIG_COMP_CNT: 0
; COMPUTE_PGM_RSRC3_GFX90A:ACCUM_OFFSET: 4
; COMPUTE_PGM_RSRC3_GFX90A:TG_SPLIT: 0
	.section	.text._ZN4vllm38concat_and_cache_mla_rope_fused_kernelIN3c104HalfEfLb1E14__hip_bfloat16S3_LNS_18Fp8KVCacheDataTypeE0EEEvPKlPT_S8_PKS7_PKT0_illlliPT3_S6_iiiiPKf,"axG",@progbits,_ZN4vllm38concat_and_cache_mla_rope_fused_kernelIN3c104HalfEfLb1E14__hip_bfloat16S3_LNS_18Fp8KVCacheDataTypeE0EEEvPKlPT_S8_PKS7_PKT0_illlliPT3_S6_iiiiPKf,comdat
	.protected	_ZN4vllm38concat_and_cache_mla_rope_fused_kernelIN3c104HalfEfLb1E14__hip_bfloat16S3_LNS_18Fp8KVCacheDataTypeE0EEEvPKlPT_S8_PKS7_PKT0_illlliPT3_S6_iiiiPKf ; -- Begin function _ZN4vllm38concat_and_cache_mla_rope_fused_kernelIN3c104HalfEfLb1E14__hip_bfloat16S3_LNS_18Fp8KVCacheDataTypeE0EEEvPKlPT_S8_PKS7_PKT0_illlliPT3_S6_iiiiPKf
	.globl	_ZN4vllm38concat_and_cache_mla_rope_fused_kernelIN3c104HalfEfLb1E14__hip_bfloat16S3_LNS_18Fp8KVCacheDataTypeE0EEEvPKlPT_S8_PKS7_PKT0_illlliPT3_S6_iiiiPKf
	.p2align	8
	.type	_ZN4vllm38concat_and_cache_mla_rope_fused_kernelIN3c104HalfEfLb1E14__hip_bfloat16S3_LNS_18Fp8KVCacheDataTypeE0EEEvPKlPT_S8_PKS7_PKT0_illlliPT3_S6_iiiiPKf,@function
_ZN4vllm38concat_and_cache_mla_rope_fused_kernelIN3c104HalfEfLb1E14__hip_bfloat16S3_LNS_18Fp8KVCacheDataTypeE0EEEvPKlPT_S8_PKS7_PKT0_illlliPT3_S6_iiiiPKf: ; @_ZN4vllm38concat_and_cache_mla_rope_fused_kernelIN3c104HalfEfLb1E14__hip_bfloat16S3_LNS_18Fp8KVCacheDataTypeE0EEEvPKlPT_S8_PKS7_PKT0_illlliPT3_S6_iiiiPKf
; %bb.0:
	s_load_dwordx2 s[2:3], s[4:5], 0x60
	s_mov_b32 s7, 0
	s_lshl_b64 s[0:1], s[6:7], 3
	s_waitcnt lgkmcnt(0)
	s_add_u32 s2, s2, s0
	s_addc_u32 s3, s3, s1
	s_load_dwordx2 s[26:27], s[2:3], 0x0
	s_waitcnt lgkmcnt(0)
	v_cmp_lt_i64_e64 s[2:3], s[26:27], 0
	s_and_b64 vcc, exec, s[2:3]
	s_cbranch_vccnz .LBB42_13
; %bb.1:
	s_load_dword s7, s[4:5], 0x28
	s_load_dwordx2 s[2:3], s[4:5], 0x0
	s_load_dwordx4 s[16:19], s[4:5], 0x10
	s_waitcnt lgkmcnt(0)
	s_ashr_i32 s24, s7, 31
	s_add_u32 s0, s2, s0
	s_addc_u32 s1, s3, s1
	s_load_dwordx2 s[20:21], s[0:1], 0x0
	s_load_dwordx2 s[22:23], s[4:5], 0x20
	s_load_dwordx8 s[8:15], s[4:5], 0x30
	s_load_dwordx2 s[2:3], s[4:5], 0x58
	s_load_dword s28, s[4:5], 0x50
	s_waitcnt lgkmcnt(0)
	s_mul_i32 s0, s20, s24
	s_mul_hi_u32 s1, s20, s7
	s_mul_i32 s21, s21, s7
	s_add_i32 s0, s1, s0
	s_add_i32 s25, s0, s21
	s_lshr_b32 s0, s7, 31
	s_mul_i32 s24, s20, s7
	s_add_i32 s7, s7, s0
	s_ashr_i32 s20, s7, 1
	s_mul_i32 s7, s20, s28
	v_cmp_gt_i32_e32 vcc, s7, v0
	s_and_saveexec_b64 s[0:1], vcc
	s_cbranch_execz .LBB42_4
; %bb.2:
	s_lshl_b64 s[28:29], s[24:25], 2
	s_add_u32 s33, s22, s28
	s_addc_u32 s30, s23, s29
	s_load_dwordx2 s[28:29], s[4:5], 0x8
	s_mul_i32 s9, s6, s9
	s_mul_hi_u32 s31, s6, s8
	s_add_i32 s9, s31, s9
	s_load_dword s31, s[4:5], 0x8c
	s_mul_i32 s8, s6, s8
	s_ashr_i32 s21, s20, 31
	s_lshl_b64 s[8:9], s[8:9], 1
	s_waitcnt lgkmcnt(0)
	s_add_u32 s34, s28, s8
	s_addc_u32 s38, s29, s9
	s_abs_i32 s35, s20
	v_cvt_f32_u32_e32 v1, s35
	s_sub_i32 s8, 0, s35
	s_and_b32 s36, s31, 0xffff
	v_mov_b32_e32 v3, s30
	v_rcp_iflag_f32_e32 v1, v1
	s_lshl_b64 s[28:29], s[20:21], 2
	s_lshl_b64 s[30:31], s[20:21], 1
	s_sub_i32 s37, 0, s20
	v_mul_f32_e32 v1, 0x4f7ffffe, v1
	v_cvt_u32_f32_e32 v1, v1
	v_mov_b32_e32 v4, s29
	v_mov_b32_e32 v5, s38
	;; [unrolled: 1-line block ×3, first 2 shown]
	v_mul_lo_u32 v2, s8, v1
	v_mul_hi_u32 v2, v1, v2
	v_add_u32_e32 v1, v1, v2
	s_mov_b64 s[8:9], 0
	v_mov_b32_e32 v2, v0
.LBB42_3:                               ; =>This Inner Loop Header: Depth=1
	v_sub_u32_e32 v8, 0, v2
	v_max_i32_e32 v8, v2, v8
	v_mul_hi_u32 v9, v8, v1
	v_mul_lo_u32 v10, v9, s35
	v_sub_u32_e32 v8, v8, v10
	v_add_u32_e32 v11, 1, v9
	v_cmp_le_u32_e32 vcc, s35, v8
	v_subrev_u32_e32 v10, s35, v8
	v_cndmask_b32_e32 v9, v9, v11, vcc
	v_cndmask_b32_e32 v8, v8, v10, vcc
	v_ashrrev_i32_e32 v7, 31, v2
	v_add_u32_e32 v10, 1, v9
	v_cmp_le_u32_e32 vcc, s35, v8
	v_xor_b32_e32 v7, s21, v7
	v_cndmask_b32_e32 v8, v9, v10, vcc
	v_xor_b32_e32 v8, v8, v7
	v_sub_u32_e32 v7, v8, v7
	v_mad_u64_u32 v[8:9], s[38:39], s37, v7, v[2:3]
	v_ashrrev_i32_e32 v12, 31, v7
	v_ashrrev_i32_e32 v9, 31, v8
	v_mul_lo_u32 v14, v7, s11
	v_mad_u64_u32 v[10:11], s[38:39], v7, s10, 0
	v_mul_lo_u32 v7, v12, s10
	v_lshlrev_b64 v[12:13], 2, v[8:9]
	v_add_co_u32_e32 v12, vcc, s33, v12
	v_addc_co_u32_e32 v13, vcc, v3, v13, vcc
	v_add3_u32 v11, v11, v14, v7
	v_add_co_u32_e32 v14, vcc, s28, v12
	v_lshlrev_b64 v[10:11], 1, v[10:11]
	v_addc_co_u32_e32 v15, vcc, v13, v4, vcc
	v_add_co_u32_e32 v7, vcc, s34, v10
	v_lshlrev_b64 v[8:9], 1, v[8:9]
	v_addc_co_u32_e32 v10, vcc, v5, v11, vcc
	global_load_dword v16, v[12:13], off
	global_load_dword v17, v[14:15], off
	v_add_co_u32_e32 v8, vcc, v7, v8
	v_addc_co_u32_e32 v9, vcc, v10, v9, vcc
	v_add_co_u32_e32 v10, vcc, s30, v8
	v_addc_co_u32_e32 v11, vcc, v9, v6, vcc
	global_load_ushort v7, v[8:9], off
	global_load_ushort v12, v[10:11], off
	v_add_u32_e32 v2, s36, v2
	v_cmp_le_i32_e32 vcc, s7, v2
	s_or_b64 s[8:9], vcc, s[8:9]
	s_waitcnt vmcnt(3)
	v_cvt_f16_f32_e32 v13, v16
	s_waitcnt vmcnt(2)
	v_cvt_f16_f32_e32 v14, v17
	s_waitcnt vmcnt(0)
	v_mul_f16_e32 v15, v12, v13
	v_mul_f16_e32 v12, v12, v14
	v_fma_f16 v14, v7, v14, v15
	v_fma_f16 v7, v7, v13, -v12
	global_store_short v[8:9], v7, off
	global_store_short v[10:11], v14, off
	s_andn2_b64 exec, exec, s[8:9]
	s_cbranch_execnz .LBB42_3
.LBB42_4:
	s_or_b64 exec, exec, s[0:1]
	s_load_dwordx4 s[8:11], s[4:5], 0x68
	s_waitcnt lgkmcnt(0)
	s_ashr_i32 s31, s11, 31
	s_mov_b32 s30, s11
	s_or_b64 s[0:1], s[26:27], s[30:31]
	s_mov_b32 s0, 0
	s_cmp_lg_u64 s[0:1], 0
	s_cbranch_scc0 .LBB42_14
; %bb.5:
	s_add_u32 s0, s30, s31
	s_mov_b32 s28, s31
	s_mov_b32 s29, s31
	s_addc_u32 s1, s31, s31
	s_xor_b64 s[36:37], s[0:1], s[28:29]
	v_cvt_f32_u32_e32 v1, s36
	v_cvt_f32_u32_e32 v2, s37
	s_sub_u32 s0, 0, s36
	s_subb_u32 s1, 0, s37
	v_madmk_f32 v1, v2, 0x4f800000, v1
	v_rcp_f32_e32 v1, v1
	v_mul_f32_e32 v1, 0x5f7ffffc, v1
	v_mul_f32_e32 v2, 0x2f800000, v1
	v_trunc_f32_e32 v2, v2
	v_madmk_f32 v1, v2, 0xcf800000, v1
	v_cvt_u32_f32_e32 v2, v2
	v_cvt_u32_f32_e32 v1, v1
	v_readfirstlane_b32 s7, v2
	v_readfirstlane_b32 s11, v1
	s_mul_i32 s21, s0, s7
	s_mul_hi_u32 s38, s0, s11
	s_mul_i32 s33, s1, s11
	s_add_i32 s21, s38, s21
	s_add_i32 s21, s21, s33
	s_mul_i32 s39, s0, s11
	s_mul_hi_u32 s33, s11, s21
	s_mul_i32 s38, s11, s21
	s_mul_hi_u32 s11, s11, s39
	s_add_u32 s11, s11, s38
	s_addc_u32 s33, 0, s33
	s_mul_hi_u32 s40, s7, s39
	s_mul_i32 s39, s7, s39
	s_add_u32 s11, s11, s39
	s_mul_hi_u32 s38, s7, s21
	s_addc_u32 s11, s33, s40
	s_addc_u32 s33, s38, 0
	s_mul_i32 s21, s7, s21
	s_add_u32 s11, s11, s21
	s_addc_u32 s21, 0, s33
	v_add_co_u32_e32 v1, vcc, s11, v1
	s_cmp_lg_u64 vcc, 0
	s_addc_u32 s7, s7, s21
	v_readfirstlane_b32 s21, v1
	s_mul_i32 s11, s0, s7
	s_mul_hi_u32 s33, s0, s21
	s_add_i32 s11, s33, s11
	s_mul_i32 s1, s1, s21
	s_add_i32 s11, s11, s1
	s_mul_i32 s0, s0, s21
	s_mul_hi_u32 s33, s7, s0
	s_mul_i32 s38, s7, s0
	s_mul_i32 s40, s21, s11
	s_mul_hi_u32 s0, s21, s0
	s_mul_hi_u32 s39, s21, s11
	s_add_u32 s0, s0, s40
	s_addc_u32 s21, 0, s39
	s_add_u32 s0, s0, s38
	s_mul_hi_u32 s1, s7, s11
	s_addc_u32 s0, s21, s33
	s_addc_u32 s1, s1, 0
	s_mul_i32 s11, s7, s11
	s_add_u32 s0, s0, s11
	s_addc_u32 s1, 0, s1
	v_add_co_u32_e32 v1, vcc, s0, v1
	s_cmp_lg_u64 vcc, 0
	s_addc_u32 s7, s7, s1
	s_ashr_i32 s38, s27, 31
	s_add_u32 s0, s26, s38
	s_mov_b32 s39, s38
	s_addc_u32 s1, s27, s38
	s_xor_b64 s[40:41], s[0:1], s[38:39]
	v_readfirstlane_b32 s11, v1
	s_mul_i32 s1, s40, s7
	s_mul_hi_u32 s21, s40, s11
	s_mul_hi_u32 s0, s40, s7
	s_add_u32 s1, s21, s1
	s_addc_u32 s0, 0, s0
	s_mul_hi_u32 s33, s41, s11
	s_mul_i32 s11, s41, s11
	s_add_u32 s1, s1, s11
	s_mul_hi_u32 s21, s41, s7
	s_addc_u32 s0, s0, s33
	s_addc_u32 s1, s21, 0
	s_mul_i32 s7, s41, s7
	s_add_u32 s7, s0, s7
	s_addc_u32 s11, 0, s1
	s_mul_i32 s0, s36, s11
	s_mul_hi_u32 s1, s36, s7
	s_add_i32 s0, s1, s0
	s_mul_i32 s1, s37, s7
	s_add_i32 s21, s0, s1
	s_mul_i32 s1, s36, s7
	v_mov_b32_e32 v1, s1
	s_sub_i32 s0, s41, s21
	v_sub_co_u32_e32 v1, vcc, s40, v1
	s_cmp_lg_u64 vcc, 0
	s_subb_u32 s33, s0, s37
	v_subrev_co_u32_e64 v2, s[0:1], s36, v1
	s_cmp_lg_u64 s[0:1], 0
	s_subb_u32 s0, s33, 0
	s_cmp_ge_u32 s0, s37
	v_readfirstlane_b32 s33, v2
	s_cselect_b32 s1, -1, 0
	s_cmp_ge_u32 s33, s36
	s_cselect_b32 s33, -1, 0
	s_cmp_eq_u32 s0, s37
	s_cselect_b32 s0, s33, s1
	s_add_u32 s1, s7, 1
	s_addc_u32 s33, s11, 0
	s_add_u32 s40, s7, 2
	s_addc_u32 s42, s11, 0
	s_cmp_lg_u32 s0, 0
	s_cselect_b32 s0, s40, s1
	s_cselect_b32 s1, s42, s33
	s_cmp_lg_u64 vcc, 0
	s_subb_u32 s21, s41, s21
	s_cmp_ge_u32 s21, s37
	v_readfirstlane_b32 s40, v1
	s_cselect_b32 s33, -1, 0
	s_cmp_ge_u32 s40, s36
	s_cselect_b32 s36, -1, 0
	s_cmp_eq_u32 s21, s37
	s_cselect_b32 s21, s36, s33
	s_cmp_lg_u32 s21, 0
	s_cselect_b32 s1, s1, s11
	s_cselect_b32 s0, s0, s7
	s_xor_b64 s[28:29], s[38:39], s[28:29]
	s_xor_b64 s[0:1], s[0:1], s[28:29]
	s_sub_u32 s28, s0, s28
	s_subb_u32 s29, s1, s29
	s_cbranch_execnz .LBB42_7
.LBB42_6:
	v_cvt_f32_u32_e32 v1, s30
	s_sub_i32 s0, 0, s30
	s_mov_b32 s29, 0
	v_rcp_iflag_f32_e32 v1, v1
	v_mul_f32_e32 v1, 0x4f7ffffe, v1
	v_cvt_u32_f32_e32 v1, v1
	v_readfirstlane_b32 s1, v1
	s_mul_i32 s0, s0, s1
	s_mul_hi_u32 s0, s1, s0
	s_add_i32 s1, s1, s0
	s_mul_hi_u32 s0, s26, s1
	s_mul_i32 s7, s0, s30
	s_sub_i32 s7, s26, s7
	s_add_i32 s1, s0, 1
	s_sub_i32 s11, s7, s30
	s_cmp_ge_u32 s7, s30
	s_cselect_b32 s0, s1, s0
	s_cselect_b32 s7, s11, s7
	s_add_i32 s1, s0, 1
	s_cmp_ge_u32 s7, s30
	s_cselect_b32 s28, s1, s0
.LBB42_7:
	s_mul_i32 s0, s28, s31
	s_mul_hi_u32 s1, s28, s30
	s_add_i32 s0, s1, s0
	s_mul_i32 s1, s29, s30
	s_add_i32 s0, s0, s1
	s_mul_i32 s1, s28, s30
	s_sub_u32 s33, s26, s1
	s_subb_u32 s7, s27, s0
	v_cmp_gt_i32_e32 vcc, s20, v0
	s_mul_hi_u32 s36, s28, s8
	s_mul_i32 s37, s29, s8
	s_mul_i32 s30, s28, s8
	s_mul_hi_u32 s29, s33, s9
	s_mul_i32 s7, s7, s9
	s_mul_i32 s26, s33, s9
	s_and_saveexec_b64 s[34:35], vcc
	s_cbranch_execz .LBB42_10
; %bb.8:
	s_mul_i32 s0, s6, s13
	s_mul_hi_u32 s1, s6, s12
	s_add_i32 s1, s1, s0
	s_mul_i32 s0, s6, s12
	s_ashr_i32 s21, s20, 31
	s_lshl_b64 s[0:1], s[0:1], 1
	s_add_u32 s38, s16, s0
	s_addc_u32 s39, s17, s1
	s_ashr_i32 s11, s8, 31
	s_mul_i32 s11, s28, s11
	s_add_i32 s11, s36, s11
	s_add_i32 s31, s11, s37
	s_ashr_i32 s11, s9, 31
	s_mul_i32 s11, s33, s11
	s_add_i32 s11, s29, s11
	s_add_i32 s27, s11, s7
	s_lshl_b64 s[12:13], s[30:31], 1
	s_lshl_b64 s[40:41], s[26:27], 1
	s_add_u32 s44, s12, s40
	s_addc_u32 s45, s13, s41
	s_load_dword s31, s[4:5], 0x8c
	s_add_u32 s12, s44, s2
	s_addc_u32 s13, s45, s3
	s_ashr_i32 s11, s10, 31
	s_lshl_b64 s[40:41], s[10:11], 1
	s_add_u32 s11, s12, s40
	s_addc_u32 s27, s13, s41
	s_waitcnt lgkmcnt(0)
	s_and_b32 s31, s31, 0xffff
	s_lshl_b64 s[12:13], s[24:25], 2
	s_add_u32 s12, s22, s12
	v_lshlrev_b32_e32 v1, 2, v0
	s_addc_u32 s13, s23, s13
	v_mov_b32_e32 v3, s13
	v_add_co_u32_e32 v2, vcc, s12, v1
	s_lshl_b32 s22, s31, 2
	s_lshl_b64 s[12:13], s[20:21], 2
	s_lshl_b64 s[42:43], s[20:21], 1
	s_add_u32 s0, s0, s42
	s_addc_u32 s1, s1, s43
	s_add_u32 s21, s16, s0
	s_addc_u32 s23, s17, s1
	s_lshl_b32 s24, s31, 1
	s_add_u32 s0, s44, s42
	s_addc_u32 s1, s45, s43
	s_add_u32 s0, s0, s40
	s_addc_u32 s1, s1, s41
	s_mov_b32 s46, 0
	s_add_u32 s25, s2, s0
	v_addc_co_u32_e32 v3, vcc, 0, v3, vcc
	v_lshlrev_b32_e32 v4, 1, v0
	s_addc_u32 s40, s3, s1
	s_mov_b64 s[16:17], 0
	v_mov_b32_e32 v1, s13
	v_mov_b32_e32 v5, s46
	;; [unrolled: 1-line block ×3, first 2 shown]
.LBB42_9:                               ; =>This Inner Loop Header: Depth=1
	v_add_co_u32_e32 v8, vcc, s12, v2
	v_addc_co_u32_e32 v9, vcc, v3, v1, vcc
	global_load_dword v7, v[2:3], off
	global_load_dword v16, v[8:9], off
	v_mov_b32_e32 v11, s39
	v_mov_b32_e32 v14, s23
	v_add_co_u32_e32 v10, vcc, s21, v4
	v_add_co_u32_e64 v12, s[0:1], s38, v4
	v_addc_co_u32_e64 v13, s[0:1], 0, v11, s[0:1]
	v_addc_co_u32_e32 v11, vcc, 0, v14, vcc
	global_load_ushort v17, v[10:11], off
	global_load_ushort v18, v[12:13], off
	s_add_u32 s21, s21, s24
	s_addc_u32 s23, s23, 0
	s_add_u32 s38, s38, s24
	v_add_co_u32_e64 v2, s[0:1], s22, v2
	s_addc_u32 s39, s39, 0
	v_add_co_u32_e32 v8, vcc, s25, v4
	v_addc_co_u32_e64 v3, s[0:1], v3, v5, s[0:1]
	s_add_u32 s25, s25, s24
	v_mov_b32_e32 v9, s27
	v_mov_b32_e32 v19, s40
	v_add_co_u32_e64 v14, s[0:1], s11, v4
	s_addc_u32 s40, s40, 0
	v_add_u32_e32 v6, s31, v6
	v_addc_co_u32_e64 v15, s[0:1], 0, v9, s[0:1]
	v_addc_co_u32_e32 v9, vcc, 0, v19, vcc
	s_add_u32 s11, s11, s24
	v_cmp_le_i32_e32 vcc, s20, v6
	s_addc_u32 s27, s27, 0
	s_or_b64 s[16:17], vcc, s[16:17]
	s_waitcnt vmcnt(3)
	v_cvt_f16_f32_e32 v7, v7
	s_waitcnt vmcnt(2)
	v_cvt_f16_f32_e32 v16, v16
	s_waitcnt vmcnt(1)
	v_mul_f16_e32 v19, v17, v7
	v_mul_f16_e32 v17, v17, v16
	s_waitcnt vmcnt(0)
	v_fma_f16 v7, v18, v7, -v17
	v_fma_f16 v16, v18, v16, v19
	global_store_short v[12:13], v7, off
	global_store_short v[10:11], v16, off
	;; [unrolled: 1-line block ×4, first 2 shown]
	s_andn2_b64 exec, exec, s[16:17]
	s_cbranch_execnz .LBB42_9
.LBB42_10:
	s_or_b64 exec, exec, s[34:35]
	v_cmp_gt_i32_e32 vcc, s10, v0
	s_and_saveexec_b64 s[0:1], vcc
	s_cbranch_execz .LBB42_13
; %bb.11:
	s_mul_i32 s0, s6, s15
	s_mul_hi_u32 s1, s6, s14
	s_add_i32 s1, s1, s0
	s_mul_i32 s0, s6, s14
	s_lshl_b64 s[0:1], s[0:1], 1
	s_add_u32 s6, s18, s0
	s_addc_u32 s11, s19, s1
	s_ashr_i32 s0, s8, 31
	s_mul_i32 s0, s28, s0
	s_add_i32 s0, s36, s0
	s_add_i32 s31, s0, s37
	s_lshl_b64 s[0:1], s[30:31], 1
	s_add_u32 s2, s2, s0
	s_addc_u32 s3, s3, s1
	s_ashr_i32 s0, s9, 31
	s_mul_i32 s33, s33, s0
	s_add_i32 s0, s29, s33
	s_load_dword s4, s[4:5], 0x8c
	s_add_i32 s27, s0, s7
	s_lshl_b64 s[0:1], s[26:27], 1
	s_add_u32 s2, s2, s0
	s_addc_u32 s5, s3, s1
	s_waitcnt lgkmcnt(0)
	s_and_b32 s3, s4, 0xffff
	s_mov_b64 s[0:1], 0
	v_mov_b32_e32 v2, s11
	v_mov_b32_e32 v3, s5
.LBB42_12:                              ; =>This Inner Loop Header: Depth=1
	v_ashrrev_i32_e32 v1, 31, v0
	v_lshlrev_b64 v[4:5], 1, v[0:1]
	v_add_co_u32_e32 v6, vcc, s6, v4
	v_addc_co_u32_e32 v7, vcc, v2, v5, vcc
	global_load_ushort v1, v[6:7], off
	v_add_co_u32_e32 v4, vcc, s2, v4
	v_addc_co_u32_e32 v5, vcc, v3, v5, vcc
	v_add_u32_e32 v0, s3, v0
	v_cmp_le_i32_e32 vcc, s10, v0
	s_or_b64 s[0:1], vcc, s[0:1]
	s_waitcnt vmcnt(0)
	global_store_short v[4:5], v1, off
	s_andn2_b64 exec, exec, s[0:1]
	s_cbranch_execnz .LBB42_12
.LBB42_13:
	s_endpgm
.LBB42_14:
                                        ; implicit-def: $sgpr28_sgpr29
	s_branch .LBB42_6
	.section	.rodata,"a",@progbits
	.p2align	6, 0x0
	.amdhsa_kernel _ZN4vllm38concat_and_cache_mla_rope_fused_kernelIN3c104HalfEfLb1E14__hip_bfloat16S3_LNS_18Fp8KVCacheDataTypeE0EEEvPKlPT_S8_PKS7_PKT0_illlliPT3_S6_iiiiPKf
		.amdhsa_group_segment_fixed_size 0
		.amdhsa_private_segment_fixed_size 0
		.amdhsa_kernarg_size 384
		.amdhsa_user_sgpr_count 6
		.amdhsa_user_sgpr_private_segment_buffer 1
		.amdhsa_user_sgpr_dispatch_ptr 0
		.amdhsa_user_sgpr_queue_ptr 0
		.amdhsa_user_sgpr_kernarg_segment_ptr 1
		.amdhsa_user_sgpr_dispatch_id 0
		.amdhsa_user_sgpr_flat_scratch_init 0
		.amdhsa_user_sgpr_kernarg_preload_length 0
		.amdhsa_user_sgpr_kernarg_preload_offset 0
		.amdhsa_user_sgpr_private_segment_size 0
		.amdhsa_uses_dynamic_stack 0
		.amdhsa_system_sgpr_private_segment_wavefront_offset 0
		.amdhsa_system_sgpr_workgroup_id_x 1
		.amdhsa_system_sgpr_workgroup_id_y 0
		.amdhsa_system_sgpr_workgroup_id_z 0
		.amdhsa_system_sgpr_workgroup_info 0
		.amdhsa_system_vgpr_workitem_id 0
		.amdhsa_next_free_vgpr 20
		.amdhsa_next_free_sgpr 47
		.amdhsa_accum_offset 20
		.amdhsa_reserve_vcc 1
		.amdhsa_reserve_flat_scratch 0
		.amdhsa_float_round_mode_32 0
		.amdhsa_float_round_mode_16_64 0
		.amdhsa_float_denorm_mode_32 3
		.amdhsa_float_denorm_mode_16_64 3
		.amdhsa_dx10_clamp 1
		.amdhsa_ieee_mode 1
		.amdhsa_fp16_overflow 0
		.amdhsa_tg_split 0
		.amdhsa_exception_fp_ieee_invalid_op 0
		.amdhsa_exception_fp_denorm_src 0
		.amdhsa_exception_fp_ieee_div_zero 0
		.amdhsa_exception_fp_ieee_overflow 0
		.amdhsa_exception_fp_ieee_underflow 0
		.amdhsa_exception_fp_ieee_inexact 0
		.amdhsa_exception_int_div_zero 0
	.end_amdhsa_kernel
	.section	.text._ZN4vllm38concat_and_cache_mla_rope_fused_kernelIN3c104HalfEfLb1E14__hip_bfloat16S3_LNS_18Fp8KVCacheDataTypeE0EEEvPKlPT_S8_PKS7_PKT0_illlliPT3_S6_iiiiPKf,"axG",@progbits,_ZN4vllm38concat_and_cache_mla_rope_fused_kernelIN3c104HalfEfLb1E14__hip_bfloat16S3_LNS_18Fp8KVCacheDataTypeE0EEEvPKlPT_S8_PKS7_PKT0_illlliPT3_S6_iiiiPKf,comdat
.Lfunc_end42:
	.size	_ZN4vllm38concat_and_cache_mla_rope_fused_kernelIN3c104HalfEfLb1E14__hip_bfloat16S3_LNS_18Fp8KVCacheDataTypeE0EEEvPKlPT_S8_PKS7_PKT0_illlliPT3_S6_iiiiPKf, .Lfunc_end42-_ZN4vllm38concat_and_cache_mla_rope_fused_kernelIN3c104HalfEfLb1E14__hip_bfloat16S3_LNS_18Fp8KVCacheDataTypeE0EEEvPKlPT_S8_PKS7_PKT0_illlliPT3_S6_iiiiPKf
                                        ; -- End function
	.section	.AMDGPU.csdata,"",@progbits
; Kernel info:
; codeLenInByte = 2088
; NumSgprs: 51
; NumVgprs: 20
; NumAgprs: 0
; TotalNumVgprs: 20
; ScratchSize: 0
; MemoryBound: 0
; FloatMode: 240
; IeeeMode: 1
; LDSByteSize: 0 bytes/workgroup (compile time only)
; SGPRBlocks: 6
; VGPRBlocks: 2
; NumSGPRsForWavesPerEU: 51
; NumVGPRsForWavesPerEU: 20
; AccumOffset: 20
; Occupancy: 8
; WaveLimiterHint : 1
; COMPUTE_PGM_RSRC2:SCRATCH_EN: 0
; COMPUTE_PGM_RSRC2:USER_SGPR: 6
; COMPUTE_PGM_RSRC2:TRAP_HANDLER: 0
; COMPUTE_PGM_RSRC2:TGID_X_EN: 1
; COMPUTE_PGM_RSRC2:TGID_Y_EN: 0
; COMPUTE_PGM_RSRC2:TGID_Z_EN: 0
; COMPUTE_PGM_RSRC2:TIDIG_COMP_CNT: 0
; COMPUTE_PGM_RSRC3_GFX90A:ACCUM_OFFSET: 4
; COMPUTE_PGM_RSRC3_GFX90A:TG_SPLIT: 0
	.section	.text._ZN4vllm38concat_and_cache_mla_rope_fused_kernelIN3c104HalfEfLb0E14__hip_bfloat16S3_LNS_18Fp8KVCacheDataTypeE0EEEvPKlPT_S8_PKS7_PKT0_illlliPT3_S6_iiiiPKf,"axG",@progbits,_ZN4vllm38concat_and_cache_mla_rope_fused_kernelIN3c104HalfEfLb0E14__hip_bfloat16S3_LNS_18Fp8KVCacheDataTypeE0EEEvPKlPT_S8_PKS7_PKT0_illlliPT3_S6_iiiiPKf,comdat
	.protected	_ZN4vllm38concat_and_cache_mla_rope_fused_kernelIN3c104HalfEfLb0E14__hip_bfloat16S3_LNS_18Fp8KVCacheDataTypeE0EEEvPKlPT_S8_PKS7_PKT0_illlliPT3_S6_iiiiPKf ; -- Begin function _ZN4vllm38concat_and_cache_mla_rope_fused_kernelIN3c104HalfEfLb0E14__hip_bfloat16S3_LNS_18Fp8KVCacheDataTypeE0EEEvPKlPT_S8_PKS7_PKT0_illlliPT3_S6_iiiiPKf
	.globl	_ZN4vllm38concat_and_cache_mla_rope_fused_kernelIN3c104HalfEfLb0E14__hip_bfloat16S3_LNS_18Fp8KVCacheDataTypeE0EEEvPKlPT_S8_PKS7_PKT0_illlliPT3_S6_iiiiPKf
	.p2align	8
	.type	_ZN4vllm38concat_and_cache_mla_rope_fused_kernelIN3c104HalfEfLb0E14__hip_bfloat16S3_LNS_18Fp8KVCacheDataTypeE0EEEvPKlPT_S8_PKS7_PKT0_illlliPT3_S6_iiiiPKf,@function
_ZN4vllm38concat_and_cache_mla_rope_fused_kernelIN3c104HalfEfLb0E14__hip_bfloat16S3_LNS_18Fp8KVCacheDataTypeE0EEEvPKlPT_S8_PKS7_PKT0_illlliPT3_S6_iiiiPKf: ; @_ZN4vllm38concat_and_cache_mla_rope_fused_kernelIN3c104HalfEfLb0E14__hip_bfloat16S3_LNS_18Fp8KVCacheDataTypeE0EEEvPKlPT_S8_PKS7_PKT0_illlliPT3_S6_iiiiPKf
; %bb.0:
	s_load_dwordx2 s[2:3], s[4:5], 0x60
	s_mov_b32 s7, 0
	s_lshl_b64 s[0:1], s[6:7], 3
	s_waitcnt lgkmcnt(0)
	s_add_u32 s2, s2, s0
	s_addc_u32 s3, s3, s1
	s_load_dwordx2 s[24:25], s[2:3], 0x0
	s_waitcnt lgkmcnt(0)
	v_cmp_lt_i64_e64 s[2:3], s[24:25], 0
	s_and_b64 vcc, exec, s[2:3]
	s_cbranch_vccnz .LBB43_13
; %bb.1:
	s_load_dword s7, s[4:5], 0x28
	s_load_dwordx2 s[2:3], s[4:5], 0x0
	s_load_dwordx4 s[16:19], s[4:5], 0x10
	s_waitcnt lgkmcnt(0)
	s_ashr_i32 s26, s7, 31
	s_add_u32 s0, s2, s0
	s_addc_u32 s1, s3, s1
	s_load_dwordx2 s[22:23], s[0:1], 0x0
	s_load_dwordx2 s[2:3], s[4:5], 0x20
	s_load_dwordx8 s[8:15], s[4:5], 0x30
	s_load_dwordx2 s[20:21], s[4:5], 0x58
	s_load_dword s28, s[4:5], 0x50
	s_waitcnt lgkmcnt(0)
	s_mul_i32 s0, s22, s26
	s_mul_hi_u32 s1, s22, s7
	s_mul_i32 s23, s23, s7
	s_add_i32 s0, s1, s0
	s_add_i32 s27, s0, s23
	s_lshr_b32 s0, s7, 31
	s_mul_i32 s26, s22, s7
	s_add_i32 s7, s7, s0
	s_ashr_i32 s22, s7, 1
	s_mul_i32 s7, s22, s28
	v_cmp_gt_i32_e32 vcc, s7, v0
	s_and_saveexec_b64 s[0:1], vcc
	s_cbranch_execz .LBB43_4
; %bb.2:
	s_lshl_b64 s[28:29], s[26:27], 2
	s_add_u32 s30, s2, s28
	s_addc_u32 s38, s3, s29
	s_load_dwordx2 s[28:29], s[4:5], 0x8
	s_load_dword s34, s[4:5], 0x8c
	s_mul_i32 s9, s6, s9
	s_mul_hi_u32 s31, s6, s8
	s_add_i32 s9, s31, s9
	s_mul_i32 s8, s6, s8
	s_ashr_i32 s23, s22, 31
	s_lshl_b64 s[8:9], s[8:9], 1
	s_waitcnt lgkmcnt(0)
	s_add_u32 s31, s28, s8
	s_addc_u32 s39, s29, s9
	s_abs_i32 s33, s22
	v_cvt_f32_u32_e32 v1, s33
	s_sub_i32 s8, 0, s33
	s_and_b32 s34, s34, 0xffff
	s_lshl_b64 s[28:29], s[22:23], 2
	v_rcp_iflag_f32_e32 v1, v1
	s_sub_i32 s35, 0, s22
	s_lshl_b32 s37, s34, 1
	v_mov_b32_e32 v3, s38
	v_mul_f32_e32 v1, 0x4f7ffffe, v1
	v_cvt_u32_f32_e32 v1, v1
	v_mov_b32_e32 v5, s29
	v_mov_b32_e32 v6, s39
	;; [unrolled: 1-line block ×3, first 2 shown]
	v_mul_lo_u32 v2, s8, v1
	v_mul_hi_u32 v2, v1, v2
	s_lshl_b32 s8, s22, 1
	v_add_u32_e32 v1, v1, v2
	s_sub_i32 s36, 0, s8
	v_lshlrev_b32_e32 v2, 1, v0
	s_mov_b64 s[8:9], 0
.LBB43_3:                               ; =>This Inner Loop Header: Depth=1
	v_sub_u32_e32 v8, 0, v4
	v_max_i32_e32 v8, v4, v8
	v_mul_hi_u32 v9, v8, v1
	v_mul_lo_u32 v10, v9, s33
	v_sub_u32_e32 v8, v8, v10
	v_add_u32_e32 v11, 1, v9
	v_cmp_le_u32_e32 vcc, s33, v8
	v_subrev_u32_e32 v10, s33, v8
	v_cndmask_b32_e32 v9, v9, v11, vcc
	v_cndmask_b32_e32 v8, v8, v10, vcc
	v_ashrrev_i32_e32 v7, 31, v4
	v_add_u32_e32 v10, 1, v9
	v_cmp_le_u32_e32 vcc, s33, v8
	v_xor_b32_e32 v7, s23, v7
	v_cndmask_b32_e32 v8, v9, v10, vcc
	v_xor_b32_e32 v8, v8, v7
	v_sub_u32_e32 v7, v8, v7
	v_mad_u64_u32 v[8:9], s[38:39], s35, v7, v[4:5]
	v_ashrrev_i32_e32 v9, 31, v8
	v_lshlrev_b64 v[8:9], 2, v[8:9]
	v_ashrrev_i32_e32 v14, 31, v7
	v_add_co_u32_e32 v8, vcc, s30, v8
	v_mul_lo_u32 v15, v7, s11
	v_mad_u64_u32 v[10:11], s[38:39], v7, s10, 0
	v_mad_u64_u32 v[12:13], s[38:39], s36, v7, v[2:3]
	v_mul_lo_u32 v7, v14, s10
	v_addc_co_u32_e32 v9, vcc, v3, v9, vcc
	v_add3_u32 v11, v11, v15, v7
	v_add_co_u32_e32 v14, vcc, s28, v8
	v_lshlrev_b64 v[10:11], 1, v[10:11]
	v_addc_co_u32_e32 v15, vcc, v9, v5, vcc
	v_add_co_u32_e32 v7, vcc, s31, v10
	v_ashrrev_i32_e32 v13, 31, v12
	v_addc_co_u32_e32 v10, vcc, v6, v11, vcc
	global_load_dword v11, v[8:9], off
	global_load_dword v16, v[14:15], off
	v_lshlrev_b64 v[12:13], 1, v[12:13]
	v_add_co_u32_e32 v8, vcc, v7, v12
	v_addc_co_u32_e32 v9, vcc, v10, v13, vcc
	global_load_dword v7, v[8:9], off
	v_add_u32_e32 v4, s34, v4
	v_cmp_le_i32_e32 vcc, s7, v4
	v_add_u32_e32 v2, s37, v2
	s_or_b64 s[8:9], vcc, s[8:9]
	s_waitcnt vmcnt(2)
	v_cvt_f16_f32_e32 v10, v11
	s_waitcnt vmcnt(1)
	v_cvt_f16_f32_e32 v11, v16
	s_waitcnt vmcnt(0)
	v_mul_f16_sdwa v12, v7, v10 dst_sel:DWORD dst_unused:UNUSED_PAD src0_sel:WORD_1 src1_sel:DWORD
	v_mul_f16_sdwa v13, v7, v11 dst_sel:DWORD dst_unused:UNUSED_PAD src0_sel:WORD_1 src1_sel:DWORD
	v_fma_f16 v11, v7, v11, v12
	v_fma_f16 v7, v7, v10, -v13
	v_pack_b32_f16 v7, v7, v11
	global_store_dword v[8:9], v7, off
	s_andn2_b64 exec, exec, s[8:9]
	s_cbranch_execnz .LBB43_3
.LBB43_4:
	s_or_b64 exec, exec, s[0:1]
	s_load_dwordx4 s[8:11], s[4:5], 0x68
	s_waitcnt lgkmcnt(0)
	s_ashr_i32 s31, s11, 31
	s_mov_b32 s30, s11
	s_or_b64 s[0:1], s[24:25], s[30:31]
	s_mov_b32 s0, 0
	s_cmp_lg_u64 s[0:1], 0
	s_cbranch_scc0 .LBB43_14
; %bb.5:
	s_add_u32 s0, s30, s31
	s_mov_b32 s28, s31
	s_mov_b32 s29, s31
	s_addc_u32 s1, s31, s31
	s_xor_b64 s[36:37], s[0:1], s[28:29]
	v_cvt_f32_u32_e32 v1, s36
	v_cvt_f32_u32_e32 v2, s37
	s_sub_u32 s0, 0, s36
	s_subb_u32 s1, 0, s37
	v_madmk_f32 v1, v2, 0x4f800000, v1
	v_rcp_f32_e32 v1, v1
	v_mul_f32_e32 v1, 0x5f7ffffc, v1
	v_mul_f32_e32 v2, 0x2f800000, v1
	v_trunc_f32_e32 v2, v2
	v_madmk_f32 v1, v2, 0xcf800000, v1
	v_cvt_u32_f32_e32 v2, v2
	v_cvt_u32_f32_e32 v1, v1
	v_readfirstlane_b32 s7, v2
	v_readfirstlane_b32 s11, v1
	s_mul_i32 s23, s0, s7
	s_mul_hi_u32 s38, s0, s11
	s_mul_i32 s33, s1, s11
	s_add_i32 s23, s38, s23
	s_add_i32 s23, s23, s33
	s_mul_i32 s39, s0, s11
	s_mul_hi_u32 s33, s11, s23
	s_mul_i32 s38, s11, s23
	s_mul_hi_u32 s11, s11, s39
	s_add_u32 s11, s11, s38
	s_addc_u32 s33, 0, s33
	s_mul_hi_u32 s40, s7, s39
	s_mul_i32 s39, s7, s39
	s_add_u32 s11, s11, s39
	s_mul_hi_u32 s38, s7, s23
	s_addc_u32 s11, s33, s40
	s_addc_u32 s33, s38, 0
	s_mul_i32 s23, s7, s23
	s_add_u32 s11, s11, s23
	s_addc_u32 s23, 0, s33
	v_add_co_u32_e32 v1, vcc, s11, v1
	s_cmp_lg_u64 vcc, 0
	s_addc_u32 s7, s7, s23
	v_readfirstlane_b32 s23, v1
	s_mul_i32 s11, s0, s7
	s_mul_hi_u32 s33, s0, s23
	s_add_i32 s11, s33, s11
	s_mul_i32 s1, s1, s23
	s_add_i32 s11, s11, s1
	s_mul_i32 s0, s0, s23
	s_mul_hi_u32 s33, s7, s0
	s_mul_i32 s38, s7, s0
	s_mul_i32 s40, s23, s11
	s_mul_hi_u32 s0, s23, s0
	s_mul_hi_u32 s39, s23, s11
	s_add_u32 s0, s0, s40
	s_addc_u32 s23, 0, s39
	s_add_u32 s0, s0, s38
	s_mul_hi_u32 s1, s7, s11
	s_addc_u32 s0, s23, s33
	s_addc_u32 s1, s1, 0
	s_mul_i32 s11, s7, s11
	s_add_u32 s0, s0, s11
	s_addc_u32 s1, 0, s1
	v_add_co_u32_e32 v1, vcc, s0, v1
	s_cmp_lg_u64 vcc, 0
	s_addc_u32 s7, s7, s1
	s_ashr_i32 s38, s25, 31
	s_add_u32 s0, s24, s38
	s_mov_b32 s39, s38
	s_addc_u32 s1, s25, s38
	s_xor_b64 s[40:41], s[0:1], s[38:39]
	v_readfirstlane_b32 s11, v1
	s_mul_i32 s1, s40, s7
	s_mul_hi_u32 s23, s40, s11
	s_mul_hi_u32 s0, s40, s7
	s_add_u32 s1, s23, s1
	s_addc_u32 s0, 0, s0
	s_mul_hi_u32 s33, s41, s11
	s_mul_i32 s11, s41, s11
	s_add_u32 s1, s1, s11
	s_mul_hi_u32 s23, s41, s7
	s_addc_u32 s0, s0, s33
	s_addc_u32 s1, s23, 0
	s_mul_i32 s7, s41, s7
	s_add_u32 s7, s0, s7
	s_addc_u32 s11, 0, s1
	s_mul_i32 s0, s36, s11
	s_mul_hi_u32 s1, s36, s7
	s_add_i32 s0, s1, s0
	s_mul_i32 s1, s37, s7
	s_add_i32 s23, s0, s1
	s_mul_i32 s1, s36, s7
	v_mov_b32_e32 v1, s1
	s_sub_i32 s0, s41, s23
	v_sub_co_u32_e32 v1, vcc, s40, v1
	s_cmp_lg_u64 vcc, 0
	s_subb_u32 s33, s0, s37
	v_subrev_co_u32_e64 v2, s[0:1], s36, v1
	s_cmp_lg_u64 s[0:1], 0
	s_subb_u32 s0, s33, 0
	s_cmp_ge_u32 s0, s37
	v_readfirstlane_b32 s33, v2
	s_cselect_b32 s1, -1, 0
	s_cmp_ge_u32 s33, s36
	s_cselect_b32 s33, -1, 0
	s_cmp_eq_u32 s0, s37
	s_cselect_b32 s0, s33, s1
	s_add_u32 s1, s7, 1
	s_addc_u32 s33, s11, 0
	s_add_u32 s40, s7, 2
	s_addc_u32 s42, s11, 0
	s_cmp_lg_u32 s0, 0
	s_cselect_b32 s0, s40, s1
	s_cselect_b32 s1, s42, s33
	s_cmp_lg_u64 vcc, 0
	s_subb_u32 s23, s41, s23
	s_cmp_ge_u32 s23, s37
	v_readfirstlane_b32 s40, v1
	s_cselect_b32 s33, -1, 0
	s_cmp_ge_u32 s40, s36
	s_cselect_b32 s36, -1, 0
	s_cmp_eq_u32 s23, s37
	s_cselect_b32 s23, s36, s33
	s_cmp_lg_u32 s23, 0
	s_cselect_b32 s1, s1, s11
	s_cselect_b32 s0, s0, s7
	s_xor_b64 s[28:29], s[38:39], s[28:29]
	s_xor_b64 s[0:1], s[0:1], s[28:29]
	s_sub_u32 s28, s0, s28
	s_subb_u32 s29, s1, s29
	s_cbranch_execnz .LBB43_7
.LBB43_6:
	v_cvt_f32_u32_e32 v1, s30
	s_sub_i32 s0, 0, s30
	s_mov_b32 s29, 0
	v_rcp_iflag_f32_e32 v1, v1
	v_mul_f32_e32 v1, 0x4f7ffffe, v1
	v_cvt_u32_f32_e32 v1, v1
	v_readfirstlane_b32 s1, v1
	s_mul_i32 s0, s0, s1
	s_mul_hi_u32 s0, s1, s0
	s_add_i32 s1, s1, s0
	s_mul_hi_u32 s0, s24, s1
	s_mul_i32 s7, s0, s30
	s_sub_i32 s7, s24, s7
	s_add_i32 s1, s0, 1
	s_sub_i32 s11, s7, s30
	s_cmp_ge_u32 s7, s30
	s_cselect_b32 s0, s1, s0
	s_cselect_b32 s7, s11, s7
	s_add_i32 s1, s0, 1
	s_cmp_ge_u32 s7, s30
	s_cselect_b32 s28, s1, s0
.LBB43_7:
	s_mul_i32 s0, s28, s31
	s_mul_hi_u32 s1, s28, s30
	s_add_i32 s0, s1, s0
	s_mul_i32 s1, s29, s30
	s_add_i32 s0, s0, s1
	s_mul_i32 s1, s28, s30
	s_sub_u32 s33, s24, s1
	s_subb_u32 s7, s25, s0
	v_cmp_gt_i32_e32 vcc, s22, v0
	s_mul_hi_u32 s36, s28, s8
	s_mul_i32 s37, s29, s8
	s_mul_i32 s30, s28, s8
	s_mul_hi_u32 s29, s33, s9
	s_mul_i32 s7, s7, s9
	s_mul_i32 s24, s33, s9
	s_and_saveexec_b64 s[34:35], vcc
	s_cbranch_execz .LBB43_10
; %bb.8:
	s_load_dword s0, s[4:5], 0x8c
	s_ashr_i32 s23, s22, 31
	s_ashr_i32 s25, s8, 31
	;; [unrolled: 1-line block ×4, first 2 shown]
	s_waitcnt lgkmcnt(0)
	s_and_b32 s38, s0, 0xffff
	s_lshl_b64 s[0:1], s[26:27], 2
	s_add_u32 s0, s2, s0
	v_lshlrev_b32_e32 v7, 2, v0
	s_addc_u32 s1, s3, s1
	v_mov_b32_e32 v2, s1
	v_add_co_u32_e32 v1, vcc, s0, v7
	v_addc_co_u32_e32 v2, vcc, 0, v2, vcc
	s_lshl_b64 s[0:1], s[22:23], 2
	v_add_co_u32_e32 v3, vcc, s0, v1
	s_mul_i32 s0, s28, s25
	s_mul_i32 s2, s33, s39
	s_add_i32 s0, s36, s0
	s_add_i32 s2, s29, s2
	;; [unrolled: 1-line block ×4, first 2 shown]
	s_lshl_b32 s26, s38, 2
	v_mov_b32_e32 v4, s1
	s_lshl_b64 s[0:1], s[30:31], 1
	s_lshl_b64 s[2:3], s[24:25], 1
	s_add_u32 s2, s0, s2
	s_addc_u32 s3, s1, s3
	s_lshl_b64 s[0:1], s[10:11], 1
	s_add_u32 s0, s20, s0
	s_addc_u32 s1, s21, s1
	s_add_u32 s0, s0, s2
	v_addc_co_u32_e32 v4, vcc, v2, v4, vcc
	s_addc_u32 s1, s1, s3
	v_mov_b32_e32 v5, s1
	v_add_co_u32_e32 v6, vcc, s0, v7
	s_mul_i32 s0, s13, s6
	s_mul_hi_u32 s1, s12, s6
	s_add_i32 s1, s1, s0
	s_mul_i32 s0, s12, s6
	v_addc_co_u32_e32 v8, vcc, 0, v5, vcc
	s_lshl_b64 s[0:1], s[0:1], 1
	v_add_co_u32_e32 v5, vcc, 2, v6
	s_add_u32 s0, s16, s0
	v_addc_co_u32_e32 v6, vcc, 0, v8, vcc
	s_addc_u32 s1, s17, s1
	v_mov_b32_e32 v8, s1
	v_add_co_u32_e32 v7, vcc, s0, v7
	v_addc_co_u32_e32 v8, vcc, 0, v8, vcc
	s_mov_b64 s[12:13], 0
	s_mov_b64 s[16:17], 0
	v_mov_b32_e32 v9, v0
.LBB43_9:                               ; =>This Inner Loop Header: Depth=1
	v_mov_b32_e32 v16, s17
	v_add_co_u32_e32 v10, vcc, s16, v3
	v_add_co_u32_e64 v12, s[0:1], s16, v7
	v_add_co_u32_e64 v14, s[2:3], s16, v1
	v_addc_co_u32_e32 v11, vcc, v4, v16, vcc
	v_addc_co_u32_e64 v15, s[2:3], v2, v16, s[2:3]
	v_addc_co_u32_e64 v13, vcc, v8, v16, s[0:1]
	global_load_dword v17, v[10:11], off
	global_load_dword v18, v[14:15], off
	;; [unrolled: 1-line block ×3, first 2 shown]
	v_add_co_u32_e32 v10, vcc, s16, v5
	v_add_u32_e32 v9, s38, v9
	s_add_u32 s16, s16, s26
	v_addc_co_u32_e32 v11, vcc, v6, v16, vcc
	s_addc_u32 s17, s17, 0
	v_cmp_le_i32_e32 vcc, s22, v9
	s_or_b64 s[12:13], vcc, s[12:13]
	s_waitcnt vmcnt(2)
	v_cvt_f16_f32_e32 v14, v17
	s_waitcnt vmcnt(1)
	v_cvt_f16_f32_e32 v15, v18
	s_waitcnt vmcnt(0)
	v_mul_f16_sdwa v16, v19, v14 dst_sel:DWORD dst_unused:UNUSED_PAD src0_sel:WORD_1 src1_sel:DWORD
	v_mul_f16_sdwa v17, v19, v15 dst_sel:DWORD dst_unused:UNUSED_PAD src0_sel:WORD_1 src1_sel:DWORD
	v_fma_f16 v15, v19, v15, -v16
	v_fma_f16 v14, v19, v14, v17
	v_pack_b32_f16 v14, v15, v14
	global_store_dword v[12:13], v14, off
	global_store_dword v[10:11], v14, off offset:-2
	s_andn2_b64 exec, exec, s[12:13]
	s_cbranch_execnz .LBB43_9
.LBB43_10:
	s_or_b64 exec, exec, s[34:35]
	v_cmp_gt_i32_e32 vcc, s10, v0
	s_and_saveexec_b64 s[0:1], vcc
	s_cbranch_execz .LBB43_13
; %bb.11:
	s_mul_i32 s0, s6, s15
	s_mul_hi_u32 s1, s6, s14
	s_add_i32 s1, s1, s0
	s_mul_i32 s0, s6, s14
	s_lshl_b64 s[0:1], s[0:1], 1
	s_add_u32 s2, s18, s0
	s_addc_u32 s6, s19, s1
	s_ashr_i32 s0, s8, 31
	s_mul_i32 s0, s28, s0
	s_add_i32 s0, s36, s0
	s_add_i32 s31, s0, s37
	s_lshl_b64 s[0:1], s[30:31], 1
	s_add_u32 s3, s20, s0
	s_addc_u32 s8, s21, s1
	s_ashr_i32 s0, s9, 31
	s_mul_i32 s33, s33, s0
	s_add_i32 s0, s29, s33
	s_load_dword s4, s[4:5], 0x8c
	s_add_i32 s25, s0, s7
	s_lshl_b64 s[0:1], s[24:25], 1
	s_add_u32 s3, s3, s0
	s_addc_u32 s5, s8, s1
	s_waitcnt lgkmcnt(0)
	s_and_b32 s4, s4, 0xffff
	s_mov_b64 s[0:1], 0
	v_mov_b32_e32 v2, s6
	v_mov_b32_e32 v3, s5
.LBB43_12:                              ; =>This Inner Loop Header: Depth=1
	v_ashrrev_i32_e32 v1, 31, v0
	v_lshlrev_b64 v[4:5], 1, v[0:1]
	v_add_co_u32_e32 v6, vcc, s2, v4
	v_addc_co_u32_e32 v7, vcc, v2, v5, vcc
	global_load_ushort v1, v[6:7], off
	v_add_co_u32_e32 v4, vcc, s3, v4
	v_addc_co_u32_e32 v5, vcc, v3, v5, vcc
	v_add_u32_e32 v0, s4, v0
	v_cmp_le_i32_e32 vcc, s10, v0
	s_or_b64 s[0:1], vcc, s[0:1]
	s_waitcnt vmcnt(0)
	global_store_short v[4:5], v1, off
	s_andn2_b64 exec, exec, s[0:1]
	s_cbranch_execnz .LBB43_12
.LBB43_13:
	s_endpgm
.LBB43_14:
                                        ; implicit-def: $sgpr28_sgpr29
	s_branch .LBB43_6
	.section	.rodata,"a",@progbits
	.p2align	6, 0x0
	.amdhsa_kernel _ZN4vllm38concat_and_cache_mla_rope_fused_kernelIN3c104HalfEfLb0E14__hip_bfloat16S3_LNS_18Fp8KVCacheDataTypeE0EEEvPKlPT_S8_PKS7_PKT0_illlliPT3_S6_iiiiPKf
		.amdhsa_group_segment_fixed_size 0
		.amdhsa_private_segment_fixed_size 0
		.amdhsa_kernarg_size 384
		.amdhsa_user_sgpr_count 6
		.amdhsa_user_sgpr_private_segment_buffer 1
		.amdhsa_user_sgpr_dispatch_ptr 0
		.amdhsa_user_sgpr_queue_ptr 0
		.amdhsa_user_sgpr_kernarg_segment_ptr 1
		.amdhsa_user_sgpr_dispatch_id 0
		.amdhsa_user_sgpr_flat_scratch_init 0
		.amdhsa_user_sgpr_kernarg_preload_length 0
		.amdhsa_user_sgpr_kernarg_preload_offset 0
		.amdhsa_user_sgpr_private_segment_size 0
		.amdhsa_uses_dynamic_stack 0
		.amdhsa_system_sgpr_private_segment_wavefront_offset 0
		.amdhsa_system_sgpr_workgroup_id_x 1
		.amdhsa_system_sgpr_workgroup_id_y 0
		.amdhsa_system_sgpr_workgroup_id_z 0
		.amdhsa_system_sgpr_workgroup_info 0
		.amdhsa_system_vgpr_workitem_id 0
		.amdhsa_next_free_vgpr 20
		.amdhsa_next_free_sgpr 43
		.amdhsa_accum_offset 20
		.amdhsa_reserve_vcc 1
		.amdhsa_reserve_flat_scratch 0
		.amdhsa_float_round_mode_32 0
		.amdhsa_float_round_mode_16_64 0
		.amdhsa_float_denorm_mode_32 3
		.amdhsa_float_denorm_mode_16_64 3
		.amdhsa_dx10_clamp 1
		.amdhsa_ieee_mode 1
		.amdhsa_fp16_overflow 0
		.amdhsa_tg_split 0
		.amdhsa_exception_fp_ieee_invalid_op 0
		.amdhsa_exception_fp_denorm_src 0
		.amdhsa_exception_fp_ieee_div_zero 0
		.amdhsa_exception_fp_ieee_overflow 0
		.amdhsa_exception_fp_ieee_underflow 0
		.amdhsa_exception_fp_ieee_inexact 0
		.amdhsa_exception_int_div_zero 0
	.end_amdhsa_kernel
	.section	.text._ZN4vllm38concat_and_cache_mla_rope_fused_kernelIN3c104HalfEfLb0E14__hip_bfloat16S3_LNS_18Fp8KVCacheDataTypeE0EEEvPKlPT_S8_PKS7_PKT0_illlliPT3_S6_iiiiPKf,"axG",@progbits,_ZN4vllm38concat_and_cache_mla_rope_fused_kernelIN3c104HalfEfLb0E14__hip_bfloat16S3_LNS_18Fp8KVCacheDataTypeE0EEEvPKlPT_S8_PKS7_PKT0_illlliPT3_S6_iiiiPKf,comdat
.Lfunc_end43:
	.size	_ZN4vllm38concat_and_cache_mla_rope_fused_kernelIN3c104HalfEfLb0E14__hip_bfloat16S3_LNS_18Fp8KVCacheDataTypeE0EEEvPKlPT_S8_PKS7_PKT0_illlliPT3_S6_iiiiPKf, .Lfunc_end43-_ZN4vllm38concat_and_cache_mla_rope_fused_kernelIN3c104HalfEfLb0E14__hip_bfloat16S3_LNS_18Fp8KVCacheDataTypeE0EEEvPKlPT_S8_PKS7_PKT0_illlliPT3_S6_iiiiPKf
                                        ; -- End function
	.section	.AMDGPU.csdata,"",@progbits
; Kernel info:
; codeLenInByte = 2016
; NumSgprs: 47
; NumVgprs: 20
; NumAgprs: 0
; TotalNumVgprs: 20
; ScratchSize: 0
; MemoryBound: 0
; FloatMode: 240
; IeeeMode: 1
; LDSByteSize: 0 bytes/workgroup (compile time only)
; SGPRBlocks: 5
; VGPRBlocks: 2
; NumSGPRsForWavesPerEU: 47
; NumVGPRsForWavesPerEU: 20
; AccumOffset: 20
; Occupancy: 8
; WaveLimiterHint : 1
; COMPUTE_PGM_RSRC2:SCRATCH_EN: 0
; COMPUTE_PGM_RSRC2:USER_SGPR: 6
; COMPUTE_PGM_RSRC2:TRAP_HANDLER: 0
; COMPUTE_PGM_RSRC2:TGID_X_EN: 1
; COMPUTE_PGM_RSRC2:TGID_Y_EN: 0
; COMPUTE_PGM_RSRC2:TGID_Z_EN: 0
; COMPUTE_PGM_RSRC2:TIDIG_COMP_CNT: 0
; COMPUTE_PGM_RSRC3_GFX90A:ACCUM_OFFSET: 4
; COMPUTE_PGM_RSRC3_GFX90A:TG_SPLIT: 0
	.section	.text._ZN4vllm38concat_and_cache_mla_rope_fused_kernelIN3c104HalfES2_Lb1E14__hip_bfloat16S3_LNS_18Fp8KVCacheDataTypeE0EEEvPKlPT_S8_PKS7_PKT0_illlliPT3_S6_iiiiPKf,"axG",@progbits,_ZN4vllm38concat_and_cache_mla_rope_fused_kernelIN3c104HalfES2_Lb1E14__hip_bfloat16S3_LNS_18Fp8KVCacheDataTypeE0EEEvPKlPT_S8_PKS7_PKT0_illlliPT3_S6_iiiiPKf,comdat
	.protected	_ZN4vllm38concat_and_cache_mla_rope_fused_kernelIN3c104HalfES2_Lb1E14__hip_bfloat16S3_LNS_18Fp8KVCacheDataTypeE0EEEvPKlPT_S8_PKS7_PKT0_illlliPT3_S6_iiiiPKf ; -- Begin function _ZN4vllm38concat_and_cache_mla_rope_fused_kernelIN3c104HalfES2_Lb1E14__hip_bfloat16S3_LNS_18Fp8KVCacheDataTypeE0EEEvPKlPT_S8_PKS7_PKT0_illlliPT3_S6_iiiiPKf
	.globl	_ZN4vllm38concat_and_cache_mla_rope_fused_kernelIN3c104HalfES2_Lb1E14__hip_bfloat16S3_LNS_18Fp8KVCacheDataTypeE0EEEvPKlPT_S8_PKS7_PKT0_illlliPT3_S6_iiiiPKf
	.p2align	8
	.type	_ZN4vllm38concat_and_cache_mla_rope_fused_kernelIN3c104HalfES2_Lb1E14__hip_bfloat16S3_LNS_18Fp8KVCacheDataTypeE0EEEvPKlPT_S8_PKS7_PKT0_illlliPT3_S6_iiiiPKf,@function
_ZN4vllm38concat_and_cache_mla_rope_fused_kernelIN3c104HalfES2_Lb1E14__hip_bfloat16S3_LNS_18Fp8KVCacheDataTypeE0EEEvPKlPT_S8_PKS7_PKT0_illlliPT3_S6_iiiiPKf: ; @_ZN4vllm38concat_and_cache_mla_rope_fused_kernelIN3c104HalfES2_Lb1E14__hip_bfloat16S3_LNS_18Fp8KVCacheDataTypeE0EEEvPKlPT_S8_PKS7_PKT0_illlliPT3_S6_iiiiPKf
; %bb.0:
	s_load_dwordx2 s[2:3], s[4:5], 0x60
	s_mov_b32 s7, 0
	s_lshl_b64 s[0:1], s[6:7], 3
	s_waitcnt lgkmcnt(0)
	s_add_u32 s2, s2, s0
	s_addc_u32 s3, s3, s1
	s_load_dwordx2 s[30:31], s[2:3], 0x0
	s_waitcnt lgkmcnt(0)
	v_cmp_lt_i64_e64 s[2:3], s[30:31], 0
	s_and_b64 vcc, exec, s[2:3]
	s_cbranch_vccnz .LBB44_13
; %bb.1:
	s_load_dword s22, s[4:5], 0x28
	s_load_dwordx2 s[2:3], s[4:5], 0x0
	s_load_dwordx4 s[16:19], s[4:5], 0x10
	s_waitcnt lgkmcnt(0)
	s_ashr_i32 s7, s22, 31
	s_add_u32 s0, s2, s0
	s_addc_u32 s1, s3, s1
	s_load_dwordx2 s[20:21], s[0:1], 0x0
	s_load_dwordx2 s[2:3], s[4:5], 0x20
	s_load_dwordx8 s[8:15], s[4:5], 0x30
	s_load_dwordx2 s[24:25], s[4:5], 0x58
	s_load_dword s23, s[4:5], 0x50
	s_waitcnt lgkmcnt(0)
	s_mul_i32 s0, s20, s7
	s_mul_hi_u32 s1, s20, s22
	s_mul_i32 s7, s21, s22
	s_add_i32 s0, s1, s0
	s_add_i32 s1, s0, s7
	s_mul_i32 s0, s20, s22
	s_lshl_b64 s[28:29], s[0:1], 1
	s_add_u32 s7, s2, s28
	s_addc_u32 s33, s3, s29
	s_lshr_b32 s0, s22, 31
	s_add_i32 s22, s22, s0
	s_ashr_i32 s26, s22, 1
	s_mul_i32 s22, s26, s23
	v_cmp_gt_i32_e32 vcc, s22, v0
	s_and_saveexec_b64 s[0:1], vcc
	s_cbranch_execz .LBB44_4
; %bb.2:
	s_load_dwordx2 s[20:21], s[4:5], 0x8
	s_load_dword s35, s[4:5], 0x8c
	s_mul_i32 s9, s6, s9
	s_mul_hi_u32 s23, s6, s8
	s_add_i32 s9, s23, s9
	s_mul_i32 s8, s6, s8
	s_ashr_i32 s27, s26, 31
	s_lshl_b64 s[8:9], s[8:9], 1
	s_waitcnt lgkmcnt(0)
	s_add_u32 s23, s20, s8
	s_addc_u32 s37, s21, s9
	s_abs_i32 s34, s26
	v_cvt_f32_u32_e32 v1, s34
	s_sub_i32 s20, 0, s34
	s_mov_b64 s[8:9], 0
	s_and_b32 s35, s35, 0xffff
	v_rcp_iflag_f32_e32 v2, v1
	v_mov_b32_e32 v1, s33
	s_sub_i32 s36, 0, s26
	v_mov_b32_e32 v5, s37
	v_mul_f32_e32 v2, 0x4f7ffffe, v2
	v_cvt_u32_f32_e32 v2, v2
	v_mul_lo_u32 v3, s20, v2
	v_mul_hi_u32 v3, v2, v3
	s_lshl_b64 s[20:21], s[26:27], 1
	v_add_u32_e32 v3, v2, v3
	v_mov_b32_e32 v4, s21
	v_mov_b32_e32 v2, v0
.LBB44_3:                               ; =>This Inner Loop Header: Depth=1
	v_sub_u32_e32 v7, 0, v2
	v_max_i32_e32 v7, v2, v7
	v_mul_hi_u32 v8, v7, v3
	v_mul_lo_u32 v9, v8, s34
	v_sub_u32_e32 v7, v7, v9
	v_add_u32_e32 v10, 1, v8
	v_cmp_le_u32_e32 vcc, s34, v7
	v_subrev_u32_e32 v9, s34, v7
	v_cndmask_b32_e32 v8, v8, v10, vcc
	v_cndmask_b32_e32 v7, v7, v9, vcc
	v_ashrrev_i32_e32 v6, 31, v2
	v_add_u32_e32 v9, 1, v8
	v_cmp_le_u32_e32 vcc, s34, v7
	v_xor_b32_e32 v6, s27, v6
	v_cndmask_b32_e32 v7, v8, v9, vcc
	v_xor_b32_e32 v7, v7, v6
	v_sub_u32_e32 v8, v7, v6
	v_mad_u64_u32 v[6:7], s[38:39], s36, v8, v[2:3]
	v_ashrrev_i32_e32 v10, 31, v8
	v_ashrrev_i32_e32 v7, 31, v6
	v_mul_lo_u32 v11, v8, s11
	v_mad_u64_u32 v[8:9], s[38:39], v8, s10, 0
	v_mul_lo_u32 v10, v10, s10
	v_lshlrev_b64 v[6:7], 1, v[6:7]
	v_add3_u32 v9, v9, v11, v10
	v_add_co_u32_e32 v10, vcc, s7, v6
	v_addc_co_u32_e32 v11, vcc, v1, v7, vcc
	v_add_co_u32_e32 v12, vcc, s20, v10
	v_lshlrev_b64 v[8:9], 1, v[8:9]
	v_addc_co_u32_e32 v13, vcc, v11, v4, vcc
	v_add_co_u32_e32 v8, vcc, s23, v8
	v_addc_co_u32_e32 v9, vcc, v5, v9, vcc
	v_add_co_u32_e32 v6, vcc, v8, v6
	;; [unrolled: 2-line block ×3, first 2 shown]
	global_load_ushort v14, v[10:11], off
	global_load_ushort v15, v[12:13], off
	v_addc_co_u32_e32 v9, vcc, v7, v4, vcc
	global_load_ushort v10, v[6:7], off
	global_load_ushort v11, v[8:9], off
	v_add_u32_e32 v2, s35, v2
	v_cmp_le_i32_e32 vcc, s22, v2
	s_or_b64 s[8:9], vcc, s[8:9]
	s_waitcnt vmcnt(0)
	v_mul_f16_e32 v12, v15, v11
	v_mul_f16_e32 v11, v14, v11
	v_fma_f16 v12, v14, v10, -v12
	v_fma_f16 v10, v15, v10, v11
	global_store_short v[6:7], v12, off
	global_store_short v[8:9], v10, off
	s_andn2_b64 exec, exec, s[8:9]
	s_cbranch_execnz .LBB44_3
.LBB44_4:
	s_or_b64 exec, exec, s[0:1]
	s_load_dwordx4 s[20:23], s[4:5], 0x68
	s_waitcnt lgkmcnt(0)
	s_ashr_i32 s9, s23, 31
	s_mov_b32 s8, s23
	s_or_b64 s[0:1], s[30:31], s[8:9]
	s_mov_b32 s0, 0
	s_cmp_lg_u64 s[0:1], 0
	s_cbranch_scc0 .LBB44_14
; %bb.5:
	s_add_u32 s0, s8, s9
	s_mov_b32 s10, s9
	s_mov_b32 s11, s9
	s_addc_u32 s1, s9, s9
	s_xor_b64 s[36:37], s[0:1], s[10:11]
	v_cvt_f32_u32_e32 v1, s36
	v_cvt_f32_u32_e32 v2, s37
	s_sub_u32 s0, 0, s36
	s_subb_u32 s1, 0, s37
	v_madmk_f32 v1, v2, 0x4f800000, v1
	v_rcp_f32_e32 v1, v1
	v_mul_f32_e32 v1, 0x5f7ffffc, v1
	v_mul_f32_e32 v2, 0x2f800000, v1
	v_trunc_f32_e32 v2, v2
	v_madmk_f32 v1, v2, 0xcf800000, v1
	v_cvt_u32_f32_e32 v2, v2
	v_cvt_u32_f32_e32 v1, v1
	v_readfirstlane_b32 s23, v2
	v_readfirstlane_b32 s27, v1
	s_mul_i32 s38, s0, s23
	s_mul_hi_u32 s40, s0, s27
	s_mul_i32 s39, s1, s27
	s_add_i32 s38, s40, s38
	s_add_i32 s38, s38, s39
	s_mul_i32 s41, s0, s27
	s_mul_hi_u32 s39, s27, s38
	s_mul_i32 s40, s27, s38
	s_mul_hi_u32 s27, s27, s41
	s_add_u32 s27, s27, s40
	s_addc_u32 s39, 0, s39
	s_mul_hi_u32 s42, s23, s41
	s_mul_i32 s41, s23, s41
	s_add_u32 s27, s27, s41
	s_mul_hi_u32 s40, s23, s38
	s_addc_u32 s27, s39, s42
	s_addc_u32 s39, s40, 0
	s_mul_i32 s38, s23, s38
	s_add_u32 s27, s27, s38
	s_addc_u32 s38, 0, s39
	v_add_co_u32_e32 v1, vcc, s27, v1
	s_cmp_lg_u64 vcc, 0
	s_addc_u32 s23, s23, s38
	v_readfirstlane_b32 s38, v1
	s_mul_i32 s27, s0, s23
	s_mul_hi_u32 s39, s0, s38
	s_add_i32 s27, s39, s27
	s_mul_i32 s1, s1, s38
	s_add_i32 s27, s27, s1
	s_mul_i32 s0, s0, s38
	s_mul_hi_u32 s39, s23, s0
	s_mul_i32 s40, s23, s0
	s_mul_i32 s42, s38, s27
	s_mul_hi_u32 s0, s38, s0
	s_mul_hi_u32 s41, s38, s27
	s_add_u32 s0, s0, s42
	s_addc_u32 s38, 0, s41
	s_add_u32 s0, s0, s40
	s_mul_hi_u32 s1, s23, s27
	s_addc_u32 s0, s38, s39
	s_addc_u32 s1, s1, 0
	s_mul_i32 s27, s23, s27
	s_add_u32 s0, s0, s27
	s_addc_u32 s1, 0, s1
	v_add_co_u32_e32 v1, vcc, s0, v1
	s_cmp_lg_u64 vcc, 0
	s_addc_u32 s23, s23, s1
	s_ashr_i32 s38, s31, 31
	s_add_u32 s0, s30, s38
	s_mov_b32 s39, s38
	s_addc_u32 s1, s31, s38
	s_xor_b64 s[40:41], s[0:1], s[38:39]
	v_readfirstlane_b32 s27, v1
	s_mul_i32 s1, s40, s23
	s_mul_hi_u32 s42, s40, s27
	s_mul_hi_u32 s0, s40, s23
	s_add_u32 s1, s42, s1
	s_addc_u32 s0, 0, s0
	s_mul_hi_u32 s43, s41, s27
	s_mul_i32 s27, s41, s27
	s_add_u32 s1, s1, s27
	s_mul_hi_u32 s42, s41, s23
	s_addc_u32 s0, s0, s43
	s_addc_u32 s1, s42, 0
	s_mul_i32 s23, s41, s23
	s_add_u32 s23, s0, s23
	s_addc_u32 s27, 0, s1
	s_mul_i32 s0, s36, s27
	s_mul_hi_u32 s1, s36, s23
	s_add_i32 s0, s1, s0
	s_mul_i32 s1, s37, s23
	s_add_i32 s42, s0, s1
	s_mul_i32 s1, s36, s23
	v_mov_b32_e32 v1, s1
	s_sub_i32 s0, s41, s42
	v_sub_co_u32_e32 v1, vcc, s40, v1
	s_cmp_lg_u64 vcc, 0
	s_subb_u32 s40, s0, s37
	v_subrev_co_u32_e64 v2, s[0:1], s36, v1
	s_cmp_lg_u64 s[0:1], 0
	s_subb_u32 s0, s40, 0
	s_cmp_ge_u32 s0, s37
	v_readfirstlane_b32 s40, v2
	s_cselect_b32 s1, -1, 0
	s_cmp_ge_u32 s40, s36
	s_cselect_b32 s40, -1, 0
	s_cmp_eq_u32 s0, s37
	s_cselect_b32 s0, s40, s1
	s_add_u32 s1, s23, 1
	s_addc_u32 s40, s27, 0
	s_add_u32 s43, s23, 2
	s_addc_u32 s44, s27, 0
	s_cmp_lg_u32 s0, 0
	s_cselect_b32 s0, s43, s1
	s_cselect_b32 s1, s44, s40
	s_cmp_lg_u64 vcc, 0
	s_subb_u32 s40, s41, s42
	s_cmp_ge_u32 s40, s37
	v_readfirstlane_b32 s42, v1
	s_cselect_b32 s41, -1, 0
	s_cmp_ge_u32 s42, s36
	s_cselect_b32 s36, -1, 0
	s_cmp_eq_u32 s40, s37
	s_cselect_b32 s36, s36, s41
	s_cmp_lg_u32 s36, 0
	s_cselect_b32 s1, s1, s27
	s_cselect_b32 s0, s0, s23
	s_xor_b64 s[10:11], s[38:39], s[10:11]
	s_xor_b64 s[0:1], s[0:1], s[10:11]
	s_sub_u32 s10, s0, s10
	s_subb_u32 s11, s1, s11
	s_cbranch_execnz .LBB44_7
.LBB44_6:
	v_cvt_f32_u32_e32 v1, s8
	s_sub_i32 s0, 0, s8
	s_mov_b32 s11, 0
	v_rcp_iflag_f32_e32 v1, v1
	v_mul_f32_e32 v1, 0x4f7ffffe, v1
	v_cvt_u32_f32_e32 v1, v1
	v_readfirstlane_b32 s1, v1
	s_mul_i32 s0, s0, s1
	s_mul_hi_u32 s0, s1, s0
	s_add_i32 s1, s1, s0
	s_mul_hi_u32 s0, s30, s1
	s_mul_i32 s10, s0, s8
	s_sub_i32 s10, s30, s10
	s_add_i32 s1, s0, 1
	s_sub_i32 s23, s10, s8
	s_cmp_ge_u32 s10, s8
	s_cselect_b32 s0, s1, s0
	s_cselect_b32 s10, s23, s10
	s_add_i32 s1, s0, 1
	s_cmp_ge_u32 s10, s8
	s_cselect_b32 s10, s1, s0
.LBB44_7:
	s_mul_i32 s0, s10, s9
	s_mul_hi_u32 s1, s10, s8
	s_add_i32 s0, s1, s0
	s_mul_i32 s1, s11, s8
	s_add_i32 s0, s0, s1
	s_mul_i32 s1, s10, s8
	s_sub_u32 s38, s30, s1
	s_subb_u32 s0, s31, s0
	v_cmp_gt_i32_e32 vcc, s26, v0
	s_mul_hi_u32 s40, s10, s20
	s_mul_i32 s41, s11, s20
	s_mul_i32 s34, s10, s20
	s_mul_hi_u32 s39, s38, s21
	s_mul_i32 s11, s0, s21
	s_mul_i32 s30, s38, s21
	s_and_saveexec_b64 s[36:37], vcc
	s_cbranch_execz .LBB44_10
; %bb.8:
	s_mul_i32 s0, s6, s13
	s_mul_hi_u32 s1, s6, s12
	s_add_i32 s1, s1, s0
	s_mul_i32 s0, s6, s12
	s_ashr_i32 s27, s26, 31
	s_lshl_b64 s[0:1], s[0:1], 1
	s_add_u32 s42, s16, s0
	s_addc_u32 s43, s17, s1
	s_ashr_i32 s8, s20, 31
	s_mul_i32 s8, s10, s8
	s_add_i32 s8, s40, s8
	s_add_i32 s35, s8, s41
	s_ashr_i32 s8, s21, 31
	s_mul_i32 s8, s38, s8
	s_add_i32 s8, s39, s8
	s_add_i32 s31, s8, s11
	s_lshl_b64 s[8:9], s[34:35], 1
	s_lshl_b64 s[12:13], s[30:31], 1
	s_add_u32 s45, s8, s12
	s_addc_u32 s46, s9, s13
	s_load_dword s35, s[4:5], 0x8c
	s_add_u32 s12, s45, s24
	s_addc_u32 s13, s46, s25
	s_ashr_i32 s23, s22, 31
	s_lshl_b64 s[8:9], s[22:23], 1
	s_add_u32 s23, s12, s8
	s_addc_u32 s31, s13, s9
	s_waitcnt lgkmcnt(0)
	s_and_b32 s35, s35, 0xffff
	s_lshl_b32 s44, s35, 1
	s_lshl_b64 s[12:13], s[26:27], 1
	s_add_u32 s27, s28, s12
	s_addc_u32 s28, s29, s13
	s_add_u32 s27, s2, s27
	s_addc_u32 s28, s3, s28
	;; [unrolled: 2-line block ×6, first 2 shown]
	s_add_u32 s29, s24, s0
	v_lshlrev_b32_e32 v2, 1, v0
	s_addc_u32 s45, s25, s1
	s_mov_b64 s[12:13], 0
	v_mov_b32_e32 v1, v0
.LBB44_9:                               ; =>This Inner Loop Header: Depth=1
	v_mov_b32_e32 v5, s28
	v_add_co_u32_e32 v4, vcc, s27, v2
	v_mov_b32_e32 v3, s33
	v_mov_b32_e32 v7, s43
	v_add_co_u32_e64 v6, s[0:1], s42, v2
	v_mov_b32_e32 v9, s17
	v_add_co_u32_e64 v8, s[2:3], s16, v2
	v_add_co_u32_e64 v10, s[8:9], s7, v2
	v_addc_co_u32_e32 v5, vcc, 0, v5, vcc
	v_addc_co_u32_e64 v11, s[8:9], 0, v3, s[8:9]
	v_addc_co_u32_e64 v7, vcc, 0, v7, s[0:1]
	v_addc_co_u32_e64 v9, vcc, 0, v9, s[2:3]
	global_load_ushort v3, v[4:5], off
	global_load_ushort v12, v[8:9], off
	;; [unrolled: 1-line block ×4, first 2 shown]
	s_add_u32 s7, s7, s44
	s_addc_u32 s33, s33, 0
	s_add_u32 s27, s27, s44
	s_addc_u32 s28, s28, 0
	;; [unrolled: 2-line block ×4, first 2 shown]
	v_add_co_u32_e32 v4, vcc, s29, v2
	s_add_u32 s29, s29, s44
	v_mov_b32_e32 v5, s31
	v_mov_b32_e32 v15, s45
	v_add_co_u32_e64 v10, s[0:1], s23, v2
	s_addc_u32 s45, s45, 0
	v_add_u32_e32 v1, s35, v1
	v_addc_co_u32_e64 v11, s[0:1], 0, v5, s[0:1]
	v_addc_co_u32_e32 v5, vcc, 0, v15, vcc
	s_add_u32 s23, s23, s44
	v_cmp_le_i32_e32 vcc, s26, v1
	s_addc_u32 s31, s31, 0
	s_or_b64 s[12:13], vcc, s[12:13]
	s_waitcnt vmcnt(2)
	v_mul_f16_e32 v15, v3, v12
	s_waitcnt vmcnt(1)
	v_mul_f16_e32 v12, v13, v12
	s_waitcnt vmcnt(0)
	v_fma_f16 v13, v13, v14, -v15
	v_fma_f16 v3, v3, v14, v12
	global_store_short v[6:7], v13, off
	global_store_short v[8:9], v3, off
	;; [unrolled: 1-line block ×4, first 2 shown]
	s_andn2_b64 exec, exec, s[12:13]
	s_cbranch_execnz .LBB44_9
.LBB44_10:
	s_or_b64 exec, exec, s[36:37]
	v_cmp_gt_i32_e32 vcc, s22, v0
	s_and_saveexec_b64 s[0:1], vcc
	s_cbranch_execz .LBB44_13
; %bb.11:
	s_mul_i32 s0, s6, s15
	s_mul_hi_u32 s1, s6, s14
	s_add_i32 s1, s1, s0
	s_mul_i32 s0, s6, s14
	s_lshl_b64 s[0:1], s[0:1], 1
	s_add_u32 s2, s18, s0
	s_addc_u32 s6, s19, s1
	s_ashr_i32 s0, s20, 31
	s_mul_i32 s0, s10, s0
	s_add_i32 s0, s40, s0
	s_add_i32 s35, s0, s41
	s_lshl_b64 s[0:1], s[34:35], 1
	s_add_u32 s3, s24, s0
	s_addc_u32 s7, s25, s1
	s_ashr_i32 s0, s21, 31
	s_mul_i32 s38, s38, s0
	s_add_i32 s0, s39, s38
	s_load_dword s4, s[4:5], 0x8c
	s_add_i32 s31, s0, s11
	s_lshl_b64 s[0:1], s[30:31], 1
	s_add_u32 s3, s3, s0
	s_addc_u32 s5, s7, s1
	s_waitcnt lgkmcnt(0)
	s_and_b32 s4, s4, 0xffff
	s_mov_b64 s[0:1], 0
	v_mov_b32_e32 v2, s6
	v_mov_b32_e32 v3, s5
.LBB44_12:                              ; =>This Inner Loop Header: Depth=1
	v_ashrrev_i32_e32 v1, 31, v0
	v_lshlrev_b64 v[4:5], 1, v[0:1]
	v_add_co_u32_e32 v6, vcc, s2, v4
	v_addc_co_u32_e32 v7, vcc, v2, v5, vcc
	global_load_ushort v1, v[6:7], off
	v_add_co_u32_e32 v4, vcc, s3, v4
	v_addc_co_u32_e32 v5, vcc, v3, v5, vcc
	v_add_u32_e32 v0, s4, v0
	v_cmp_le_i32_e32 vcc, s22, v0
	s_or_b64 s[0:1], vcc, s[0:1]
	s_waitcnt vmcnt(0)
	global_store_short v[4:5], v1, off
	s_andn2_b64 exec, exec, s[0:1]
	s_cbranch_execnz .LBB44_12
.LBB44_13:
	s_endpgm
.LBB44_14:
                                        ; implicit-def: $sgpr10_sgpr11
	s_branch .LBB44_6
	.section	.rodata,"a",@progbits
	.p2align	6, 0x0
	.amdhsa_kernel _ZN4vllm38concat_and_cache_mla_rope_fused_kernelIN3c104HalfES2_Lb1E14__hip_bfloat16S3_LNS_18Fp8KVCacheDataTypeE0EEEvPKlPT_S8_PKS7_PKT0_illlliPT3_S6_iiiiPKf
		.amdhsa_group_segment_fixed_size 0
		.amdhsa_private_segment_fixed_size 0
		.amdhsa_kernarg_size 384
		.amdhsa_user_sgpr_count 6
		.amdhsa_user_sgpr_private_segment_buffer 1
		.amdhsa_user_sgpr_dispatch_ptr 0
		.amdhsa_user_sgpr_queue_ptr 0
		.amdhsa_user_sgpr_kernarg_segment_ptr 1
		.amdhsa_user_sgpr_dispatch_id 0
		.amdhsa_user_sgpr_flat_scratch_init 0
		.amdhsa_user_sgpr_kernarg_preload_length 0
		.amdhsa_user_sgpr_kernarg_preload_offset 0
		.amdhsa_user_sgpr_private_segment_size 0
		.amdhsa_uses_dynamic_stack 0
		.amdhsa_system_sgpr_private_segment_wavefront_offset 0
		.amdhsa_system_sgpr_workgroup_id_x 1
		.amdhsa_system_sgpr_workgroup_id_y 0
		.amdhsa_system_sgpr_workgroup_id_z 0
		.amdhsa_system_sgpr_workgroup_info 0
		.amdhsa_system_vgpr_workitem_id 0
		.amdhsa_next_free_vgpr 16
		.amdhsa_next_free_sgpr 47
		.amdhsa_accum_offset 16
		.amdhsa_reserve_vcc 1
		.amdhsa_reserve_flat_scratch 0
		.amdhsa_float_round_mode_32 0
		.amdhsa_float_round_mode_16_64 0
		.amdhsa_float_denorm_mode_32 3
		.amdhsa_float_denorm_mode_16_64 3
		.amdhsa_dx10_clamp 1
		.amdhsa_ieee_mode 1
		.amdhsa_fp16_overflow 0
		.amdhsa_tg_split 0
		.amdhsa_exception_fp_ieee_invalid_op 0
		.amdhsa_exception_fp_denorm_src 0
		.amdhsa_exception_fp_ieee_div_zero 0
		.amdhsa_exception_fp_ieee_overflow 0
		.amdhsa_exception_fp_ieee_underflow 0
		.amdhsa_exception_fp_ieee_inexact 0
		.amdhsa_exception_int_div_zero 0
	.end_amdhsa_kernel
	.section	.text._ZN4vllm38concat_and_cache_mla_rope_fused_kernelIN3c104HalfES2_Lb1E14__hip_bfloat16S3_LNS_18Fp8KVCacheDataTypeE0EEEvPKlPT_S8_PKS7_PKT0_illlliPT3_S6_iiiiPKf,"axG",@progbits,_ZN4vllm38concat_and_cache_mla_rope_fused_kernelIN3c104HalfES2_Lb1E14__hip_bfloat16S3_LNS_18Fp8KVCacheDataTypeE0EEEvPKlPT_S8_PKS7_PKT0_illlliPT3_S6_iiiiPKf,comdat
.Lfunc_end44:
	.size	_ZN4vllm38concat_and_cache_mla_rope_fused_kernelIN3c104HalfES2_Lb1E14__hip_bfloat16S3_LNS_18Fp8KVCacheDataTypeE0EEEvPKlPT_S8_PKS7_PKT0_illlliPT3_S6_iiiiPKf, .Lfunc_end44-_ZN4vllm38concat_and_cache_mla_rope_fused_kernelIN3c104HalfES2_Lb1E14__hip_bfloat16S3_LNS_18Fp8KVCacheDataTypeE0EEEvPKlPT_S8_PKS7_PKT0_illlliPT3_S6_iiiiPKf
                                        ; -- End function
	.section	.AMDGPU.csdata,"",@progbits
; Kernel info:
; codeLenInByte = 2044
; NumSgprs: 51
; NumVgprs: 16
; NumAgprs: 0
; TotalNumVgprs: 16
; ScratchSize: 0
; MemoryBound: 0
; FloatMode: 240
; IeeeMode: 1
; LDSByteSize: 0 bytes/workgroup (compile time only)
; SGPRBlocks: 6
; VGPRBlocks: 1
; NumSGPRsForWavesPerEU: 51
; NumVGPRsForWavesPerEU: 16
; AccumOffset: 16
; Occupancy: 8
; WaveLimiterHint : 1
; COMPUTE_PGM_RSRC2:SCRATCH_EN: 0
; COMPUTE_PGM_RSRC2:USER_SGPR: 6
; COMPUTE_PGM_RSRC2:TRAP_HANDLER: 0
; COMPUTE_PGM_RSRC2:TGID_X_EN: 1
; COMPUTE_PGM_RSRC2:TGID_Y_EN: 0
; COMPUTE_PGM_RSRC2:TGID_Z_EN: 0
; COMPUTE_PGM_RSRC2:TIDIG_COMP_CNT: 0
; COMPUTE_PGM_RSRC3_GFX90A:ACCUM_OFFSET: 3
; COMPUTE_PGM_RSRC3_GFX90A:TG_SPLIT: 0
	.section	.text._ZN4vllm38concat_and_cache_mla_rope_fused_kernelIN3c104HalfES2_Lb0E14__hip_bfloat16S3_LNS_18Fp8KVCacheDataTypeE0EEEvPKlPT_S8_PKS7_PKT0_illlliPT3_S6_iiiiPKf,"axG",@progbits,_ZN4vllm38concat_and_cache_mla_rope_fused_kernelIN3c104HalfES2_Lb0E14__hip_bfloat16S3_LNS_18Fp8KVCacheDataTypeE0EEEvPKlPT_S8_PKS7_PKT0_illlliPT3_S6_iiiiPKf,comdat
	.protected	_ZN4vllm38concat_and_cache_mla_rope_fused_kernelIN3c104HalfES2_Lb0E14__hip_bfloat16S3_LNS_18Fp8KVCacheDataTypeE0EEEvPKlPT_S8_PKS7_PKT0_illlliPT3_S6_iiiiPKf ; -- Begin function _ZN4vllm38concat_and_cache_mla_rope_fused_kernelIN3c104HalfES2_Lb0E14__hip_bfloat16S3_LNS_18Fp8KVCacheDataTypeE0EEEvPKlPT_S8_PKS7_PKT0_illlliPT3_S6_iiiiPKf
	.globl	_ZN4vllm38concat_and_cache_mla_rope_fused_kernelIN3c104HalfES2_Lb0E14__hip_bfloat16S3_LNS_18Fp8KVCacheDataTypeE0EEEvPKlPT_S8_PKS7_PKT0_illlliPT3_S6_iiiiPKf
	.p2align	8
	.type	_ZN4vllm38concat_and_cache_mla_rope_fused_kernelIN3c104HalfES2_Lb0E14__hip_bfloat16S3_LNS_18Fp8KVCacheDataTypeE0EEEvPKlPT_S8_PKS7_PKT0_illlliPT3_S6_iiiiPKf,@function
_ZN4vllm38concat_and_cache_mla_rope_fused_kernelIN3c104HalfES2_Lb0E14__hip_bfloat16S3_LNS_18Fp8KVCacheDataTypeE0EEEvPKlPT_S8_PKS7_PKT0_illlliPT3_S6_iiiiPKf: ; @_ZN4vllm38concat_and_cache_mla_rope_fused_kernelIN3c104HalfES2_Lb0E14__hip_bfloat16S3_LNS_18Fp8KVCacheDataTypeE0EEEvPKlPT_S8_PKS7_PKT0_illlliPT3_S6_iiiiPKf
; %bb.0:
	s_load_dwordx2 s[2:3], s[4:5], 0x60
	s_mov_b32 s7, 0
	s_lshl_b64 s[0:1], s[6:7], 3
	s_waitcnt lgkmcnt(0)
	s_add_u32 s2, s2, s0
	s_addc_u32 s3, s3, s1
	s_load_dwordx2 s[24:25], s[2:3], 0x0
	s_waitcnt lgkmcnt(0)
	v_cmp_lt_i64_e64 s[2:3], s[24:25], 0
	s_and_b64 vcc, exec, s[2:3]
	s_cbranch_vccnz .LBB45_13
; %bb.1:
	s_load_dword s7, s[4:5], 0x28
	s_load_dwordx2 s[2:3], s[4:5], 0x0
	s_load_dwordx4 s[16:19], s[4:5], 0x10
	v_lshlrev_b32_e32 v1, 1, v0
	s_waitcnt lgkmcnt(0)
	s_ashr_i32 s26, s7, 31
	s_add_u32 s0, s2, s0
	s_addc_u32 s1, s3, s1
	s_load_dwordx2 s[20:21], s[0:1], 0x0
	s_load_dwordx2 s[22:23], s[4:5], 0x20
	s_load_dwordx8 s[8:15], s[4:5], 0x30
	s_load_dwordx2 s[2:3], s[4:5], 0x58
	s_load_dword s28, s[4:5], 0x50
	s_waitcnt lgkmcnt(0)
	s_mul_i32 s0, s20, s26
	s_mul_hi_u32 s1, s20, s7
	s_mul_i32 s21, s21, s7
	s_add_i32 s0, s1, s0
	s_add_i32 s27, s0, s21
	s_lshr_b32 s0, s7, 31
	s_mul_i32 s26, s20, s7
	s_add_i32 s7, s7, s0
	s_ashr_i32 s20, s7, 1
	s_mul_i32 s7, s20, s28
	v_cmp_gt_i32_e32 vcc, s7, v0
	s_and_saveexec_b64 s[0:1], vcc
	s_cbranch_execz .LBB45_4
; %bb.2:
	s_lshl_b64 s[28:29], s[26:27], 1
	s_add_u32 s30, s22, s28
	s_addc_u32 s38, s23, s29
	s_load_dwordx2 s[28:29], s[4:5], 0x8
	s_load_dword s34, s[4:5], 0x8c
	s_mul_i32 s9, s6, s9
	s_mul_hi_u32 s31, s6, s8
	s_add_i32 s9, s31, s9
	s_mul_i32 s8, s6, s8
	s_ashr_i32 s21, s20, 31
	s_lshl_b64 s[8:9], s[8:9], 1
	s_waitcnt lgkmcnt(0)
	s_add_u32 s31, s28, s8
	s_addc_u32 s39, s29, s9
	s_abs_i32 s33, s20
	v_cvt_f32_u32_e32 v2, s33
	s_sub_i32 s8, 0, s33
	s_and_b32 s34, s34, 0xffff
	s_lshl_b64 s[28:29], s[20:21], 1
	v_rcp_iflag_f32_e32 v2, v2
	s_sub_i32 s35, 0, s20
	s_lshl_b32 s37, s34, 1
	v_mov_b32_e32 v5, s38
	v_mul_f32_e32 v2, 0x4f7ffffe, v2
	v_cvt_u32_f32_e32 v2, v2
	v_mov_b32_e32 v6, s29
	v_mov_b32_e32 v7, s39
	;; [unrolled: 1-line block ×3, first 2 shown]
	v_mul_lo_u32 v3, s8, v2
	v_mul_hi_u32 v3, v2, v3
	s_lshl_b32 s8, s20, 1
	v_add_u32_e32 v3, v2, v3
	s_sub_i32 s36, 0, s8
	s_mov_b64 s[8:9], 0
	v_mov_b32_e32 v2, v1
.LBB45_3:                               ; =>This Inner Loop Header: Depth=1
	v_sub_u32_e32 v9, 0, v4
	v_max_i32_e32 v9, v4, v9
	v_mul_hi_u32 v10, v9, v3
	v_mul_lo_u32 v11, v10, s33
	v_sub_u32_e32 v9, v9, v11
	v_add_u32_e32 v12, 1, v10
	v_cmp_le_u32_e32 vcc, s33, v9
	v_subrev_u32_e32 v11, s33, v9
	v_cndmask_b32_e32 v10, v10, v12, vcc
	v_cndmask_b32_e32 v9, v9, v11, vcc
	v_ashrrev_i32_e32 v8, 31, v4
	v_add_u32_e32 v11, 1, v10
	v_cmp_le_u32_e32 vcc, s33, v9
	v_xor_b32_e32 v8, s21, v8
	v_cndmask_b32_e32 v9, v10, v11, vcc
	v_xor_b32_e32 v9, v9, v8
	v_sub_u32_e32 v12, v9, v8
	v_mad_u64_u32 v[8:9], s[38:39], s35, v12, v[4:5]
	v_ashrrev_i32_e32 v9, 31, v8
	v_lshlrev_b64 v[8:9], 1, v[8:9]
	v_ashrrev_i32_e32 v14, 31, v12
	v_add_co_u32_e32 v8, vcc, s30, v8
	v_mul_lo_u32 v15, v12, s11
	v_mad_u64_u32 v[10:11], s[38:39], v12, s10, 0
	v_mul_lo_u32 v14, v14, s10
	v_addc_co_u32_e32 v9, vcc, v5, v9, vcc
	v_add3_u32 v11, v11, v15, v14
	v_add_co_u32_e32 v14, vcc, s28, v8
	v_mad_u64_u32 v[12:13], s[38:39], s36, v12, v[2:3]
	v_lshlrev_b64 v[10:11], 1, v[10:11]
	v_addc_co_u32_e32 v15, vcc, v9, v6, vcc
	v_ashrrev_i32_e32 v13, 31, v12
	v_add_co_u32_e32 v10, vcc, s31, v10
	v_lshlrev_b64 v[12:13], 1, v[12:13]
	v_addc_co_u32_e32 v11, vcc, v7, v11, vcc
	global_load_ushort v16, v[8:9], off
	global_load_ushort v17, v[14:15], off
	v_add_co_u32_e32 v8, vcc, v10, v12
	v_addc_co_u32_e32 v9, vcc, v11, v13, vcc
	global_load_dword v10, v[8:9], off
	v_add_u32_e32 v4, s34, v4
	v_cmp_le_i32_e32 vcc, s7, v4
	v_add_u32_e32 v2, s37, v2
	s_or_b64 s[8:9], vcc, s[8:9]
	s_waitcnt vmcnt(0)
	v_mul_f16_sdwa v11, v17, v10 dst_sel:DWORD dst_unused:UNUSED_PAD src0_sel:DWORD src1_sel:WORD_1
	v_mul_f16_sdwa v12, v16, v10 dst_sel:DWORD dst_unused:UNUSED_PAD src0_sel:DWORD src1_sel:WORD_1
	v_fma_f16 v11, v16, v10, -v11
	v_fma_f16 v10, v17, v10, v12
	v_pack_b32_f16 v10, v11, v10
	global_store_dword v[8:9], v10, off
	s_andn2_b64 exec, exec, s[8:9]
	s_cbranch_execnz .LBB45_3
.LBB45_4:
	s_or_b64 exec, exec, s[0:1]
	s_load_dwordx4 s[8:11], s[4:5], 0x68
	s_waitcnt lgkmcnt(0)
	s_ashr_i32 s29, s11, 31
	s_mov_b32 s28, s11
	s_or_b64 s[0:1], s[24:25], s[28:29]
	s_mov_b32 s0, 0
	s_cmp_lg_u64 s[0:1], 0
	s_cbranch_scc0 .LBB45_14
; %bb.5:
	s_add_u32 s0, s28, s29
	s_mov_b32 s34, s29
	s_mov_b32 s35, s29
	s_addc_u32 s1, s29, s29
	s_xor_b64 s[36:37], s[0:1], s[34:35]
	v_cvt_f32_u32_e32 v2, s36
	v_cvt_f32_u32_e32 v3, s37
	s_sub_u32 s0, 0, s36
	s_subb_u32 s1, 0, s37
	v_madmk_f32 v2, v3, 0x4f800000, v2
	v_rcp_f32_e32 v2, v2
	v_mul_f32_e32 v2, 0x5f7ffffc, v2
	v_mul_f32_e32 v3, 0x2f800000, v2
	v_trunc_f32_e32 v3, v3
	v_madmk_f32 v2, v3, 0xcf800000, v2
	v_cvt_u32_f32_e32 v3, v3
	v_cvt_u32_f32_e32 v2, v2
	v_readfirstlane_b32 s7, v3
	v_readfirstlane_b32 s11, v2
	s_mul_i32 s21, s0, s7
	s_mul_hi_u32 s38, s0, s11
	s_mul_i32 s33, s1, s11
	s_add_i32 s21, s38, s21
	s_add_i32 s21, s21, s33
	s_mul_i32 s39, s0, s11
	s_mul_hi_u32 s33, s11, s21
	s_mul_i32 s38, s11, s21
	s_mul_hi_u32 s11, s11, s39
	s_add_u32 s11, s11, s38
	s_addc_u32 s33, 0, s33
	s_mul_hi_u32 s40, s7, s39
	s_mul_i32 s39, s7, s39
	s_add_u32 s11, s11, s39
	s_mul_hi_u32 s38, s7, s21
	s_addc_u32 s11, s33, s40
	s_addc_u32 s33, s38, 0
	s_mul_i32 s21, s7, s21
	s_add_u32 s11, s11, s21
	s_addc_u32 s21, 0, s33
	v_add_co_u32_e32 v2, vcc, s11, v2
	s_cmp_lg_u64 vcc, 0
	s_addc_u32 s7, s7, s21
	v_readfirstlane_b32 s21, v2
	s_mul_i32 s11, s0, s7
	s_mul_hi_u32 s33, s0, s21
	s_add_i32 s11, s33, s11
	s_mul_i32 s1, s1, s21
	s_add_i32 s11, s11, s1
	s_mul_i32 s0, s0, s21
	s_mul_hi_u32 s33, s7, s0
	s_mul_i32 s38, s7, s0
	s_mul_i32 s40, s21, s11
	s_mul_hi_u32 s0, s21, s0
	s_mul_hi_u32 s39, s21, s11
	s_add_u32 s0, s0, s40
	s_addc_u32 s21, 0, s39
	s_add_u32 s0, s0, s38
	s_mul_hi_u32 s1, s7, s11
	s_addc_u32 s0, s21, s33
	s_addc_u32 s1, s1, 0
	s_mul_i32 s11, s7, s11
	s_add_u32 s0, s0, s11
	s_addc_u32 s1, 0, s1
	v_add_co_u32_e32 v2, vcc, s0, v2
	s_cmp_lg_u64 vcc, 0
	s_addc_u32 s7, s7, s1
	s_ashr_i32 s38, s25, 31
	s_add_u32 s0, s24, s38
	s_mov_b32 s39, s38
	s_addc_u32 s1, s25, s38
	s_xor_b64 s[40:41], s[0:1], s[38:39]
	v_readfirstlane_b32 s11, v2
	s_mul_i32 s1, s40, s7
	s_mul_hi_u32 s21, s40, s11
	s_mul_hi_u32 s0, s40, s7
	s_add_u32 s1, s21, s1
	s_addc_u32 s0, 0, s0
	s_mul_hi_u32 s33, s41, s11
	s_mul_i32 s11, s41, s11
	s_add_u32 s1, s1, s11
	s_mul_hi_u32 s21, s41, s7
	s_addc_u32 s0, s0, s33
	s_addc_u32 s1, s21, 0
	s_mul_i32 s7, s41, s7
	s_add_u32 s7, s0, s7
	s_addc_u32 s11, 0, s1
	s_mul_i32 s0, s36, s11
	s_mul_hi_u32 s1, s36, s7
	s_add_i32 s0, s1, s0
	s_mul_i32 s1, s37, s7
	s_add_i32 s21, s0, s1
	s_mul_i32 s1, s36, s7
	v_mov_b32_e32 v2, s1
	s_sub_i32 s0, s41, s21
	v_sub_co_u32_e32 v2, vcc, s40, v2
	s_cmp_lg_u64 vcc, 0
	s_subb_u32 s33, s0, s37
	v_subrev_co_u32_e64 v3, s[0:1], s36, v2
	s_cmp_lg_u64 s[0:1], 0
	s_subb_u32 s0, s33, 0
	s_cmp_ge_u32 s0, s37
	v_readfirstlane_b32 s33, v3
	s_cselect_b32 s1, -1, 0
	s_cmp_ge_u32 s33, s36
	s_cselect_b32 s33, -1, 0
	s_cmp_eq_u32 s0, s37
	s_cselect_b32 s0, s33, s1
	s_add_u32 s1, s7, 1
	s_addc_u32 s33, s11, 0
	s_add_u32 s40, s7, 2
	s_addc_u32 s42, s11, 0
	s_cmp_lg_u32 s0, 0
	s_cselect_b32 s0, s40, s1
	s_cselect_b32 s1, s42, s33
	s_cmp_lg_u64 vcc, 0
	s_subb_u32 s21, s41, s21
	s_cmp_ge_u32 s21, s37
	v_readfirstlane_b32 s40, v2
	s_cselect_b32 s33, -1, 0
	s_cmp_ge_u32 s40, s36
	s_cselect_b32 s36, -1, 0
	s_cmp_eq_u32 s21, s37
	s_cselect_b32 s21, s36, s33
	s_cmp_lg_u32 s21, 0
	s_cselect_b32 s1, s1, s11
	s_cselect_b32 s0, s0, s7
	s_xor_b64 s[34:35], s[38:39], s[34:35]
	s_xor_b64 s[0:1], s[0:1], s[34:35]
	s_sub_u32 s0, s0, s34
	s_subb_u32 s1, s1, s35
	s_cbranch_execnz .LBB45_7
.LBB45_6:
	v_cvt_f32_u32_e32 v2, s28
	s_sub_i32 s0, 0, s28
	s_mov_b32 s1, 0
	v_rcp_iflag_f32_e32 v2, v2
	v_mul_f32_e32 v2, 0x4f7ffffe, v2
	v_cvt_u32_f32_e32 v2, v2
	v_readfirstlane_b32 s7, v2
	s_mul_i32 s0, s0, s7
	s_mul_hi_u32 s0, s7, s0
	s_add_i32 s7, s7, s0
	s_mul_hi_u32 s0, s24, s7
	s_mul_i32 s11, s0, s28
	s_sub_i32 s11, s24, s11
	s_add_i32 s7, s0, 1
	s_sub_i32 s21, s11, s28
	s_cmp_ge_u32 s11, s28
	s_cselect_b32 s0, s7, s0
	s_cselect_b32 s11, s21, s11
	s_add_i32 s7, s0, 1
	s_cmp_ge_u32 s11, s28
	s_cselect_b32 s0, s7, s0
.LBB45_7:
	s_mul_i32 s7, s0, s29
	s_mul_hi_u32 s11, s0, s28
	s_add_i32 s7, s11, s7
	s_mul_i32 s11, s1, s28
	s_add_i32 s11, s7, s11
	s_mul_i32 s7, s0, s28
	s_sub_u32 s7, s24, s7
	s_subb_u32 s11, s25, s11
	v_cmp_gt_i32_e32 vcc, s20, v0
	s_mul_hi_u32 s34, s0, s8
	s_mul_i32 s35, s1, s8
	s_mul_i32 s28, s0, s8
	s_mul_hi_u32 s33, s7, s9
	s_mul_i32 s1, s11, s9
	s_mul_i32 s24, s7, s9
	s_and_saveexec_b64 s[30:31], vcc
	s_cbranch_execz .LBB45_10
; %bb.8:
	s_load_dword s25, s[4:5], 0x8c
	s_ashr_i32 s21, s20, 31
	s_ashr_i32 s29, s8, 31
	;; [unrolled: 1-line block ×4, first 2 shown]
	s_waitcnt lgkmcnt(0)
	s_and_b32 s36, s25, 0xffff
	s_lshl_b64 s[26:27], s[26:27], 1
	s_add_u32 s22, s22, s26
	s_addc_u32 s23, s23, s27
	v_mov_b32_e32 v3, s23
	v_add_co_u32_e32 v2, vcc, s22, v1
	s_lshl_b64 s[22:23], s[20:21], 1
	s_mul_i32 s21, s0, s29
	s_add_i32 s21, s34, s21
	s_add_i32 s29, s21, s35
	s_mul_i32 s21, s7, s37
	s_add_i32 s21, s33, s21
	s_add_i32 s25, s21, s1
	s_lshl_b32 s26, s36, 1
	s_lshl_b64 s[38:39], s[28:29], 1
	s_lshl_b64 s[40:41], s[24:25], 1
	s_add_u32 s21, s38, s40
	s_addc_u32 s25, s39, s41
	s_lshl_b64 s[38:39], s[10:11], 1
	s_add_u32 s11, s2, s38
	s_addc_u32 s27, s3, s39
	s_add_u32 s11, s11, s21
	s_addc_u32 s21, s27, s25
	v_addc_co_u32_e32 v3, vcc, 0, v3, vcc
	v_lshlrev_b32_e32 v5, 2, v0
	v_mov_b32_e32 v1, s21
	s_mul_i32 s13, s13, s6
	s_mul_hi_u32 s21, s12, s6
	v_add_co_u32_e32 v4, vcc, s11, v5
	s_add_i32 s13, s21, s13
	s_mul_i32 s12, s12, s6
	v_addc_co_u32_e32 v6, vcc, 0, v1, vcc
	s_lshl_b32 s11, s36, 2
	s_lshl_b64 s[12:13], s[12:13], 1
	v_add_co_u32_e32 v1, vcc, 2, v4
	s_add_u32 s12, s16, s12
	v_addc_co_u32_e32 v4, vcc, 0, v6, vcc
	s_addc_u32 s13, s17, s13
	s_mov_b32 s42, 0
	v_mov_b32_e32 v6, s13
	v_add_co_u32_e32 v5, vcc, s12, v5
	v_addc_co_u32_e32 v6, vcc, 0, v6, vcc
	s_mov_b64 s[12:13], 0
	v_mov_b32_e32 v7, s23
	v_mov_b32_e32 v8, s42
	s_mov_b64 s[16:17], 0
	v_mov_b32_e32 v9, v0
.LBB45_9:                               ; =>This Inner Loop Header: Depth=1
	v_add_co_u32_e32 v10, vcc, s22, v2
	v_addc_co_u32_e32 v11, vcc, v3, v7, vcc
	v_mov_b32_e32 v15, s17
	v_add_co_u32_e32 v12, vcc, s16, v5
	v_addc_co_u32_e32 v13, vcc, v6, v15, vcc
	global_load_ushort v14, v[2:3], off
	global_load_ushort v16, v[10:11], off
	global_load_dword v17, v[12:13], off
	v_add_co_u32_e32 v2, vcc, s26, v2
	v_addc_co_u32_e32 v3, vcc, v3, v8, vcc
	v_add_co_u32_e32 v10, vcc, s16, v1
	v_add_u32_e32 v9, s36, v9
	s_add_u32 s16, s16, s11
	v_addc_co_u32_e32 v11, vcc, v4, v15, vcc
	s_addc_u32 s17, s17, 0
	v_cmp_le_i32_e32 vcc, s20, v9
	s_or_b64 s[12:13], vcc, s[12:13]
	s_waitcnt vmcnt(0)
	v_mul_f16_sdwa v15, v16, v17 dst_sel:DWORD dst_unused:UNUSED_PAD src0_sel:DWORD src1_sel:WORD_1
	v_mul_f16_sdwa v18, v14, v17 dst_sel:DWORD dst_unused:UNUSED_PAD src0_sel:DWORD src1_sel:WORD_1
	v_fma_f16 v14, v14, v17, -v15
	v_fma_f16 v15, v16, v17, v18
	v_pack_b32_f16 v14, v14, v15
	global_store_dword v[12:13], v14, off
	global_store_dword v[10:11], v14, off offset:-2
	s_andn2_b64 exec, exec, s[12:13]
	s_cbranch_execnz .LBB45_9
.LBB45_10:
	s_or_b64 exec, exec, s[30:31]
	v_cmp_gt_i32_e32 vcc, s10, v0
	s_and_saveexec_b64 s[12:13], vcc
	s_cbranch_execz .LBB45_13
; %bb.11:
	s_mul_i32 s11, s6, s15
	s_mul_hi_u32 s12, s6, s14
	s_add_i32 s13, s12, s11
	s_mul_i32 s12, s6, s14
	s_lshl_b64 s[12:13], s[12:13], 1
	s_add_u32 s6, s18, s12
	s_addc_u32 s11, s19, s13
	s_ashr_i32 s8, s8, 31
	s_mul_i32 s0, s0, s8
	s_add_i32 s0, s34, s0
	s_add_i32 s29, s0, s35
	s_lshl_b64 s[12:13], s[28:29], 1
	s_add_u32 s2, s2, s12
	s_addc_u32 s3, s3, s13
	s_ashr_i32 s0, s9, 31
	s_mul_i32 s7, s7, s0
	s_add_i32 s0, s33, s7
	s_load_dword s4, s[4:5], 0x8c
	s_add_i32 s25, s0, s1
	s_lshl_b64 s[0:1], s[24:25], 1
	s_add_u32 s2, s2, s0
	s_addc_u32 s5, s3, s1
	s_waitcnt lgkmcnt(0)
	s_and_b32 s3, s4, 0xffff
	s_mov_b64 s[0:1], 0
	v_mov_b32_e32 v2, s11
	v_mov_b32_e32 v3, s5
.LBB45_12:                              ; =>This Inner Loop Header: Depth=1
	v_ashrrev_i32_e32 v1, 31, v0
	v_lshlrev_b64 v[4:5], 1, v[0:1]
	v_add_co_u32_e32 v6, vcc, s6, v4
	v_addc_co_u32_e32 v7, vcc, v2, v5, vcc
	global_load_ushort v1, v[6:7], off
	v_add_co_u32_e32 v4, vcc, s2, v4
	v_addc_co_u32_e32 v5, vcc, v3, v5, vcc
	v_add_u32_e32 v0, s3, v0
	v_cmp_le_i32_e32 vcc, s10, v0
	s_or_b64 s[0:1], vcc, s[0:1]
	s_waitcnt vmcnt(0)
	global_store_short v[4:5], v1, off
	s_andn2_b64 exec, exec, s[0:1]
	s_cbranch_execnz .LBB45_12
.LBB45_13:
	s_endpgm
.LBB45_14:
                                        ; implicit-def: $sgpr0_sgpr1
	s_branch .LBB45_6
	.section	.rodata,"a",@progbits
	.p2align	6, 0x0
	.amdhsa_kernel _ZN4vllm38concat_and_cache_mla_rope_fused_kernelIN3c104HalfES2_Lb0E14__hip_bfloat16S3_LNS_18Fp8KVCacheDataTypeE0EEEvPKlPT_S8_PKS7_PKT0_illlliPT3_S6_iiiiPKf
		.amdhsa_group_segment_fixed_size 0
		.amdhsa_private_segment_fixed_size 0
		.amdhsa_kernarg_size 384
		.amdhsa_user_sgpr_count 6
		.amdhsa_user_sgpr_private_segment_buffer 1
		.amdhsa_user_sgpr_dispatch_ptr 0
		.amdhsa_user_sgpr_queue_ptr 0
		.amdhsa_user_sgpr_kernarg_segment_ptr 1
		.amdhsa_user_sgpr_dispatch_id 0
		.amdhsa_user_sgpr_flat_scratch_init 0
		.amdhsa_user_sgpr_kernarg_preload_length 0
		.amdhsa_user_sgpr_kernarg_preload_offset 0
		.amdhsa_user_sgpr_private_segment_size 0
		.amdhsa_uses_dynamic_stack 0
		.amdhsa_system_sgpr_private_segment_wavefront_offset 0
		.amdhsa_system_sgpr_workgroup_id_x 1
		.amdhsa_system_sgpr_workgroup_id_y 0
		.amdhsa_system_sgpr_workgroup_id_z 0
		.amdhsa_system_sgpr_workgroup_info 0
		.amdhsa_system_vgpr_workitem_id 0
		.amdhsa_next_free_vgpr 19
		.amdhsa_next_free_sgpr 43
		.amdhsa_accum_offset 20
		.amdhsa_reserve_vcc 1
		.amdhsa_reserve_flat_scratch 0
		.amdhsa_float_round_mode_32 0
		.amdhsa_float_round_mode_16_64 0
		.amdhsa_float_denorm_mode_32 3
		.amdhsa_float_denorm_mode_16_64 3
		.amdhsa_dx10_clamp 1
		.amdhsa_ieee_mode 1
		.amdhsa_fp16_overflow 0
		.amdhsa_tg_split 0
		.amdhsa_exception_fp_ieee_invalid_op 0
		.amdhsa_exception_fp_denorm_src 0
		.amdhsa_exception_fp_ieee_div_zero 0
		.amdhsa_exception_fp_ieee_overflow 0
		.amdhsa_exception_fp_ieee_underflow 0
		.amdhsa_exception_fp_ieee_inexact 0
		.amdhsa_exception_int_div_zero 0
	.end_amdhsa_kernel
	.section	.text._ZN4vllm38concat_and_cache_mla_rope_fused_kernelIN3c104HalfES2_Lb0E14__hip_bfloat16S3_LNS_18Fp8KVCacheDataTypeE0EEEvPKlPT_S8_PKS7_PKT0_illlliPT3_S6_iiiiPKf,"axG",@progbits,_ZN4vllm38concat_and_cache_mla_rope_fused_kernelIN3c104HalfES2_Lb0E14__hip_bfloat16S3_LNS_18Fp8KVCacheDataTypeE0EEEvPKlPT_S8_PKS7_PKT0_illlliPT3_S6_iiiiPKf,comdat
.Lfunc_end45:
	.size	_ZN4vllm38concat_and_cache_mla_rope_fused_kernelIN3c104HalfES2_Lb0E14__hip_bfloat16S3_LNS_18Fp8KVCacheDataTypeE0EEEvPKlPT_S8_PKS7_PKT0_illlliPT3_S6_iiiiPKf, .Lfunc_end45-_ZN4vllm38concat_and_cache_mla_rope_fused_kernelIN3c104HalfES2_Lb0E14__hip_bfloat16S3_LNS_18Fp8KVCacheDataTypeE0EEEvPKlPT_S8_PKS7_PKT0_illlliPT3_S6_iiiiPKf
                                        ; -- End function
	.section	.AMDGPU.csdata,"",@progbits
; Kernel info:
; codeLenInByte = 1976
; NumSgprs: 47
; NumVgprs: 19
; NumAgprs: 0
; TotalNumVgprs: 19
; ScratchSize: 0
; MemoryBound: 0
; FloatMode: 240
; IeeeMode: 1
; LDSByteSize: 0 bytes/workgroup (compile time only)
; SGPRBlocks: 5
; VGPRBlocks: 2
; NumSGPRsForWavesPerEU: 47
; NumVGPRsForWavesPerEU: 19
; AccumOffset: 20
; Occupancy: 8
; WaveLimiterHint : 1
; COMPUTE_PGM_RSRC2:SCRATCH_EN: 0
; COMPUTE_PGM_RSRC2:USER_SGPR: 6
; COMPUTE_PGM_RSRC2:TRAP_HANDLER: 0
; COMPUTE_PGM_RSRC2:TGID_X_EN: 1
; COMPUTE_PGM_RSRC2:TGID_Y_EN: 0
; COMPUTE_PGM_RSRC2:TGID_Z_EN: 0
; COMPUTE_PGM_RSRC2:TIDIG_COMP_CNT: 0
; COMPUTE_PGM_RSRC3_GFX90A:ACCUM_OFFSET: 4
; COMPUTE_PGM_RSRC3_GFX90A:TG_SPLIT: 0
	.section	.text._ZN4vllm38concat_and_cache_mla_rope_fused_kernelIN3c104HalfENS1_8BFloat16ELb1E14__hip_bfloat16S4_LNS_18Fp8KVCacheDataTypeE0EEEvPKlPT_S9_PKS8_PKT0_illlliPT3_S7_iiiiPKf,"axG",@progbits,_ZN4vllm38concat_and_cache_mla_rope_fused_kernelIN3c104HalfENS1_8BFloat16ELb1E14__hip_bfloat16S4_LNS_18Fp8KVCacheDataTypeE0EEEvPKlPT_S9_PKS8_PKT0_illlliPT3_S7_iiiiPKf,comdat
	.protected	_ZN4vllm38concat_and_cache_mla_rope_fused_kernelIN3c104HalfENS1_8BFloat16ELb1E14__hip_bfloat16S4_LNS_18Fp8KVCacheDataTypeE0EEEvPKlPT_S9_PKS8_PKT0_illlliPT3_S7_iiiiPKf ; -- Begin function _ZN4vllm38concat_and_cache_mla_rope_fused_kernelIN3c104HalfENS1_8BFloat16ELb1E14__hip_bfloat16S4_LNS_18Fp8KVCacheDataTypeE0EEEvPKlPT_S9_PKS8_PKT0_illlliPT3_S7_iiiiPKf
	.globl	_ZN4vllm38concat_and_cache_mla_rope_fused_kernelIN3c104HalfENS1_8BFloat16ELb1E14__hip_bfloat16S4_LNS_18Fp8KVCacheDataTypeE0EEEvPKlPT_S9_PKS8_PKT0_illlliPT3_S7_iiiiPKf
	.p2align	8
	.type	_ZN4vllm38concat_and_cache_mla_rope_fused_kernelIN3c104HalfENS1_8BFloat16ELb1E14__hip_bfloat16S4_LNS_18Fp8KVCacheDataTypeE0EEEvPKlPT_S9_PKS8_PKT0_illlliPT3_S7_iiiiPKf,@function
_ZN4vllm38concat_and_cache_mla_rope_fused_kernelIN3c104HalfENS1_8BFloat16ELb1E14__hip_bfloat16S4_LNS_18Fp8KVCacheDataTypeE0EEEvPKlPT_S9_PKS8_PKT0_illlliPT3_S7_iiiiPKf: ; @_ZN4vllm38concat_and_cache_mla_rope_fused_kernelIN3c104HalfENS1_8BFloat16ELb1E14__hip_bfloat16S4_LNS_18Fp8KVCacheDataTypeE0EEEvPKlPT_S9_PKS8_PKT0_illlliPT3_S7_iiiiPKf
; %bb.0:
	s_load_dwordx2 s[2:3], s[4:5], 0x60
	s_mov_b32 s7, 0
	s_lshl_b64 s[0:1], s[6:7], 3
	s_waitcnt lgkmcnt(0)
	s_add_u32 s2, s2, s0
	s_addc_u32 s3, s3, s1
	s_load_dwordx2 s[30:31], s[2:3], 0x0
	s_waitcnt lgkmcnt(0)
	v_cmp_lt_i64_e64 s[2:3], s[30:31], 0
	s_and_b64 vcc, exec, s[2:3]
	s_cbranch_vccnz .LBB46_13
; %bb.1:
	s_load_dword s22, s[4:5], 0x28
	s_load_dwordx2 s[2:3], s[4:5], 0x0
	s_load_dwordx4 s[16:19], s[4:5], 0x10
	s_waitcnt lgkmcnt(0)
	s_ashr_i32 s7, s22, 31
	s_add_u32 s0, s2, s0
	s_addc_u32 s1, s3, s1
	s_load_dwordx2 s[20:21], s[0:1], 0x0
	s_load_dwordx2 s[2:3], s[4:5], 0x20
	s_load_dwordx8 s[8:15], s[4:5], 0x30
	s_load_dwordx2 s[24:25], s[4:5], 0x58
	s_load_dword s23, s[4:5], 0x50
	s_waitcnt lgkmcnt(0)
	s_mul_i32 s0, s20, s7
	s_mul_hi_u32 s1, s20, s22
	s_mul_i32 s7, s21, s22
	s_add_i32 s0, s1, s0
	s_add_i32 s1, s0, s7
	s_mul_i32 s0, s20, s22
	s_lshl_b64 s[28:29], s[0:1], 1
	s_add_u32 s7, s2, s28
	s_addc_u32 s33, s3, s29
	s_lshr_b32 s0, s22, 31
	s_add_i32 s22, s22, s0
	s_ashr_i32 s26, s22, 1
	s_mul_i32 s22, s26, s23
	v_cmp_gt_i32_e32 vcc, s22, v0
	s_and_saveexec_b64 s[0:1], vcc
	s_cbranch_execz .LBB46_4
; %bb.2:
	s_load_dwordx2 s[20:21], s[4:5], 0x8
	s_load_dword s35, s[4:5], 0x8c
	s_mul_i32 s9, s6, s9
	s_mul_hi_u32 s23, s6, s8
	s_add_i32 s9, s23, s9
	s_mul_i32 s8, s6, s8
	s_ashr_i32 s27, s26, 31
	s_lshl_b64 s[8:9], s[8:9], 1
	s_waitcnt lgkmcnt(0)
	s_add_u32 s23, s20, s8
	s_addc_u32 s37, s21, s9
	s_abs_i32 s34, s26
	v_cvt_f32_u32_e32 v1, s34
	s_sub_i32 s20, 0, s34
	s_mov_b64 s[8:9], 0
	s_and_b32 s35, s35, 0xffff
	v_rcp_iflag_f32_e32 v2, v1
	v_mov_b32_e32 v1, s33
	s_sub_i32 s36, 0, s26
	v_mov_b32_e32 v5, s37
	v_mul_f32_e32 v2, 0x4f7ffffe, v2
	v_cvt_u32_f32_e32 v2, v2
	v_mul_lo_u32 v3, s20, v2
	v_mul_hi_u32 v3, v2, v3
	s_lshl_b64 s[20:21], s[26:27], 1
	v_add_u32_e32 v3, v2, v3
	v_mov_b32_e32 v4, s21
	v_mov_b32_e32 v2, v0
.LBB46_3:                               ; =>This Inner Loop Header: Depth=1
	v_sub_u32_e32 v7, 0, v2
	v_max_i32_e32 v7, v2, v7
	v_mul_hi_u32 v8, v7, v3
	v_mul_lo_u32 v9, v8, s34
	v_sub_u32_e32 v7, v7, v9
	v_add_u32_e32 v10, 1, v8
	v_cmp_le_u32_e32 vcc, s34, v7
	v_subrev_u32_e32 v9, s34, v7
	v_cndmask_b32_e32 v8, v8, v10, vcc
	v_cndmask_b32_e32 v7, v7, v9, vcc
	v_ashrrev_i32_e32 v6, 31, v2
	v_add_u32_e32 v9, 1, v8
	v_cmp_le_u32_e32 vcc, s34, v7
	v_xor_b32_e32 v6, s27, v6
	v_cndmask_b32_e32 v7, v8, v9, vcc
	v_xor_b32_e32 v7, v7, v6
	v_sub_u32_e32 v8, v7, v6
	v_mad_u64_u32 v[6:7], s[38:39], s36, v8, v[2:3]
	v_ashrrev_i32_e32 v10, 31, v8
	v_ashrrev_i32_e32 v7, 31, v6
	v_mul_lo_u32 v11, v8, s11
	v_mad_u64_u32 v[8:9], s[38:39], v8, s10, 0
	v_mul_lo_u32 v10, v10, s10
	v_lshlrev_b64 v[6:7], 1, v[6:7]
	v_add3_u32 v9, v9, v11, v10
	v_add_co_u32_e32 v10, vcc, s7, v6
	v_addc_co_u32_e32 v11, vcc, v1, v7, vcc
	v_add_co_u32_e32 v12, vcc, s20, v10
	v_lshlrev_b64 v[8:9], 1, v[8:9]
	v_addc_co_u32_e32 v13, vcc, v11, v4, vcc
	v_add_co_u32_e32 v8, vcc, s23, v8
	global_load_ushort v14, v[10:11], off
	global_load_ushort v15, v[12:13], off
	v_addc_co_u32_e32 v9, vcc, v5, v9, vcc
	v_add_co_u32_e32 v6, vcc, v8, v6
	v_addc_co_u32_e32 v7, vcc, v9, v7, vcc
	v_add_co_u32_e32 v8, vcc, s20, v6
	v_addc_co_u32_e32 v9, vcc, v7, v4, vcc
	global_load_ushort v10, v[6:7], off
	global_load_ushort v11, v[8:9], off
	v_add_u32_e32 v2, s35, v2
	v_cmp_le_i32_e32 vcc, s22, v2
	s_or_b64 s[8:9], vcc, s[8:9]
	s_waitcnt vmcnt(3)
	v_lshlrev_b32_e32 v12, 16, v14
	s_waitcnt vmcnt(2)
	v_lshlrev_b32_e32 v13, 16, v15
	v_cvt_f16_f32_e32 v13, v13
	v_cvt_f16_f32_e32 v12, v12
	s_waitcnt vmcnt(0)
	v_mul_f16_e32 v14, v11, v13
	v_mul_f16_e32 v13, v10, v13
	v_fma_f16 v10, v10, v12, -v14
	v_fma_f16 v11, v11, v12, v13
	global_store_short v[6:7], v10, off
	global_store_short v[8:9], v11, off
	s_andn2_b64 exec, exec, s[8:9]
	s_cbranch_execnz .LBB46_3
.LBB46_4:
	s_or_b64 exec, exec, s[0:1]
	s_load_dwordx4 s[20:23], s[4:5], 0x68
	s_waitcnt lgkmcnt(0)
	s_ashr_i32 s9, s23, 31
	s_mov_b32 s8, s23
	s_or_b64 s[0:1], s[30:31], s[8:9]
	s_mov_b32 s0, 0
	s_cmp_lg_u64 s[0:1], 0
	s_cbranch_scc0 .LBB46_14
; %bb.5:
	s_add_u32 s0, s8, s9
	s_mov_b32 s10, s9
	s_mov_b32 s11, s9
	s_addc_u32 s1, s9, s9
	s_xor_b64 s[36:37], s[0:1], s[10:11]
	v_cvt_f32_u32_e32 v1, s36
	v_cvt_f32_u32_e32 v2, s37
	s_sub_u32 s0, 0, s36
	s_subb_u32 s1, 0, s37
	v_madmk_f32 v1, v2, 0x4f800000, v1
	v_rcp_f32_e32 v1, v1
	v_mul_f32_e32 v1, 0x5f7ffffc, v1
	v_mul_f32_e32 v2, 0x2f800000, v1
	v_trunc_f32_e32 v2, v2
	v_madmk_f32 v1, v2, 0xcf800000, v1
	v_cvt_u32_f32_e32 v2, v2
	v_cvt_u32_f32_e32 v1, v1
	v_readfirstlane_b32 s23, v2
	v_readfirstlane_b32 s27, v1
	s_mul_i32 s38, s0, s23
	s_mul_hi_u32 s40, s0, s27
	s_mul_i32 s39, s1, s27
	s_add_i32 s38, s40, s38
	s_add_i32 s38, s38, s39
	s_mul_i32 s41, s0, s27
	s_mul_hi_u32 s39, s27, s38
	s_mul_i32 s40, s27, s38
	s_mul_hi_u32 s27, s27, s41
	s_add_u32 s27, s27, s40
	s_addc_u32 s39, 0, s39
	s_mul_hi_u32 s42, s23, s41
	s_mul_i32 s41, s23, s41
	s_add_u32 s27, s27, s41
	s_mul_hi_u32 s40, s23, s38
	s_addc_u32 s27, s39, s42
	s_addc_u32 s39, s40, 0
	s_mul_i32 s38, s23, s38
	s_add_u32 s27, s27, s38
	s_addc_u32 s38, 0, s39
	v_add_co_u32_e32 v1, vcc, s27, v1
	s_cmp_lg_u64 vcc, 0
	s_addc_u32 s23, s23, s38
	v_readfirstlane_b32 s38, v1
	s_mul_i32 s27, s0, s23
	s_mul_hi_u32 s39, s0, s38
	s_add_i32 s27, s39, s27
	s_mul_i32 s1, s1, s38
	s_add_i32 s27, s27, s1
	s_mul_i32 s0, s0, s38
	s_mul_hi_u32 s39, s23, s0
	s_mul_i32 s40, s23, s0
	s_mul_i32 s42, s38, s27
	s_mul_hi_u32 s0, s38, s0
	s_mul_hi_u32 s41, s38, s27
	s_add_u32 s0, s0, s42
	s_addc_u32 s38, 0, s41
	s_add_u32 s0, s0, s40
	s_mul_hi_u32 s1, s23, s27
	s_addc_u32 s0, s38, s39
	s_addc_u32 s1, s1, 0
	s_mul_i32 s27, s23, s27
	s_add_u32 s0, s0, s27
	s_addc_u32 s1, 0, s1
	v_add_co_u32_e32 v1, vcc, s0, v1
	s_cmp_lg_u64 vcc, 0
	s_addc_u32 s23, s23, s1
	s_ashr_i32 s38, s31, 31
	s_add_u32 s0, s30, s38
	s_mov_b32 s39, s38
	s_addc_u32 s1, s31, s38
	s_xor_b64 s[40:41], s[0:1], s[38:39]
	v_readfirstlane_b32 s27, v1
	s_mul_i32 s1, s40, s23
	s_mul_hi_u32 s42, s40, s27
	s_mul_hi_u32 s0, s40, s23
	s_add_u32 s1, s42, s1
	s_addc_u32 s0, 0, s0
	s_mul_hi_u32 s43, s41, s27
	s_mul_i32 s27, s41, s27
	s_add_u32 s1, s1, s27
	s_mul_hi_u32 s42, s41, s23
	s_addc_u32 s0, s0, s43
	s_addc_u32 s1, s42, 0
	s_mul_i32 s23, s41, s23
	s_add_u32 s23, s0, s23
	s_addc_u32 s27, 0, s1
	s_mul_i32 s0, s36, s27
	s_mul_hi_u32 s1, s36, s23
	s_add_i32 s0, s1, s0
	s_mul_i32 s1, s37, s23
	s_add_i32 s42, s0, s1
	s_mul_i32 s1, s36, s23
	v_mov_b32_e32 v1, s1
	s_sub_i32 s0, s41, s42
	v_sub_co_u32_e32 v1, vcc, s40, v1
	s_cmp_lg_u64 vcc, 0
	s_subb_u32 s40, s0, s37
	v_subrev_co_u32_e64 v2, s[0:1], s36, v1
	s_cmp_lg_u64 s[0:1], 0
	s_subb_u32 s0, s40, 0
	s_cmp_ge_u32 s0, s37
	v_readfirstlane_b32 s40, v2
	s_cselect_b32 s1, -1, 0
	s_cmp_ge_u32 s40, s36
	s_cselect_b32 s40, -1, 0
	s_cmp_eq_u32 s0, s37
	s_cselect_b32 s0, s40, s1
	s_add_u32 s1, s23, 1
	s_addc_u32 s40, s27, 0
	s_add_u32 s43, s23, 2
	s_addc_u32 s44, s27, 0
	s_cmp_lg_u32 s0, 0
	s_cselect_b32 s0, s43, s1
	s_cselect_b32 s1, s44, s40
	s_cmp_lg_u64 vcc, 0
	s_subb_u32 s40, s41, s42
	s_cmp_ge_u32 s40, s37
	v_readfirstlane_b32 s42, v1
	s_cselect_b32 s41, -1, 0
	s_cmp_ge_u32 s42, s36
	s_cselect_b32 s36, -1, 0
	s_cmp_eq_u32 s40, s37
	s_cselect_b32 s36, s36, s41
	s_cmp_lg_u32 s36, 0
	s_cselect_b32 s1, s1, s27
	s_cselect_b32 s0, s0, s23
	s_xor_b64 s[10:11], s[38:39], s[10:11]
	s_xor_b64 s[0:1], s[0:1], s[10:11]
	s_sub_u32 s10, s0, s10
	s_subb_u32 s11, s1, s11
	s_cbranch_execnz .LBB46_7
.LBB46_6:
	v_cvt_f32_u32_e32 v1, s8
	s_sub_i32 s0, 0, s8
	s_mov_b32 s11, 0
	v_rcp_iflag_f32_e32 v1, v1
	v_mul_f32_e32 v1, 0x4f7ffffe, v1
	v_cvt_u32_f32_e32 v1, v1
	v_readfirstlane_b32 s1, v1
	s_mul_i32 s0, s0, s1
	s_mul_hi_u32 s0, s1, s0
	s_add_i32 s1, s1, s0
	s_mul_hi_u32 s0, s30, s1
	s_mul_i32 s10, s0, s8
	s_sub_i32 s10, s30, s10
	s_add_i32 s1, s0, 1
	s_sub_i32 s23, s10, s8
	s_cmp_ge_u32 s10, s8
	s_cselect_b32 s0, s1, s0
	s_cselect_b32 s10, s23, s10
	s_add_i32 s1, s0, 1
	s_cmp_ge_u32 s10, s8
	s_cselect_b32 s10, s1, s0
.LBB46_7:
	s_mul_i32 s0, s10, s9
	s_mul_hi_u32 s1, s10, s8
	s_add_i32 s0, s1, s0
	s_mul_i32 s1, s11, s8
	s_add_i32 s0, s0, s1
	s_mul_i32 s1, s10, s8
	s_sub_u32 s38, s30, s1
	s_subb_u32 s0, s31, s0
	v_cmp_gt_i32_e32 vcc, s26, v0
	s_mul_hi_u32 s40, s10, s20
	s_mul_i32 s41, s11, s20
	s_mul_i32 s34, s10, s20
	s_mul_hi_u32 s39, s38, s21
	s_mul_i32 s11, s0, s21
	s_mul_i32 s30, s38, s21
	s_and_saveexec_b64 s[36:37], vcc
	s_cbranch_execz .LBB46_10
; %bb.8:
	s_mul_i32 s0, s6, s13
	s_mul_hi_u32 s1, s6, s12
	s_add_i32 s1, s1, s0
	s_mul_i32 s0, s6, s12
	s_ashr_i32 s27, s26, 31
	s_lshl_b64 s[0:1], s[0:1], 1
	s_add_u32 s42, s16, s0
	s_addc_u32 s43, s17, s1
	s_ashr_i32 s8, s20, 31
	s_mul_i32 s8, s10, s8
	s_add_i32 s8, s40, s8
	s_add_i32 s35, s8, s41
	s_ashr_i32 s8, s21, 31
	s_mul_i32 s8, s38, s8
	s_add_i32 s8, s39, s8
	s_add_i32 s31, s8, s11
	s_lshl_b64 s[8:9], s[34:35], 1
	s_lshl_b64 s[12:13], s[30:31], 1
	s_add_u32 s45, s8, s12
	s_addc_u32 s46, s9, s13
	s_load_dword s35, s[4:5], 0x8c
	s_add_u32 s12, s45, s24
	s_addc_u32 s13, s46, s25
	s_ashr_i32 s23, s22, 31
	s_lshl_b64 s[8:9], s[22:23], 1
	s_add_u32 s23, s12, s8
	s_addc_u32 s31, s13, s9
	s_waitcnt lgkmcnt(0)
	s_and_b32 s35, s35, 0xffff
	s_lshl_b32 s44, s35, 1
	s_lshl_b64 s[12:13], s[26:27], 1
	s_add_u32 s27, s28, s12
	s_addc_u32 s28, s29, s13
	s_add_u32 s27, s2, s27
	s_addc_u32 s28, s3, s28
	;; [unrolled: 2-line block ×6, first 2 shown]
	s_add_u32 s29, s24, s0
	v_lshlrev_b32_e32 v2, 1, v0
	s_addc_u32 s45, s25, s1
	s_mov_b64 s[12:13], 0
	v_mov_b32_e32 v1, v0
.LBB46_9:                               ; =>This Inner Loop Header: Depth=1
	v_mov_b32_e32 v3, s33
	v_add_co_u32_e64 v10, s[8:9], s7, v2
	v_mov_b32_e32 v5, s28
	v_add_co_u32_e32 v4, vcc, s27, v2
	v_mov_b32_e32 v7, s43
	v_add_co_u32_e64 v6, s[0:1], s42, v2
	v_mov_b32_e32 v9, s17
	v_add_co_u32_e64 v8, s[2:3], s16, v2
	v_addc_co_u32_e64 v11, s[8:9], 0, v3, s[8:9]
	v_addc_co_u32_e32 v5, vcc, 0, v5, vcc
	v_addc_co_u32_e64 v7, vcc, 0, v7, s[0:1]
	v_addc_co_u32_e64 v9, vcc, 0, v9, s[2:3]
	global_load_ushort v3, v[10:11], off
	global_load_ushort v12, v[4:5], off
	global_load_ushort v13, v[8:9], off
	global_load_ushort v14, v[6:7], off
	s_add_u32 s7, s7, s44
	s_addc_u32 s33, s33, 0
	s_add_u32 s27, s27, s44
	s_addc_u32 s28, s28, 0
	;; [unrolled: 2-line block ×4, first 2 shown]
	v_add_co_u32_e32 v4, vcc, s29, v2
	s_add_u32 s29, s29, s44
	v_mov_b32_e32 v5, s31
	v_mov_b32_e32 v15, s45
	v_add_co_u32_e64 v10, s[0:1], s23, v2
	s_addc_u32 s45, s45, 0
	v_add_u32_e32 v1, s35, v1
	v_addc_co_u32_e64 v11, s[0:1], 0, v5, s[0:1]
	v_addc_co_u32_e32 v5, vcc, 0, v15, vcc
	s_add_u32 s23, s23, s44
	v_cmp_le_i32_e32 vcc, s26, v1
	s_addc_u32 s31, s31, 0
	s_or_b64 s[12:13], vcc, s[12:13]
	s_waitcnt vmcnt(3)
	v_lshlrev_b32_e32 v3, 16, v3
	s_waitcnt vmcnt(2)
	v_lshlrev_b32_e32 v12, 16, v12
	v_cvt_f16_f32_e32 v12, v12
	v_cvt_f16_f32_e32 v3, v3
	s_waitcnt vmcnt(1)
	v_mul_f16_e32 v15, v13, v12
	s_waitcnt vmcnt(0)
	v_mul_f16_e32 v12, v14, v12
	v_fma_f16 v14, v14, v3, -v15
	v_fma_f16 v3, v13, v3, v12
	global_store_short v[6:7], v14, off
	global_store_short v[8:9], v3, off
	;; [unrolled: 1-line block ×4, first 2 shown]
	s_andn2_b64 exec, exec, s[12:13]
	s_cbranch_execnz .LBB46_9
.LBB46_10:
	s_or_b64 exec, exec, s[36:37]
	v_cmp_gt_i32_e32 vcc, s22, v0
	s_and_saveexec_b64 s[0:1], vcc
	s_cbranch_execz .LBB46_13
; %bb.11:
	s_mul_i32 s0, s6, s15
	s_mul_hi_u32 s1, s6, s14
	s_add_i32 s1, s1, s0
	s_mul_i32 s0, s6, s14
	s_lshl_b64 s[0:1], s[0:1], 1
	s_add_u32 s2, s18, s0
	s_addc_u32 s6, s19, s1
	s_ashr_i32 s0, s20, 31
	s_mul_i32 s0, s10, s0
	s_add_i32 s0, s40, s0
	s_add_i32 s35, s0, s41
	s_lshl_b64 s[0:1], s[34:35], 1
	s_add_u32 s3, s24, s0
	s_addc_u32 s7, s25, s1
	s_ashr_i32 s0, s21, 31
	s_mul_i32 s38, s38, s0
	s_add_i32 s0, s39, s38
	s_load_dword s4, s[4:5], 0x8c
	s_add_i32 s31, s0, s11
	s_lshl_b64 s[0:1], s[30:31], 1
	s_add_u32 s3, s3, s0
	s_addc_u32 s5, s7, s1
	s_waitcnt lgkmcnt(0)
	s_and_b32 s4, s4, 0xffff
	s_mov_b64 s[0:1], 0
	v_mov_b32_e32 v2, s6
	v_mov_b32_e32 v3, s5
.LBB46_12:                              ; =>This Inner Loop Header: Depth=1
	v_ashrrev_i32_e32 v1, 31, v0
	v_lshlrev_b64 v[4:5], 1, v[0:1]
	v_add_co_u32_e32 v6, vcc, s2, v4
	v_addc_co_u32_e32 v7, vcc, v2, v5, vcc
	global_load_ushort v1, v[6:7], off
	v_add_co_u32_e32 v4, vcc, s3, v4
	v_addc_co_u32_e32 v5, vcc, v3, v5, vcc
	v_add_u32_e32 v0, s4, v0
	v_cmp_le_i32_e32 vcc, s22, v0
	s_or_b64 s[0:1], vcc, s[0:1]
	s_waitcnt vmcnt(0)
	global_store_short v[4:5], v1, off
	s_andn2_b64 exec, exec, s[0:1]
	s_cbranch_execnz .LBB46_12
.LBB46_13:
	s_endpgm
.LBB46_14:
                                        ; implicit-def: $sgpr10_sgpr11
	s_branch .LBB46_6
	.section	.rodata,"a",@progbits
	.p2align	6, 0x0
	.amdhsa_kernel _ZN4vllm38concat_and_cache_mla_rope_fused_kernelIN3c104HalfENS1_8BFloat16ELb1E14__hip_bfloat16S4_LNS_18Fp8KVCacheDataTypeE0EEEvPKlPT_S9_PKS8_PKT0_illlliPT3_S7_iiiiPKf
		.amdhsa_group_segment_fixed_size 0
		.amdhsa_private_segment_fixed_size 0
		.amdhsa_kernarg_size 384
		.amdhsa_user_sgpr_count 6
		.amdhsa_user_sgpr_private_segment_buffer 1
		.amdhsa_user_sgpr_dispatch_ptr 0
		.amdhsa_user_sgpr_queue_ptr 0
		.amdhsa_user_sgpr_kernarg_segment_ptr 1
		.amdhsa_user_sgpr_dispatch_id 0
		.amdhsa_user_sgpr_flat_scratch_init 0
		.amdhsa_user_sgpr_kernarg_preload_length 0
		.amdhsa_user_sgpr_kernarg_preload_offset 0
		.amdhsa_user_sgpr_private_segment_size 0
		.amdhsa_uses_dynamic_stack 0
		.amdhsa_system_sgpr_private_segment_wavefront_offset 0
		.amdhsa_system_sgpr_workgroup_id_x 1
		.amdhsa_system_sgpr_workgroup_id_y 0
		.amdhsa_system_sgpr_workgroup_id_z 0
		.amdhsa_system_sgpr_workgroup_info 0
		.amdhsa_system_vgpr_workitem_id 0
		.amdhsa_next_free_vgpr 16
		.amdhsa_next_free_sgpr 47
		.amdhsa_accum_offset 16
		.amdhsa_reserve_vcc 1
		.amdhsa_reserve_flat_scratch 0
		.amdhsa_float_round_mode_32 0
		.amdhsa_float_round_mode_16_64 0
		.amdhsa_float_denorm_mode_32 3
		.amdhsa_float_denorm_mode_16_64 3
		.amdhsa_dx10_clamp 1
		.amdhsa_ieee_mode 1
		.amdhsa_fp16_overflow 0
		.amdhsa_tg_split 0
		.amdhsa_exception_fp_ieee_invalid_op 0
		.amdhsa_exception_fp_denorm_src 0
		.amdhsa_exception_fp_ieee_div_zero 0
		.amdhsa_exception_fp_ieee_overflow 0
		.amdhsa_exception_fp_ieee_underflow 0
		.amdhsa_exception_fp_ieee_inexact 0
		.amdhsa_exception_int_div_zero 0
	.end_amdhsa_kernel
	.section	.text._ZN4vllm38concat_and_cache_mla_rope_fused_kernelIN3c104HalfENS1_8BFloat16ELb1E14__hip_bfloat16S4_LNS_18Fp8KVCacheDataTypeE0EEEvPKlPT_S9_PKS8_PKT0_illlliPT3_S7_iiiiPKf,"axG",@progbits,_ZN4vllm38concat_and_cache_mla_rope_fused_kernelIN3c104HalfENS1_8BFloat16ELb1E14__hip_bfloat16S4_LNS_18Fp8KVCacheDataTypeE0EEEvPKlPT_S9_PKS8_PKT0_illlliPT3_S7_iiiiPKf,comdat
.Lfunc_end46:
	.size	_ZN4vllm38concat_and_cache_mla_rope_fused_kernelIN3c104HalfENS1_8BFloat16ELb1E14__hip_bfloat16S4_LNS_18Fp8KVCacheDataTypeE0EEEvPKlPT_S9_PKS8_PKT0_illlliPT3_S7_iiiiPKf, .Lfunc_end46-_ZN4vllm38concat_and_cache_mla_rope_fused_kernelIN3c104HalfENS1_8BFloat16ELb1E14__hip_bfloat16S4_LNS_18Fp8KVCacheDataTypeE0EEEvPKlPT_S9_PKS8_PKT0_illlliPT3_S7_iiiiPKf
                                        ; -- End function
	.section	.AMDGPU.csdata,"",@progbits
; Kernel info:
; codeLenInByte = 2088
; NumSgprs: 51
; NumVgprs: 16
; NumAgprs: 0
; TotalNumVgprs: 16
; ScratchSize: 0
; MemoryBound: 0
; FloatMode: 240
; IeeeMode: 1
; LDSByteSize: 0 bytes/workgroup (compile time only)
; SGPRBlocks: 6
; VGPRBlocks: 1
; NumSGPRsForWavesPerEU: 51
; NumVGPRsForWavesPerEU: 16
; AccumOffset: 16
; Occupancy: 8
; WaveLimiterHint : 1
; COMPUTE_PGM_RSRC2:SCRATCH_EN: 0
; COMPUTE_PGM_RSRC2:USER_SGPR: 6
; COMPUTE_PGM_RSRC2:TRAP_HANDLER: 0
; COMPUTE_PGM_RSRC2:TGID_X_EN: 1
; COMPUTE_PGM_RSRC2:TGID_Y_EN: 0
; COMPUTE_PGM_RSRC2:TGID_Z_EN: 0
; COMPUTE_PGM_RSRC2:TIDIG_COMP_CNT: 0
; COMPUTE_PGM_RSRC3_GFX90A:ACCUM_OFFSET: 3
; COMPUTE_PGM_RSRC3_GFX90A:TG_SPLIT: 0
	.section	.text._ZN4vllm38concat_and_cache_mla_rope_fused_kernelIN3c104HalfENS1_8BFloat16ELb0E14__hip_bfloat16S4_LNS_18Fp8KVCacheDataTypeE0EEEvPKlPT_S9_PKS8_PKT0_illlliPT3_S7_iiiiPKf,"axG",@progbits,_ZN4vllm38concat_and_cache_mla_rope_fused_kernelIN3c104HalfENS1_8BFloat16ELb0E14__hip_bfloat16S4_LNS_18Fp8KVCacheDataTypeE0EEEvPKlPT_S9_PKS8_PKT0_illlliPT3_S7_iiiiPKf,comdat
	.protected	_ZN4vllm38concat_and_cache_mla_rope_fused_kernelIN3c104HalfENS1_8BFloat16ELb0E14__hip_bfloat16S4_LNS_18Fp8KVCacheDataTypeE0EEEvPKlPT_S9_PKS8_PKT0_illlliPT3_S7_iiiiPKf ; -- Begin function _ZN4vllm38concat_and_cache_mla_rope_fused_kernelIN3c104HalfENS1_8BFloat16ELb0E14__hip_bfloat16S4_LNS_18Fp8KVCacheDataTypeE0EEEvPKlPT_S9_PKS8_PKT0_illlliPT3_S7_iiiiPKf
	.globl	_ZN4vllm38concat_and_cache_mla_rope_fused_kernelIN3c104HalfENS1_8BFloat16ELb0E14__hip_bfloat16S4_LNS_18Fp8KVCacheDataTypeE0EEEvPKlPT_S9_PKS8_PKT0_illlliPT3_S7_iiiiPKf
	.p2align	8
	.type	_ZN4vllm38concat_and_cache_mla_rope_fused_kernelIN3c104HalfENS1_8BFloat16ELb0E14__hip_bfloat16S4_LNS_18Fp8KVCacheDataTypeE0EEEvPKlPT_S9_PKS8_PKT0_illlliPT3_S7_iiiiPKf,@function
_ZN4vllm38concat_and_cache_mla_rope_fused_kernelIN3c104HalfENS1_8BFloat16ELb0E14__hip_bfloat16S4_LNS_18Fp8KVCacheDataTypeE0EEEvPKlPT_S9_PKS8_PKT0_illlliPT3_S7_iiiiPKf: ; @_ZN4vllm38concat_and_cache_mla_rope_fused_kernelIN3c104HalfENS1_8BFloat16ELb0E14__hip_bfloat16S4_LNS_18Fp8KVCacheDataTypeE0EEEvPKlPT_S9_PKS8_PKT0_illlliPT3_S7_iiiiPKf
; %bb.0:
	s_load_dwordx2 s[2:3], s[4:5], 0x60
	s_mov_b32 s7, 0
	s_lshl_b64 s[0:1], s[6:7], 3
	s_waitcnt lgkmcnt(0)
	s_add_u32 s2, s2, s0
	s_addc_u32 s3, s3, s1
	s_load_dwordx2 s[24:25], s[2:3], 0x0
	s_waitcnt lgkmcnt(0)
	v_cmp_lt_i64_e64 s[2:3], s[24:25], 0
	s_and_b64 vcc, exec, s[2:3]
	s_cbranch_vccnz .LBB47_13
; %bb.1:
	s_load_dword s7, s[4:5], 0x28
	s_load_dwordx2 s[2:3], s[4:5], 0x0
	s_load_dwordx4 s[16:19], s[4:5], 0x10
	v_lshlrev_b32_e32 v1, 1, v0
	s_waitcnt lgkmcnt(0)
	s_ashr_i32 s26, s7, 31
	s_add_u32 s0, s2, s0
	s_addc_u32 s1, s3, s1
	s_load_dwordx2 s[20:21], s[0:1], 0x0
	s_load_dwordx2 s[22:23], s[4:5], 0x20
	s_load_dwordx8 s[8:15], s[4:5], 0x30
	s_load_dwordx2 s[2:3], s[4:5], 0x58
	s_load_dword s28, s[4:5], 0x50
	s_waitcnt lgkmcnt(0)
	s_mul_i32 s0, s20, s26
	s_mul_hi_u32 s1, s20, s7
	s_mul_i32 s21, s21, s7
	s_add_i32 s0, s1, s0
	s_add_i32 s27, s0, s21
	s_lshr_b32 s0, s7, 31
	s_mul_i32 s26, s20, s7
	s_add_i32 s7, s7, s0
	s_ashr_i32 s20, s7, 1
	s_mul_i32 s7, s20, s28
	v_cmp_gt_i32_e32 vcc, s7, v0
	s_and_saveexec_b64 s[0:1], vcc
	s_cbranch_execz .LBB47_4
; %bb.2:
	s_lshl_b64 s[28:29], s[26:27], 1
	s_add_u32 s30, s22, s28
	s_addc_u32 s38, s23, s29
	s_load_dwordx2 s[28:29], s[4:5], 0x8
	s_load_dword s34, s[4:5], 0x8c
	s_mul_i32 s9, s6, s9
	s_mul_hi_u32 s31, s6, s8
	s_add_i32 s9, s31, s9
	s_mul_i32 s8, s6, s8
	s_ashr_i32 s21, s20, 31
	s_lshl_b64 s[8:9], s[8:9], 1
	s_waitcnt lgkmcnt(0)
	s_add_u32 s31, s28, s8
	s_addc_u32 s39, s29, s9
	s_abs_i32 s33, s20
	v_cvt_f32_u32_e32 v2, s33
	s_sub_i32 s8, 0, s33
	s_and_b32 s34, s34, 0xffff
	s_lshl_b64 s[28:29], s[20:21], 1
	v_rcp_iflag_f32_e32 v2, v2
	s_sub_i32 s35, 0, s20
	s_lshl_b32 s37, s34, 1
	v_mov_b32_e32 v5, s38
	v_mul_f32_e32 v2, 0x4f7ffffe, v2
	v_cvt_u32_f32_e32 v2, v2
	v_mov_b32_e32 v6, s29
	v_mov_b32_e32 v7, s39
	;; [unrolled: 1-line block ×3, first 2 shown]
	v_mul_lo_u32 v3, s8, v2
	v_mul_hi_u32 v3, v2, v3
	s_lshl_b32 s8, s20, 1
	v_add_u32_e32 v3, v2, v3
	s_sub_i32 s36, 0, s8
	s_mov_b64 s[8:9], 0
	v_mov_b32_e32 v2, v1
.LBB47_3:                               ; =>This Inner Loop Header: Depth=1
	v_sub_u32_e32 v9, 0, v4
	v_max_i32_e32 v9, v4, v9
	v_mul_hi_u32 v10, v9, v3
	v_mul_lo_u32 v11, v10, s33
	v_sub_u32_e32 v9, v9, v11
	v_add_u32_e32 v12, 1, v10
	v_cmp_le_u32_e32 vcc, s33, v9
	v_subrev_u32_e32 v11, s33, v9
	v_cndmask_b32_e32 v10, v10, v12, vcc
	v_cndmask_b32_e32 v9, v9, v11, vcc
	v_ashrrev_i32_e32 v8, 31, v4
	v_add_u32_e32 v11, 1, v10
	v_cmp_le_u32_e32 vcc, s33, v9
	v_xor_b32_e32 v8, s21, v8
	v_cndmask_b32_e32 v9, v10, v11, vcc
	v_xor_b32_e32 v9, v9, v8
	v_sub_u32_e32 v12, v9, v8
	v_mad_u64_u32 v[8:9], s[38:39], s35, v12, v[4:5]
	v_ashrrev_i32_e32 v9, 31, v8
	v_lshlrev_b64 v[8:9], 1, v[8:9]
	v_ashrrev_i32_e32 v14, 31, v12
	v_add_co_u32_e32 v8, vcc, s30, v8
	v_mul_lo_u32 v15, v12, s11
	v_mad_u64_u32 v[10:11], s[38:39], v12, s10, 0
	v_mul_lo_u32 v14, v14, s10
	v_addc_co_u32_e32 v9, vcc, v5, v9, vcc
	v_add3_u32 v11, v11, v15, v14
	v_add_co_u32_e32 v14, vcc, s28, v8
	v_mad_u64_u32 v[12:13], s[38:39], s36, v12, v[2:3]
	v_lshlrev_b64 v[10:11], 1, v[10:11]
	v_addc_co_u32_e32 v15, vcc, v9, v6, vcc
	v_ashrrev_i32_e32 v13, 31, v12
	v_add_co_u32_e32 v10, vcc, s31, v10
	global_load_ushort v16, v[8:9], off
	global_load_ushort v17, v[14:15], off
	v_lshlrev_b64 v[12:13], 1, v[12:13]
	v_addc_co_u32_e32 v11, vcc, v7, v11, vcc
	v_add_co_u32_e32 v8, vcc, v10, v12
	v_addc_co_u32_e32 v9, vcc, v11, v13, vcc
	global_load_dword v10, v[8:9], off
	v_add_u32_e32 v4, s34, v4
	v_cmp_le_i32_e32 vcc, s7, v4
	v_add_u32_e32 v2, s37, v2
	s_or_b64 s[8:9], vcc, s[8:9]
	s_waitcnt vmcnt(2)
	v_lshlrev_b32_e32 v11, 16, v16
	s_waitcnt vmcnt(1)
	v_lshlrev_b32_e32 v12, 16, v17
	v_cvt_f16_f32_e32 v12, v12
	v_cvt_f16_f32_e32 v11, v11
	s_waitcnt vmcnt(0)
	v_lshrrev_b32_e32 v13, 16, v10
	v_mul_f16_e32 v14, v13, v12
	v_mul_f16_e32 v12, v10, v12
	v_fma_f16 v10, v10, v11, -v14
	v_fma_f16 v11, v13, v11, v12
	v_pack_b32_f16 v10, v10, v11
	global_store_dword v[8:9], v10, off
	s_andn2_b64 exec, exec, s[8:9]
	s_cbranch_execnz .LBB47_3
.LBB47_4:
	s_or_b64 exec, exec, s[0:1]
	s_load_dwordx4 s[8:11], s[4:5], 0x68
	s_waitcnt lgkmcnt(0)
	s_ashr_i32 s29, s11, 31
	s_mov_b32 s28, s11
	s_or_b64 s[0:1], s[24:25], s[28:29]
	s_mov_b32 s0, 0
	s_cmp_lg_u64 s[0:1], 0
	s_cbranch_scc0 .LBB47_14
; %bb.5:
	s_add_u32 s0, s28, s29
	s_mov_b32 s34, s29
	s_mov_b32 s35, s29
	s_addc_u32 s1, s29, s29
	s_xor_b64 s[36:37], s[0:1], s[34:35]
	v_cvt_f32_u32_e32 v2, s36
	v_cvt_f32_u32_e32 v3, s37
	s_sub_u32 s0, 0, s36
	s_subb_u32 s1, 0, s37
	v_madmk_f32 v2, v3, 0x4f800000, v2
	v_rcp_f32_e32 v2, v2
	v_mul_f32_e32 v2, 0x5f7ffffc, v2
	v_mul_f32_e32 v3, 0x2f800000, v2
	v_trunc_f32_e32 v3, v3
	v_madmk_f32 v2, v3, 0xcf800000, v2
	v_cvt_u32_f32_e32 v3, v3
	v_cvt_u32_f32_e32 v2, v2
	v_readfirstlane_b32 s7, v3
	v_readfirstlane_b32 s11, v2
	s_mul_i32 s21, s0, s7
	s_mul_hi_u32 s38, s0, s11
	s_mul_i32 s33, s1, s11
	s_add_i32 s21, s38, s21
	s_add_i32 s21, s21, s33
	s_mul_i32 s39, s0, s11
	s_mul_hi_u32 s33, s11, s21
	s_mul_i32 s38, s11, s21
	s_mul_hi_u32 s11, s11, s39
	s_add_u32 s11, s11, s38
	s_addc_u32 s33, 0, s33
	s_mul_hi_u32 s40, s7, s39
	s_mul_i32 s39, s7, s39
	s_add_u32 s11, s11, s39
	s_mul_hi_u32 s38, s7, s21
	s_addc_u32 s11, s33, s40
	s_addc_u32 s33, s38, 0
	s_mul_i32 s21, s7, s21
	s_add_u32 s11, s11, s21
	s_addc_u32 s21, 0, s33
	v_add_co_u32_e32 v2, vcc, s11, v2
	s_cmp_lg_u64 vcc, 0
	s_addc_u32 s7, s7, s21
	v_readfirstlane_b32 s21, v2
	s_mul_i32 s11, s0, s7
	s_mul_hi_u32 s33, s0, s21
	s_add_i32 s11, s33, s11
	s_mul_i32 s1, s1, s21
	s_add_i32 s11, s11, s1
	s_mul_i32 s0, s0, s21
	s_mul_hi_u32 s33, s7, s0
	s_mul_i32 s38, s7, s0
	s_mul_i32 s40, s21, s11
	s_mul_hi_u32 s0, s21, s0
	s_mul_hi_u32 s39, s21, s11
	s_add_u32 s0, s0, s40
	s_addc_u32 s21, 0, s39
	s_add_u32 s0, s0, s38
	s_mul_hi_u32 s1, s7, s11
	s_addc_u32 s0, s21, s33
	s_addc_u32 s1, s1, 0
	s_mul_i32 s11, s7, s11
	s_add_u32 s0, s0, s11
	s_addc_u32 s1, 0, s1
	v_add_co_u32_e32 v2, vcc, s0, v2
	s_cmp_lg_u64 vcc, 0
	s_addc_u32 s7, s7, s1
	s_ashr_i32 s38, s25, 31
	s_add_u32 s0, s24, s38
	s_mov_b32 s39, s38
	s_addc_u32 s1, s25, s38
	s_xor_b64 s[40:41], s[0:1], s[38:39]
	v_readfirstlane_b32 s11, v2
	s_mul_i32 s1, s40, s7
	s_mul_hi_u32 s21, s40, s11
	s_mul_hi_u32 s0, s40, s7
	s_add_u32 s1, s21, s1
	s_addc_u32 s0, 0, s0
	s_mul_hi_u32 s33, s41, s11
	s_mul_i32 s11, s41, s11
	s_add_u32 s1, s1, s11
	s_mul_hi_u32 s21, s41, s7
	s_addc_u32 s0, s0, s33
	s_addc_u32 s1, s21, 0
	s_mul_i32 s7, s41, s7
	s_add_u32 s7, s0, s7
	s_addc_u32 s11, 0, s1
	s_mul_i32 s0, s36, s11
	s_mul_hi_u32 s1, s36, s7
	s_add_i32 s0, s1, s0
	s_mul_i32 s1, s37, s7
	s_add_i32 s21, s0, s1
	s_mul_i32 s1, s36, s7
	v_mov_b32_e32 v2, s1
	s_sub_i32 s0, s41, s21
	v_sub_co_u32_e32 v2, vcc, s40, v2
	s_cmp_lg_u64 vcc, 0
	s_subb_u32 s33, s0, s37
	v_subrev_co_u32_e64 v3, s[0:1], s36, v2
	s_cmp_lg_u64 s[0:1], 0
	s_subb_u32 s0, s33, 0
	s_cmp_ge_u32 s0, s37
	v_readfirstlane_b32 s33, v3
	s_cselect_b32 s1, -1, 0
	s_cmp_ge_u32 s33, s36
	s_cselect_b32 s33, -1, 0
	s_cmp_eq_u32 s0, s37
	s_cselect_b32 s0, s33, s1
	s_add_u32 s1, s7, 1
	s_addc_u32 s33, s11, 0
	s_add_u32 s40, s7, 2
	s_addc_u32 s42, s11, 0
	s_cmp_lg_u32 s0, 0
	s_cselect_b32 s0, s40, s1
	s_cselect_b32 s1, s42, s33
	s_cmp_lg_u64 vcc, 0
	s_subb_u32 s21, s41, s21
	s_cmp_ge_u32 s21, s37
	v_readfirstlane_b32 s40, v2
	s_cselect_b32 s33, -1, 0
	s_cmp_ge_u32 s40, s36
	s_cselect_b32 s36, -1, 0
	s_cmp_eq_u32 s21, s37
	s_cselect_b32 s21, s36, s33
	s_cmp_lg_u32 s21, 0
	s_cselect_b32 s1, s1, s11
	s_cselect_b32 s0, s0, s7
	s_xor_b64 s[34:35], s[38:39], s[34:35]
	s_xor_b64 s[0:1], s[0:1], s[34:35]
	s_sub_u32 s0, s0, s34
	s_subb_u32 s1, s1, s35
	s_cbranch_execnz .LBB47_7
.LBB47_6:
	v_cvt_f32_u32_e32 v2, s28
	s_sub_i32 s0, 0, s28
	s_mov_b32 s1, 0
	v_rcp_iflag_f32_e32 v2, v2
	v_mul_f32_e32 v2, 0x4f7ffffe, v2
	v_cvt_u32_f32_e32 v2, v2
	v_readfirstlane_b32 s7, v2
	s_mul_i32 s0, s0, s7
	s_mul_hi_u32 s0, s7, s0
	s_add_i32 s7, s7, s0
	s_mul_hi_u32 s0, s24, s7
	s_mul_i32 s11, s0, s28
	s_sub_i32 s11, s24, s11
	s_add_i32 s7, s0, 1
	s_sub_i32 s21, s11, s28
	s_cmp_ge_u32 s11, s28
	s_cselect_b32 s0, s7, s0
	s_cselect_b32 s11, s21, s11
	s_add_i32 s7, s0, 1
	s_cmp_ge_u32 s11, s28
	s_cselect_b32 s0, s7, s0
.LBB47_7:
	s_mul_i32 s7, s0, s29
	s_mul_hi_u32 s11, s0, s28
	s_add_i32 s7, s11, s7
	s_mul_i32 s11, s1, s28
	s_add_i32 s11, s7, s11
	s_mul_i32 s7, s0, s28
	s_sub_u32 s7, s24, s7
	s_subb_u32 s11, s25, s11
	v_cmp_gt_i32_e32 vcc, s20, v0
	s_mul_hi_u32 s34, s0, s8
	s_mul_i32 s35, s1, s8
	s_mul_i32 s28, s0, s8
	s_mul_hi_u32 s33, s7, s9
	s_mul_i32 s1, s11, s9
	s_mul_i32 s24, s7, s9
	s_and_saveexec_b64 s[30:31], vcc
	s_cbranch_execz .LBB47_10
; %bb.8:
	s_load_dword s25, s[4:5], 0x8c
	s_ashr_i32 s21, s20, 31
	s_ashr_i32 s29, s8, 31
	s_ashr_i32 s37, s9, 31
	s_ashr_i32 s11, s10, 31
	s_waitcnt lgkmcnt(0)
	s_and_b32 s36, s25, 0xffff
	s_lshl_b64 s[26:27], s[26:27], 1
	s_add_u32 s22, s22, s26
	s_addc_u32 s23, s23, s27
	v_mov_b32_e32 v3, s23
	v_add_co_u32_e32 v2, vcc, s22, v1
	s_lshl_b64 s[22:23], s[20:21], 1
	s_mul_i32 s21, s0, s29
	s_add_i32 s21, s34, s21
	s_add_i32 s29, s21, s35
	s_mul_i32 s21, s7, s37
	s_add_i32 s21, s33, s21
	s_add_i32 s25, s21, s1
	s_lshl_b32 s26, s36, 1
	s_lshl_b64 s[38:39], s[28:29], 1
	s_lshl_b64 s[40:41], s[24:25], 1
	s_add_u32 s21, s38, s40
	s_addc_u32 s25, s39, s41
	s_lshl_b64 s[38:39], s[10:11], 1
	s_add_u32 s11, s2, s38
	s_addc_u32 s27, s3, s39
	s_add_u32 s11, s11, s21
	s_addc_u32 s21, s27, s25
	v_addc_co_u32_e32 v3, vcc, 0, v3, vcc
	v_lshlrev_b32_e32 v5, 2, v0
	v_mov_b32_e32 v1, s21
	s_mul_i32 s13, s13, s6
	s_mul_hi_u32 s21, s12, s6
	v_add_co_u32_e32 v4, vcc, s11, v5
	s_add_i32 s13, s21, s13
	s_mul_i32 s12, s12, s6
	v_addc_co_u32_e32 v6, vcc, 0, v1, vcc
	s_lshl_b32 s11, s36, 2
	s_lshl_b64 s[12:13], s[12:13], 1
	v_add_co_u32_e32 v1, vcc, 2, v4
	s_add_u32 s12, s16, s12
	v_addc_co_u32_e32 v4, vcc, 0, v6, vcc
	s_addc_u32 s13, s17, s13
	s_mov_b32 s42, 0
	v_mov_b32_e32 v6, s13
	v_add_co_u32_e32 v5, vcc, s12, v5
	v_addc_co_u32_e32 v6, vcc, 0, v6, vcc
	s_mov_b64 s[12:13], 0
	v_mov_b32_e32 v7, s23
	v_mov_b32_e32 v8, s42
	s_mov_b64 s[16:17], 0
	v_mov_b32_e32 v9, v0
.LBB47_9:                               ; =>This Inner Loop Header: Depth=1
	v_add_co_u32_e32 v10, vcc, s22, v2
	v_addc_co_u32_e32 v11, vcc, v3, v7, vcc
	global_load_ushort v14, v[2:3], off
	global_load_ushort v16, v[10:11], off
	v_mov_b32_e32 v15, s17
	v_add_co_u32_e32 v12, vcc, s16, v5
	v_addc_co_u32_e32 v13, vcc, v6, v15, vcc
	global_load_dword v17, v[12:13], off
	v_add_co_u32_e32 v2, vcc, s26, v2
	v_addc_co_u32_e32 v3, vcc, v3, v8, vcc
	v_add_co_u32_e32 v10, vcc, s16, v1
	v_addc_co_u32_e32 v11, vcc, v4, v15, vcc
	v_add_u32_e32 v9, s36, v9
	s_add_u32 s16, s16, s11
	s_addc_u32 s17, s17, 0
	v_cmp_le_i32_e32 vcc, s20, v9
	s_or_b64 s[12:13], vcc, s[12:13]
	s_waitcnt vmcnt(2)
	v_lshlrev_b32_e32 v14, 16, v14
	s_waitcnt vmcnt(1)
	v_lshlrev_b32_e32 v15, 16, v16
	v_cvt_f16_f32_e32 v15, v15
	v_cvt_f16_f32_e32 v14, v14
	s_waitcnt vmcnt(0)
	v_lshrrev_b32_e32 v16, 16, v17
	v_mul_f16_e32 v18, v16, v15
	v_mul_f16_e32 v15, v17, v15
	v_fma_f16 v17, v17, v14, -v18
	v_fma_f16 v14, v16, v14, v15
	v_pack_b32_f16 v14, v17, v14
	global_store_dword v[12:13], v14, off
	global_store_dword v[10:11], v14, off offset:-2
	s_andn2_b64 exec, exec, s[12:13]
	s_cbranch_execnz .LBB47_9
.LBB47_10:
	s_or_b64 exec, exec, s[30:31]
	v_cmp_gt_i32_e32 vcc, s10, v0
	s_and_saveexec_b64 s[12:13], vcc
	s_cbranch_execz .LBB47_13
; %bb.11:
	s_mul_i32 s11, s6, s15
	s_mul_hi_u32 s12, s6, s14
	s_add_i32 s13, s12, s11
	s_mul_i32 s12, s6, s14
	s_lshl_b64 s[12:13], s[12:13], 1
	s_add_u32 s6, s18, s12
	s_addc_u32 s11, s19, s13
	s_ashr_i32 s8, s8, 31
	s_mul_i32 s0, s0, s8
	s_add_i32 s0, s34, s0
	s_add_i32 s29, s0, s35
	s_lshl_b64 s[12:13], s[28:29], 1
	s_add_u32 s2, s2, s12
	s_addc_u32 s3, s3, s13
	s_ashr_i32 s0, s9, 31
	s_mul_i32 s7, s7, s0
	s_add_i32 s0, s33, s7
	s_load_dword s4, s[4:5], 0x8c
	s_add_i32 s25, s0, s1
	s_lshl_b64 s[0:1], s[24:25], 1
	s_add_u32 s2, s2, s0
	s_addc_u32 s5, s3, s1
	s_waitcnt lgkmcnt(0)
	s_and_b32 s3, s4, 0xffff
	s_mov_b64 s[0:1], 0
	v_mov_b32_e32 v2, s11
	v_mov_b32_e32 v3, s5
.LBB47_12:                              ; =>This Inner Loop Header: Depth=1
	v_ashrrev_i32_e32 v1, 31, v0
	v_lshlrev_b64 v[4:5], 1, v[0:1]
	v_add_co_u32_e32 v6, vcc, s6, v4
	v_addc_co_u32_e32 v7, vcc, v2, v5, vcc
	global_load_ushort v1, v[6:7], off
	v_add_co_u32_e32 v4, vcc, s2, v4
	v_addc_co_u32_e32 v5, vcc, v3, v5, vcc
	v_add_u32_e32 v0, s3, v0
	v_cmp_le_i32_e32 vcc, s10, v0
	s_or_b64 s[0:1], vcc, s[0:1]
	s_waitcnt vmcnt(0)
	global_store_short v[4:5], v1, off
	s_andn2_b64 exec, exec, s[0:1]
	s_cbranch_execnz .LBB47_12
.LBB47_13:
	s_endpgm
.LBB47_14:
                                        ; implicit-def: $sgpr0_sgpr1
	s_branch .LBB47_6
	.section	.rodata,"a",@progbits
	.p2align	6, 0x0
	.amdhsa_kernel _ZN4vllm38concat_and_cache_mla_rope_fused_kernelIN3c104HalfENS1_8BFloat16ELb0E14__hip_bfloat16S4_LNS_18Fp8KVCacheDataTypeE0EEEvPKlPT_S9_PKS8_PKT0_illlliPT3_S7_iiiiPKf
		.amdhsa_group_segment_fixed_size 0
		.amdhsa_private_segment_fixed_size 0
		.amdhsa_kernarg_size 384
		.amdhsa_user_sgpr_count 6
		.amdhsa_user_sgpr_private_segment_buffer 1
		.amdhsa_user_sgpr_dispatch_ptr 0
		.amdhsa_user_sgpr_queue_ptr 0
		.amdhsa_user_sgpr_kernarg_segment_ptr 1
		.amdhsa_user_sgpr_dispatch_id 0
		.amdhsa_user_sgpr_flat_scratch_init 0
		.amdhsa_user_sgpr_kernarg_preload_length 0
		.amdhsa_user_sgpr_kernarg_preload_offset 0
		.amdhsa_user_sgpr_private_segment_size 0
		.amdhsa_uses_dynamic_stack 0
		.amdhsa_system_sgpr_private_segment_wavefront_offset 0
		.amdhsa_system_sgpr_workgroup_id_x 1
		.amdhsa_system_sgpr_workgroup_id_y 0
		.amdhsa_system_sgpr_workgroup_id_z 0
		.amdhsa_system_sgpr_workgroup_info 0
		.amdhsa_system_vgpr_workitem_id 0
		.amdhsa_next_free_vgpr 19
		.amdhsa_next_free_sgpr 43
		.amdhsa_accum_offset 20
		.amdhsa_reserve_vcc 1
		.amdhsa_reserve_flat_scratch 0
		.amdhsa_float_round_mode_32 0
		.amdhsa_float_round_mode_16_64 0
		.amdhsa_float_denorm_mode_32 3
		.amdhsa_float_denorm_mode_16_64 3
		.amdhsa_dx10_clamp 1
		.amdhsa_ieee_mode 1
		.amdhsa_fp16_overflow 0
		.amdhsa_tg_split 0
		.amdhsa_exception_fp_ieee_invalid_op 0
		.amdhsa_exception_fp_denorm_src 0
		.amdhsa_exception_fp_ieee_div_zero 0
		.amdhsa_exception_fp_ieee_overflow 0
		.amdhsa_exception_fp_ieee_underflow 0
		.amdhsa_exception_fp_ieee_inexact 0
		.amdhsa_exception_int_div_zero 0
	.end_amdhsa_kernel
	.section	.text._ZN4vllm38concat_and_cache_mla_rope_fused_kernelIN3c104HalfENS1_8BFloat16ELb0E14__hip_bfloat16S4_LNS_18Fp8KVCacheDataTypeE0EEEvPKlPT_S9_PKS8_PKT0_illlliPT3_S7_iiiiPKf,"axG",@progbits,_ZN4vllm38concat_and_cache_mla_rope_fused_kernelIN3c104HalfENS1_8BFloat16ELb0E14__hip_bfloat16S4_LNS_18Fp8KVCacheDataTypeE0EEEvPKlPT_S9_PKS8_PKT0_illlliPT3_S7_iiiiPKf,comdat
.Lfunc_end47:
	.size	_ZN4vllm38concat_and_cache_mla_rope_fused_kernelIN3c104HalfENS1_8BFloat16ELb0E14__hip_bfloat16S4_LNS_18Fp8KVCacheDataTypeE0EEEvPKlPT_S9_PKS8_PKT0_illlliPT3_S7_iiiiPKf, .Lfunc_end47-_ZN4vllm38concat_and_cache_mla_rope_fused_kernelIN3c104HalfENS1_8BFloat16ELb0E14__hip_bfloat16S4_LNS_18Fp8KVCacheDataTypeE0EEEvPKlPT_S9_PKS8_PKT0_illlliPT3_S7_iiiiPKf
                                        ; -- End function
	.section	.AMDGPU.csdata,"",@progbits
; Kernel info:
; codeLenInByte = 2016
; NumSgprs: 47
; NumVgprs: 19
; NumAgprs: 0
; TotalNumVgprs: 19
; ScratchSize: 0
; MemoryBound: 0
; FloatMode: 240
; IeeeMode: 1
; LDSByteSize: 0 bytes/workgroup (compile time only)
; SGPRBlocks: 5
; VGPRBlocks: 2
; NumSGPRsForWavesPerEU: 47
; NumVGPRsForWavesPerEU: 19
; AccumOffset: 20
; Occupancy: 8
; WaveLimiterHint : 1
; COMPUTE_PGM_RSRC2:SCRATCH_EN: 0
; COMPUTE_PGM_RSRC2:USER_SGPR: 6
; COMPUTE_PGM_RSRC2:TRAP_HANDLER: 0
; COMPUTE_PGM_RSRC2:TGID_X_EN: 1
; COMPUTE_PGM_RSRC2:TGID_Y_EN: 0
; COMPUTE_PGM_RSRC2:TGID_Z_EN: 0
; COMPUTE_PGM_RSRC2:TIDIG_COMP_CNT: 0
; COMPUTE_PGM_RSRC3_GFX90A:ACCUM_OFFSET: 4
; COMPUTE_PGM_RSRC3_GFX90A:TG_SPLIT: 0
	.section	.text._ZN4vllm38concat_and_cache_mla_rope_fused_kernelIN3c108BFloat16EfLb1E14__hip_bfloat16S3_LNS_18Fp8KVCacheDataTypeE0EEEvPKlPT_S8_PKS7_PKT0_illlliPT3_S6_iiiiPKf,"axG",@progbits,_ZN4vllm38concat_and_cache_mla_rope_fused_kernelIN3c108BFloat16EfLb1E14__hip_bfloat16S3_LNS_18Fp8KVCacheDataTypeE0EEEvPKlPT_S8_PKS7_PKT0_illlliPT3_S6_iiiiPKf,comdat
	.protected	_ZN4vllm38concat_and_cache_mla_rope_fused_kernelIN3c108BFloat16EfLb1E14__hip_bfloat16S3_LNS_18Fp8KVCacheDataTypeE0EEEvPKlPT_S8_PKS7_PKT0_illlliPT3_S6_iiiiPKf ; -- Begin function _ZN4vllm38concat_and_cache_mla_rope_fused_kernelIN3c108BFloat16EfLb1E14__hip_bfloat16S3_LNS_18Fp8KVCacheDataTypeE0EEEvPKlPT_S8_PKS7_PKT0_illlliPT3_S6_iiiiPKf
	.globl	_ZN4vllm38concat_and_cache_mla_rope_fused_kernelIN3c108BFloat16EfLb1E14__hip_bfloat16S3_LNS_18Fp8KVCacheDataTypeE0EEEvPKlPT_S8_PKS7_PKT0_illlliPT3_S6_iiiiPKf
	.p2align	8
	.type	_ZN4vllm38concat_and_cache_mla_rope_fused_kernelIN3c108BFloat16EfLb1E14__hip_bfloat16S3_LNS_18Fp8KVCacheDataTypeE0EEEvPKlPT_S8_PKS7_PKT0_illlliPT3_S6_iiiiPKf,@function
_ZN4vllm38concat_and_cache_mla_rope_fused_kernelIN3c108BFloat16EfLb1E14__hip_bfloat16S3_LNS_18Fp8KVCacheDataTypeE0EEEvPKlPT_S8_PKS7_PKT0_illlliPT3_S6_iiiiPKf: ; @_ZN4vllm38concat_and_cache_mla_rope_fused_kernelIN3c108BFloat16EfLb1E14__hip_bfloat16S3_LNS_18Fp8KVCacheDataTypeE0EEEvPKlPT_S8_PKS7_PKT0_illlliPT3_S6_iiiiPKf
; %bb.0:
	s_load_dwordx2 s[2:3], s[4:5], 0x60
	s_mov_b32 s7, 0
	s_lshl_b64 s[0:1], s[6:7], 3
	s_waitcnt lgkmcnt(0)
	s_add_u32 s2, s2, s0
	s_addc_u32 s3, s3, s1
	s_load_dwordx2 s[34:35], s[2:3], 0x0
	s_waitcnt lgkmcnt(0)
	v_cmp_lt_i64_e64 s[2:3], s[34:35], 0
	s_and_b64 vcc, exec, s[2:3]
	s_cbranch_vccnz .LBB48_13
; %bb.1:
	s_load_dword s7, s[4:5], 0x28
	s_load_dwordx2 s[2:3], s[4:5], 0x0
	s_load_dwordx4 s[16:19], s[4:5], 0x10
	s_waitcnt lgkmcnt(0)
	s_ashr_i32 s20, s7, 31
	s_add_u32 s0, s2, s0
	s_addc_u32 s1, s3, s1
	s_load_dwordx2 s[2:3], s[0:1], 0x0
	s_load_dwordx2 s[28:29], s[4:5], 0x20
	s_load_dwordx8 s[8:15], s[4:5], 0x30
	s_load_dwordx2 s[24:25], s[4:5], 0x58
	s_load_dword s21, s[4:5], 0x50
	s_waitcnt lgkmcnt(0)
	s_mul_i32 s0, s2, s20
	s_mul_hi_u32 s1, s2, s7
	s_mul_i32 s3, s3, s7
	s_add_i32 s0, s1, s0
	s_add_i32 s31, s0, s3
	s_lshr_b32 s0, s7, 31
	s_mul_i32 s30, s2, s7
	s_add_i32 s7, s7, s0
	s_ashr_i32 s26, s7, 1
	s_mul_i32 s7, s26, s21
	v_cmp_gt_i32_e32 vcc, s7, v0
	s_and_saveexec_b64 s[20:21], vcc
	s_cbranch_execz .LBB48_4
; %bb.2:
	s_lshl_b64 s[0:1], s[30:31], 2
	s_add_u32 s33, s28, s0
	s_addc_u32 s36, s29, s1
	s_load_dwordx2 s[0:1], s[4:5], 0x8
	s_mul_i32 s2, s6, s9
	s_mul_hi_u32 s3, s6, s8
	s_add_i32 s3, s3, s2
	s_mul_i32 s2, s6, s8
	s_load_dword s8, s[4:5], 0x8c
	s_ashr_i32 s27, s26, 31
	s_lshl_b64 s[2:3], s[2:3], 1
	s_waitcnt lgkmcnt(0)
	s_add_u32 s40, s0, s2
	s_addc_u32 s0, s1, s3
	s_abs_i32 s41, s26
	v_cvt_f32_u32_e32 v1, s41
	s_sub_i32 s1, 0, s41
	v_mov_b32_e32 v3, s36
	s_lshl_b64 s[36:37], s[26:27], 2
	v_rcp_iflag_f32_e32 v1, v1
	s_lshl_b64 s[38:39], s[26:27], 1
	s_and_b32 s42, s8, 0xffff
	s_sub_i32 s43, 0, s26
	v_mul_f32_e32 v1, 0x4f7ffffe, v1
	v_cvt_u32_f32_e32 v1, v1
	s_mov_b64 s[22:23], 0
	v_mov_b32_e32 v4, s37
	v_mov_b32_e32 v5, s0
	v_mul_lo_u32 v2, s1, v1
	v_mul_hi_u32 v2, v1, v2
	v_add_u32_e32 v1, v1, v2
	v_mov_b32_e32 v6, s39
	s_movk_i32 s37, 0x7fff
	v_mov_b32_e32 v7, 0x7fc00000
	v_mov_b32_e32 v8, 0x7fc0
	;; [unrolled: 1-line block ×3, first 2 shown]
.LBB48_3:                               ; =>This Inner Loop Header: Depth=1
	v_sub_u32_e32 v10, 0, v2
	v_max_i32_e32 v10, v2, v10
	v_mul_hi_u32 v11, v10, v1
	v_mul_lo_u32 v12, v11, s41
	v_sub_u32_e32 v10, v10, v12
	v_add_u32_e32 v13, 1, v11
	v_cmp_le_u32_e32 vcc, s41, v10
	v_subrev_u32_e32 v12, s41, v10
	v_cndmask_b32_e32 v11, v11, v13, vcc
	v_cndmask_b32_e32 v10, v10, v12, vcc
	v_ashrrev_i32_e32 v9, 31, v2
	v_add_u32_e32 v12, 1, v11
	v_cmp_le_u32_e32 vcc, s41, v10
	v_xor_b32_e32 v9, s27, v9
	v_cndmask_b32_e32 v10, v11, v12, vcc
	v_xor_b32_e32 v10, v10, v9
	v_sub_u32_e32 v9, v10, v9
	v_mad_u64_u32 v[10:11], s[0:1], s43, v9, v[2:3]
	v_ashrrev_i32_e32 v14, 31, v9
	v_ashrrev_i32_e32 v11, 31, v10
	v_mul_lo_u32 v16, v9, s11
	v_mad_u64_u32 v[12:13], s[0:1], v9, s10, 0
	v_mul_lo_u32 v9, v14, s10
	v_lshlrev_b64 v[14:15], 2, v[10:11]
	v_add_co_u32_e32 v14, vcc, s33, v14
	v_addc_co_u32_e32 v15, vcc, v3, v15, vcc
	v_add3_u32 v13, v13, v16, v9
	v_add_co_u32_e32 v16, vcc, s36, v14
	v_lshlrev_b64 v[12:13], 1, v[12:13]
	v_addc_co_u32_e32 v17, vcc, v15, v4, vcc
	v_add_co_u32_e32 v9, vcc, s40, v12
	v_lshlrev_b64 v[10:11], 1, v[10:11]
	v_addc_co_u32_e32 v12, vcc, v5, v13, vcc
	v_add_co_u32_e32 v10, vcc, v9, v10
	global_load_dword v18, v[14:15], off
	global_load_dword v19, v[16:17], off
	v_addc_co_u32_e32 v11, vcc, v12, v11, vcc
	v_add_co_u32_e32 v12, vcc, s38, v10
	v_addc_co_u32_e32 v13, vcc, v11, v6, vcc
	global_load_ushort v9, v[10:11], off
	global_load_ushort v14, v[12:13], off
	v_add_u32_e32 v2, s42, v2
	v_cmp_le_i32_e32 vcc, s7, v2
	s_or_b64 s[22:23], vcc, s[22:23]
	s_waitcnt vmcnt(3)
	v_bfe_u32 v15, v18, 16, 1
	s_waitcnt vmcnt(2)
	v_bfe_u32 v16, v19, 16, 1
	v_add3_u32 v15, v18, v15, s37
	v_add3_u32 v16, v19, v16, s37
	v_and_b32_e32 v17, 0xffff0000, v15
	v_cmp_o_f32_e32 vcc, v18, v18
	v_and_b32_e32 v18, 0xffff0000, v16
	s_waitcnt vmcnt(1)
	v_lshlrev_b32_e32 v15, 16, v9
	s_waitcnt vmcnt(0)
	v_lshlrev_b32_e32 v14, 16, v14
	v_cndmask_b32_e32 v16, v7, v17, vcc
	v_cmp_o_f32_e32 vcc, v19, v19
	v_cndmask_b32_e32 v17, v7, v18, vcc
	v_mov_b32_e32 v18, v15
	v_mov_b32_e32 v19, v14
	v_pk_mul_f32 v[18:19], v[16:17], v[18:19]
	v_pk_mul_f32 v[14:15], v[16:17], v[14:15]
	v_bfe_u32 v9, v18, 16, 1
	v_bfe_u32 v16, v19, 16, 1
	;; [unrolled: 1-line block ×4, first 2 shown]
	v_add3_u32 v16, v19, v16, s37
	v_add3_u32 v9, v18, v9, s37
	;; [unrolled: 1-line block ×4, first 2 shown]
	v_and_b32_e32 v9, 0xffff0000, v9
	v_and_b32_e32 v16, 0xffff0000, v16
	v_cmp_o_f32_e32 vcc, v18, v18
	v_cmp_o_f32_e64 s[8:9], v19, v19
	v_and_b32_e32 v17, 0xffff0000, v17
	v_and_b32_e32 v18, 0xffff0000, v20
	v_cmp_o_f32_e64 s[0:1], v15, v15
	v_cmp_o_f32_e64 s[2:3], v14, v14
	v_cndmask_b32_e64 v14, v7, v16, s[8:9]
	v_cndmask_b32_e32 v9, v7, v9, vcc
	v_cndmask_b32_e64 v15, v7, v18, s[0:1]
	v_cndmask_b32_e64 v16, v7, v17, s[2:3]
	v_sub_f32_e32 v9, v9, v14
	v_add_f32_e32 v14, v16, v15
	v_bfe_u32 v15, v9, 16, 1
	v_bfe_u32 v16, v14, 16, 1
	v_add3_u32 v15, v9, v15, s37
	v_add3_u32 v16, v14, v16, s37
	v_lshrrev_b32_e32 v15, 16, v15
	v_cmp_o_f32_e64 s[0:1], v9, v9
	v_lshrrev_b32_e32 v16, 16, v16
	v_cmp_o_f32_e32 vcc, v14, v14
	v_cndmask_b32_e64 v9, v8, v15, s[0:1]
	v_cndmask_b32_e32 v14, v8, v16, vcc
	global_store_short v[10:11], v9, off
	global_store_short v[12:13], v14, off
	s_andn2_b64 exec, exec, s[22:23]
	s_cbranch_execnz .LBB48_3
.LBB48_4:
	s_or_b64 exec, exec, s[20:21]
	s_load_dwordx4 s[20:23], s[4:5], 0x68
	s_waitcnt lgkmcnt(0)
	s_ashr_i32 s3, s23, 31
	s_mov_b32 s2, s23
	s_or_b64 s[0:1], s[34:35], s[2:3]
	s_mov_b32 s0, 0
	s_cmp_lg_u64 s[0:1], 0
	s_cbranch_scc0 .LBB48_14
; %bb.5:
	s_add_u32 s0, s2, s3
	s_mov_b32 s10, s3
	s_mov_b32 s11, s3
	s_addc_u32 s1, s3, s3
	s_xor_b64 s[36:37], s[0:1], s[10:11]
	v_cvt_f32_u32_e32 v1, s36
	v_cvt_f32_u32_e32 v2, s37
	s_sub_u32 s0, 0, s36
	s_subb_u32 s1, 0, s37
	v_madmk_f32 v1, v2, 0x4f800000, v1
	v_rcp_f32_e32 v1, v1
	v_mul_f32_e32 v1, 0x5f7ffffc, v1
	v_mul_f32_e32 v2, 0x2f800000, v1
	v_trunc_f32_e32 v2, v2
	v_madmk_f32 v1, v2, 0xcf800000, v1
	v_cvt_u32_f32_e32 v2, v2
	v_cvt_u32_f32_e32 v1, v1
	v_readfirstlane_b32 s7, v2
	v_readfirstlane_b32 s23, v1
	s_mul_i32 s27, s0, s7
	s_mul_hi_u32 s38, s0, s23
	s_mul_i32 s33, s1, s23
	s_add_i32 s27, s38, s27
	s_add_i32 s27, s27, s33
	s_mul_i32 s39, s0, s23
	s_mul_hi_u32 s33, s23, s27
	s_mul_i32 s38, s23, s27
	s_mul_hi_u32 s23, s23, s39
	s_add_u32 s23, s23, s38
	s_addc_u32 s33, 0, s33
	s_mul_hi_u32 s40, s7, s39
	s_mul_i32 s39, s7, s39
	s_add_u32 s23, s23, s39
	s_mul_hi_u32 s38, s7, s27
	s_addc_u32 s23, s33, s40
	s_addc_u32 s33, s38, 0
	s_mul_i32 s27, s7, s27
	s_add_u32 s23, s23, s27
	s_addc_u32 s27, 0, s33
	v_add_co_u32_e32 v1, vcc, s23, v1
	s_cmp_lg_u64 vcc, 0
	s_addc_u32 s7, s7, s27
	v_readfirstlane_b32 s27, v1
	s_mul_i32 s23, s0, s7
	s_mul_hi_u32 s33, s0, s27
	s_add_i32 s23, s33, s23
	s_mul_i32 s1, s1, s27
	s_add_i32 s23, s23, s1
	s_mul_i32 s0, s0, s27
	s_mul_hi_u32 s33, s7, s0
	s_mul_i32 s38, s7, s0
	s_mul_i32 s40, s27, s23
	s_mul_hi_u32 s0, s27, s0
	s_mul_hi_u32 s39, s27, s23
	s_add_u32 s0, s0, s40
	s_addc_u32 s27, 0, s39
	s_add_u32 s0, s0, s38
	s_mul_hi_u32 s1, s7, s23
	s_addc_u32 s0, s27, s33
	s_addc_u32 s1, s1, 0
	s_mul_i32 s23, s7, s23
	s_add_u32 s0, s0, s23
	s_addc_u32 s1, 0, s1
	v_add_co_u32_e32 v1, vcc, s0, v1
	s_cmp_lg_u64 vcc, 0
	s_addc_u32 s7, s7, s1
	s_ashr_i32 s38, s35, 31
	s_add_u32 s0, s34, s38
	s_mov_b32 s39, s38
	s_addc_u32 s1, s35, s38
	s_xor_b64 s[40:41], s[0:1], s[38:39]
	v_readfirstlane_b32 s23, v1
	s_mul_i32 s1, s40, s7
	s_mul_hi_u32 s27, s40, s23
	s_mul_hi_u32 s0, s40, s7
	s_add_u32 s1, s27, s1
	s_addc_u32 s0, 0, s0
	s_mul_hi_u32 s33, s41, s23
	s_mul_i32 s23, s41, s23
	s_add_u32 s1, s1, s23
	s_mul_hi_u32 s27, s41, s7
	s_addc_u32 s0, s0, s33
	s_addc_u32 s1, s27, 0
	s_mul_i32 s7, s41, s7
	s_add_u32 s7, s0, s7
	s_addc_u32 s23, 0, s1
	s_mul_i32 s0, s36, s23
	s_mul_hi_u32 s1, s36, s7
	s_add_i32 s0, s1, s0
	s_mul_i32 s1, s37, s7
	s_add_i32 s27, s0, s1
	s_mul_i32 s1, s36, s7
	v_mov_b32_e32 v1, s1
	s_sub_i32 s0, s41, s27
	v_sub_co_u32_e32 v1, vcc, s40, v1
	s_cmp_lg_u64 vcc, 0
	s_subb_u32 s33, s0, s37
	v_subrev_co_u32_e64 v2, s[0:1], s36, v1
	s_cmp_lg_u64 s[0:1], 0
	s_subb_u32 s0, s33, 0
	s_cmp_ge_u32 s0, s37
	v_readfirstlane_b32 s33, v2
	s_cselect_b32 s1, -1, 0
	s_cmp_ge_u32 s33, s36
	s_cselect_b32 s33, -1, 0
	s_cmp_eq_u32 s0, s37
	s_cselect_b32 s0, s33, s1
	s_add_u32 s1, s7, 1
	s_addc_u32 s33, s23, 0
	s_add_u32 s40, s7, 2
	s_addc_u32 s42, s23, 0
	s_cmp_lg_u32 s0, 0
	s_cselect_b32 s0, s40, s1
	s_cselect_b32 s1, s42, s33
	s_cmp_lg_u64 vcc, 0
	s_subb_u32 s27, s41, s27
	s_cmp_ge_u32 s27, s37
	v_readfirstlane_b32 s40, v1
	s_cselect_b32 s33, -1, 0
	s_cmp_ge_u32 s40, s36
	s_cselect_b32 s36, -1, 0
	s_cmp_eq_u32 s27, s37
	s_cselect_b32 s27, s36, s33
	s_cmp_lg_u32 s27, 0
	s_cselect_b32 s1, s1, s23
	s_cselect_b32 s0, s0, s7
	s_xor_b64 s[10:11], s[38:39], s[10:11]
	s_xor_b64 s[0:1], s[0:1], s[10:11]
	s_sub_u32 s10, s0, s10
	s_subb_u32 s11, s1, s11
	s_cbranch_execnz .LBB48_7
.LBB48_6:
	v_cvt_f32_u32_e32 v1, s2
	s_sub_i32 s0, 0, s2
	s_mov_b32 s11, 0
	v_rcp_iflag_f32_e32 v1, v1
	v_mul_f32_e32 v1, 0x4f7ffffe, v1
	v_cvt_u32_f32_e32 v1, v1
	v_readfirstlane_b32 s1, v1
	s_mul_i32 s0, s0, s1
	s_mul_hi_u32 s0, s1, s0
	s_add_i32 s1, s1, s0
	s_mul_hi_u32 s0, s34, s1
	s_mul_i32 s7, s0, s2
	s_sub_i32 s7, s34, s7
	s_add_i32 s1, s0, 1
	s_sub_i32 s8, s7, s2
	s_cmp_ge_u32 s7, s2
	s_cselect_b32 s0, s1, s0
	s_cselect_b32 s7, s8, s7
	s_add_i32 s1, s0, 1
	s_cmp_ge_u32 s7, s2
	s_cselect_b32 s10, s1, s0
.LBB48_7:
	s_mul_i32 s0, s10, s3
	s_mul_hi_u32 s1, s10, s2
	s_add_i32 s0, s1, s0
	s_mul_i32 s1, s11, s2
	s_add_i32 s0, s0, s1
	s_mul_i32 s1, s10, s2
	s_sub_u32 s33, s34, s1
	s_subb_u32 s7, s35, s0
	v_cmp_gt_i32_e32 vcc, s26, v0
	s_mul_hi_u32 s40, s10, s20
	s_mul_i32 s41, s11, s20
	s_mul_i32 s36, s10, s20
	s_mul_hi_u32 s11, s33, s21
	s_mul_i32 s7, s7, s21
	s_mul_i32 s34, s33, s21
	s_and_saveexec_b64 s[38:39], vcc
	s_cbranch_execz .LBB48_10
; %bb.8:
	s_mul_i32 s0, s6, s13
	s_mul_hi_u32 s1, s6, s12
	s_add_i32 s1, s1, s0
	s_mul_i32 s0, s6, s12
	s_ashr_i32 s27, s26, 31
	s_lshl_b64 s[0:1], s[0:1], 1
	s_add_u32 s42, s16, s0
	s_addc_u32 s43, s17, s1
	s_ashr_i32 s2, s20, 31
	s_mul_i32 s2, s10, s2
	s_add_i32 s2, s40, s2
	s_add_i32 s37, s2, s41
	s_ashr_i32 s2, s21, 31
	s_mul_i32 s2, s33, s2
	s_add_i32 s2, s11, s2
	s_add_i32 s35, s2, s7
	s_lshl_b64 s[2:3], s[36:37], 1
	s_lshl_b64 s[8:9], s[34:35], 1
	s_add_u32 s44, s2, s8
	s_addc_u32 s45, s3, s9
	s_load_dword s12, s[4:5], 0x8c
	s_add_u32 s8, s44, s24
	s_addc_u32 s9, s45, s25
	s_ashr_i32 s23, s22, 31
	s_lshl_b64 s[2:3], s[22:23], 1
	s_add_u32 s23, s8, s2
	s_addc_u32 s35, s9, s3
	s_waitcnt lgkmcnt(0)
	s_and_b32 s37, s12, 0xffff
	s_lshl_b64 s[8:9], s[30:31], 2
	s_add_u32 s8, s28, s8
	v_lshlrev_b32_e32 v1, 2, v0
	s_addc_u32 s9, s29, s9
	v_mov_b32_e32 v3, s9
	v_add_co_u32_e32 v2, vcc, s8, v1
	s_lshl_b32 s28, s37, 2
	s_lshl_b64 s[12:13], s[26:27], 2
	s_lshl_b64 s[8:9], s[26:27], 1
	s_add_u32 s0, s0, s8
	s_addc_u32 s1, s1, s9
	s_add_u32 s27, s16, s0
	s_addc_u32 s29, s17, s1
	s_lshl_b32 s30, s37, 1
	s_add_u32 s0, s44, s8
	s_addc_u32 s1, s45, s9
	s_add_u32 s0, s0, s2
	s_addc_u32 s1, s1, s3
	s_mov_b32 s46, 0
	s_add_u32 s31, s24, s0
	v_addc_co_u32_e32 v3, vcc, 0, v3, vcc
	v_lshlrev_b32_e32 v4, 1, v0
	s_addc_u32 s44, s25, s1
	s_mov_b64 s[16:17], 0
	v_mov_b32_e32 v1, s13
	s_movk_i32 s13, 0x7fff
	v_mov_b32_e32 v5, 0x7fc00000
	v_mov_b32_e32 v10, 0x7fc0
	;; [unrolled: 1-line block ×4, first 2 shown]
.LBB48_9:                               ; =>This Inner Loop Header: Depth=1
	v_add_co_u32_e32 v14, vcc, s12, v2
	global_load_dword v13, v[2:3], off
	v_addc_co_u32_e32 v15, vcc, v3, v1, vcc
	global_load_dword v21, v[14:15], off
	v_mov_b32_e32 v7, s43
	v_add_co_u32_e64 v8, s[0:1], s42, v4
	v_mov_b32_e32 v16, s29
	v_add_co_u32_e32 v6, vcc, s27, v4
	v_addc_co_u32_e64 v9, s[0:1], 0, v7, s[0:1]
	v_addc_co_u32_e32 v7, vcc, 0, v16, vcc
	global_load_ushort v18, v[8:9], off
	global_load_ushort v20, v[6:7], off
	s_add_u32 s27, s27, s30
	s_addc_u32 s29, s29, 0
	s_add_u32 s42, s42, s30
	v_add_co_u32_e64 v2, s[0:1], s28, v2
	s_addc_u32 s43, s43, 0
	v_add_co_u32_e32 v14, vcc, s31, v4
	v_addc_co_u32_e64 v3, s[0:1], v3, v11, s[0:1]
	s_add_u32 s31, s31, s30
	v_mov_b32_e32 v15, s35
	v_mov_b32_e32 v19, s44
	v_add_co_u32_e64 v16, s[0:1], s23, v4
	s_addc_u32 s44, s44, 0
	v_add_u32_e32 v12, s37, v12
	v_addc_co_u32_e64 v17, s[0:1], 0, v15, s[0:1]
	v_addc_co_u32_e32 v15, vcc, 0, v19, vcc
	s_add_u32 s23, s23, s30
	v_cmp_le_i32_e32 vcc, s26, v12
	s_addc_u32 s35, s35, 0
	s_or_b64 s[16:17], vcc, s[16:17]
	s_waitcnt vmcnt(3)
	v_bfe_u32 v19, v13, 16, 1
	v_add3_u32 v19, v13, v19, s13
	v_and_b32_e32 v23, 0xffff0000, v19
	s_waitcnt vmcnt(2)
	v_bfe_u32 v22, v21, 16, 1
	v_add3_u32 v22, v21, v22, s13
	v_cmp_o_f32_e32 vcc, v13, v13
	v_and_b32_e32 v13, 0xffff0000, v22
	s_waitcnt vmcnt(1)
	v_lshlrev_b32_e32 v19, 16, v18
	s_waitcnt vmcnt(0)
	v_lshlrev_b32_e32 v18, 16, v20
	v_cndmask_b32_e32 v20, v5, v23, vcc
	v_cmp_o_f32_e32 vcc, v21, v21
	v_mov_b32_e32 v22, v19
	v_mov_b32_e32 v23, v18
	v_cndmask_b32_e32 v21, v5, v13, vcc
	v_pk_mul_f32 v[22:23], v[20:21], v[22:23]
	v_pk_mul_f32 v[18:19], v[20:21], v[18:19]
	v_bfe_u32 v13, v22, 16, 1
	v_bfe_u32 v20, v23, 16, 1
	;; [unrolled: 1-line block ×4, first 2 shown]
	v_add3_u32 v20, v23, v20, s13
	v_add3_u32 v13, v22, v13, s13
	;; [unrolled: 1-line block ×4, first 2 shown]
	v_and_b32_e32 v13, 0xffff0000, v13
	v_and_b32_e32 v20, 0xffff0000, v20
	v_cmp_o_f32_e32 vcc, v22, v22
	v_cmp_o_f32_e64 s[8:9], v23, v23
	v_and_b32_e32 v21, 0xffff0000, v21
	v_and_b32_e32 v22, 0xffff0000, v24
	v_cmp_o_f32_e64 s[0:1], v19, v19
	v_cmp_o_f32_e64 s[2:3], v18, v18
	v_cndmask_b32_e64 v18, v5, v20, s[8:9]
	v_cndmask_b32_e32 v13, v5, v13, vcc
	v_cndmask_b32_e64 v19, v5, v22, s[0:1]
	v_cndmask_b32_e64 v20, v5, v21, s[2:3]
	v_sub_f32_e32 v13, v13, v18
	v_add_f32_e32 v18, v20, v19
	v_bfe_u32 v19, v13, 16, 1
	v_bfe_u32 v20, v18, 16, 1
	v_add3_u32 v19, v13, v19, s13
	v_add3_u32 v20, v18, v20, s13
	v_lshrrev_b32_e32 v19, 16, v19
	v_cmp_o_f32_e64 s[0:1], v13, v13
	v_lshrrev_b32_e32 v20, 16, v20
	v_cmp_o_f32_e32 vcc, v18, v18
	v_cndmask_b32_e64 v13, v10, v19, s[0:1]
	v_cndmask_b32_e32 v18, v10, v20, vcc
	global_store_short v[8:9], v13, off
	global_store_short v[6:7], v18, off
	;; [unrolled: 1-line block ×4, first 2 shown]
	s_andn2_b64 exec, exec, s[16:17]
	s_cbranch_execnz .LBB48_9
.LBB48_10:
	s_or_b64 exec, exec, s[38:39]
	v_cmp_gt_i32_e32 vcc, s22, v0
	s_and_saveexec_b64 s[0:1], vcc
	s_cbranch_execz .LBB48_13
; %bb.11:
	s_mul_i32 s0, s6, s15
	s_mul_hi_u32 s1, s6, s14
	s_add_i32 s1, s1, s0
	s_mul_i32 s0, s6, s14
	s_lshl_b64 s[0:1], s[0:1], 1
	s_add_u32 s2, s18, s0
	s_addc_u32 s6, s19, s1
	s_ashr_i32 s0, s20, 31
	s_mul_i32 s0, s10, s0
	s_add_i32 s0, s40, s0
	s_add_i32 s37, s0, s41
	s_lshl_b64 s[0:1], s[36:37], 1
	s_add_u32 s3, s24, s0
	s_addc_u32 s8, s25, s1
	s_ashr_i32 s0, s21, 31
	s_mul_i32 s33, s33, s0
	s_add_i32 s0, s11, s33
	s_load_dword s4, s[4:5], 0x8c
	s_add_i32 s35, s0, s7
	s_lshl_b64 s[0:1], s[34:35], 1
	s_add_u32 s3, s3, s0
	s_addc_u32 s5, s8, s1
	s_waitcnt lgkmcnt(0)
	s_and_b32 s4, s4, 0xffff
	s_mov_b64 s[0:1], 0
	v_mov_b32_e32 v2, s6
	v_mov_b32_e32 v3, s5
.LBB48_12:                              ; =>This Inner Loop Header: Depth=1
	v_ashrrev_i32_e32 v1, 31, v0
	v_lshlrev_b64 v[4:5], 1, v[0:1]
	v_add_co_u32_e32 v6, vcc, s2, v4
	v_addc_co_u32_e32 v7, vcc, v2, v5, vcc
	global_load_ushort v1, v[6:7], off
	v_add_co_u32_e32 v4, vcc, s3, v4
	v_addc_co_u32_e32 v5, vcc, v3, v5, vcc
	v_add_u32_e32 v0, s4, v0
	v_cmp_le_i32_e32 vcc, s22, v0
	s_or_b64 s[0:1], vcc, s[0:1]
	s_waitcnt vmcnt(0)
	global_store_short v[4:5], v1, off
	s_andn2_b64 exec, exec, s[0:1]
	s_cbranch_execnz .LBB48_12
.LBB48_13:
	s_endpgm
.LBB48_14:
                                        ; implicit-def: $sgpr10_sgpr11
	s_branch .LBB48_6
	.section	.rodata,"a",@progbits
	.p2align	6, 0x0
	.amdhsa_kernel _ZN4vllm38concat_and_cache_mla_rope_fused_kernelIN3c108BFloat16EfLb1E14__hip_bfloat16S3_LNS_18Fp8KVCacheDataTypeE0EEEvPKlPT_S8_PKS7_PKT0_illlliPT3_S6_iiiiPKf
		.amdhsa_group_segment_fixed_size 0
		.amdhsa_private_segment_fixed_size 0
		.amdhsa_kernarg_size 384
		.amdhsa_user_sgpr_count 6
		.amdhsa_user_sgpr_private_segment_buffer 1
		.amdhsa_user_sgpr_dispatch_ptr 0
		.amdhsa_user_sgpr_queue_ptr 0
		.amdhsa_user_sgpr_kernarg_segment_ptr 1
		.amdhsa_user_sgpr_dispatch_id 0
		.amdhsa_user_sgpr_flat_scratch_init 0
		.amdhsa_user_sgpr_kernarg_preload_length 0
		.amdhsa_user_sgpr_kernarg_preload_offset 0
		.amdhsa_user_sgpr_private_segment_size 0
		.amdhsa_uses_dynamic_stack 0
		.amdhsa_system_sgpr_private_segment_wavefront_offset 0
		.amdhsa_system_sgpr_workgroup_id_x 1
		.amdhsa_system_sgpr_workgroup_id_y 0
		.amdhsa_system_sgpr_workgroup_id_z 0
		.amdhsa_system_sgpr_workgroup_info 0
		.amdhsa_system_vgpr_workitem_id 0
		.amdhsa_next_free_vgpr 25
		.amdhsa_next_free_sgpr 47
		.amdhsa_accum_offset 28
		.amdhsa_reserve_vcc 1
		.amdhsa_reserve_flat_scratch 0
		.amdhsa_float_round_mode_32 0
		.amdhsa_float_round_mode_16_64 0
		.amdhsa_float_denorm_mode_32 3
		.amdhsa_float_denorm_mode_16_64 3
		.amdhsa_dx10_clamp 1
		.amdhsa_ieee_mode 1
		.amdhsa_fp16_overflow 0
		.amdhsa_tg_split 0
		.amdhsa_exception_fp_ieee_invalid_op 0
		.amdhsa_exception_fp_denorm_src 0
		.amdhsa_exception_fp_ieee_div_zero 0
		.amdhsa_exception_fp_ieee_overflow 0
		.amdhsa_exception_fp_ieee_underflow 0
		.amdhsa_exception_fp_ieee_inexact 0
		.amdhsa_exception_int_div_zero 0
	.end_amdhsa_kernel
	.section	.text._ZN4vllm38concat_and_cache_mla_rope_fused_kernelIN3c108BFloat16EfLb1E14__hip_bfloat16S3_LNS_18Fp8KVCacheDataTypeE0EEEvPKlPT_S8_PKS7_PKT0_illlliPT3_S6_iiiiPKf,"axG",@progbits,_ZN4vllm38concat_and_cache_mla_rope_fused_kernelIN3c108BFloat16EfLb1E14__hip_bfloat16S3_LNS_18Fp8KVCacheDataTypeE0EEEvPKlPT_S8_PKS7_PKT0_illlliPT3_S6_iiiiPKf,comdat
.Lfunc_end48:
	.size	_ZN4vllm38concat_and_cache_mla_rope_fused_kernelIN3c108BFloat16EfLb1E14__hip_bfloat16S3_LNS_18Fp8KVCacheDataTypeE0EEEvPKlPT_S8_PKS7_PKT0_illlliPT3_S6_iiiiPKf, .Lfunc_end48-_ZN4vllm38concat_and_cache_mla_rope_fused_kernelIN3c108BFloat16EfLb1E14__hip_bfloat16S3_LNS_18Fp8KVCacheDataTypeE0EEEvPKlPT_S8_PKS7_PKT0_illlliPT3_S6_iiiiPKf
                                        ; -- End function
	.section	.AMDGPU.csdata,"",@progbits
; Kernel info:
; codeLenInByte = 2708
; NumSgprs: 51
; NumVgprs: 25
; NumAgprs: 0
; TotalNumVgprs: 25
; ScratchSize: 0
; MemoryBound: 0
; FloatMode: 240
; IeeeMode: 1
; LDSByteSize: 0 bytes/workgroup (compile time only)
; SGPRBlocks: 6
; VGPRBlocks: 3
; NumSGPRsForWavesPerEU: 51
; NumVGPRsForWavesPerEU: 25
; AccumOffset: 28
; Occupancy: 8
; WaveLimiterHint : 1
; COMPUTE_PGM_RSRC2:SCRATCH_EN: 0
; COMPUTE_PGM_RSRC2:USER_SGPR: 6
; COMPUTE_PGM_RSRC2:TRAP_HANDLER: 0
; COMPUTE_PGM_RSRC2:TGID_X_EN: 1
; COMPUTE_PGM_RSRC2:TGID_Y_EN: 0
; COMPUTE_PGM_RSRC2:TGID_Z_EN: 0
; COMPUTE_PGM_RSRC2:TIDIG_COMP_CNT: 0
; COMPUTE_PGM_RSRC3_GFX90A:ACCUM_OFFSET: 6
; COMPUTE_PGM_RSRC3_GFX90A:TG_SPLIT: 0
	.section	.text._ZN4vllm38concat_and_cache_mla_rope_fused_kernelIN3c108BFloat16EfLb0E14__hip_bfloat16S3_LNS_18Fp8KVCacheDataTypeE0EEEvPKlPT_S8_PKS7_PKT0_illlliPT3_S6_iiiiPKf,"axG",@progbits,_ZN4vllm38concat_and_cache_mla_rope_fused_kernelIN3c108BFloat16EfLb0E14__hip_bfloat16S3_LNS_18Fp8KVCacheDataTypeE0EEEvPKlPT_S8_PKS7_PKT0_illlliPT3_S6_iiiiPKf,comdat
	.protected	_ZN4vllm38concat_and_cache_mla_rope_fused_kernelIN3c108BFloat16EfLb0E14__hip_bfloat16S3_LNS_18Fp8KVCacheDataTypeE0EEEvPKlPT_S8_PKS7_PKT0_illlliPT3_S6_iiiiPKf ; -- Begin function _ZN4vllm38concat_and_cache_mla_rope_fused_kernelIN3c108BFloat16EfLb0E14__hip_bfloat16S3_LNS_18Fp8KVCacheDataTypeE0EEEvPKlPT_S8_PKS7_PKT0_illlliPT3_S6_iiiiPKf
	.globl	_ZN4vllm38concat_and_cache_mla_rope_fused_kernelIN3c108BFloat16EfLb0E14__hip_bfloat16S3_LNS_18Fp8KVCacheDataTypeE0EEEvPKlPT_S8_PKS7_PKT0_illlliPT3_S6_iiiiPKf
	.p2align	8
	.type	_ZN4vllm38concat_and_cache_mla_rope_fused_kernelIN3c108BFloat16EfLb0E14__hip_bfloat16S3_LNS_18Fp8KVCacheDataTypeE0EEEvPKlPT_S8_PKS7_PKT0_illlliPT3_S6_iiiiPKf,@function
_ZN4vllm38concat_and_cache_mla_rope_fused_kernelIN3c108BFloat16EfLb0E14__hip_bfloat16S3_LNS_18Fp8KVCacheDataTypeE0EEEvPKlPT_S8_PKS7_PKT0_illlliPT3_S6_iiiiPKf: ; @_ZN4vllm38concat_and_cache_mla_rope_fused_kernelIN3c108BFloat16EfLb0E14__hip_bfloat16S3_LNS_18Fp8KVCacheDataTypeE0EEEvPKlPT_S8_PKS7_PKT0_illlliPT3_S6_iiiiPKf
; %bb.0:
	s_load_dwordx2 s[2:3], s[4:5], 0x60
	s_mov_b32 s7, 0
	s_lshl_b64 s[0:1], s[6:7], 3
	s_waitcnt lgkmcnt(0)
	s_add_u32 s2, s2, s0
	s_addc_u32 s3, s3, s1
	s_load_dwordx2 s[28:29], s[2:3], 0x0
	s_waitcnt lgkmcnt(0)
	v_cmp_lt_i64_e64 s[2:3], s[28:29], 0
	s_and_b64 vcc, exec, s[2:3]
	s_cbranch_vccnz .LBB49_13
; %bb.1:
	s_load_dword s7, s[4:5], 0x28
	s_load_dwordx2 s[2:3], s[4:5], 0x0
	s_load_dwordx4 s[16:19], s[4:5], 0x10
	s_waitcnt lgkmcnt(0)
	s_ashr_i32 s22, s7, 31
	s_add_u32 s0, s2, s0
	s_addc_u32 s1, s3, s1
	s_load_dwordx2 s[20:21], s[0:1], 0x0
	s_load_dwordx2 s[2:3], s[4:5], 0x20
	s_load_dwordx8 s[8:15], s[4:5], 0x30
	s_load_dwordx2 s[24:25], s[4:5], 0x58
	s_load_dword s23, s[4:5], 0x50
	s_waitcnt lgkmcnt(0)
	s_mul_i32 s0, s20, s22
	s_mul_hi_u32 s1, s20, s7
	s_mul_i32 s21, s21, s7
	s_add_i32 s0, s1, s0
	s_add_i32 s31, s0, s21
	s_lshr_b32 s0, s7, 31
	s_mul_i32 s30, s20, s7
	s_add_i32 s7, s7, s0
	s_ashr_i32 s26, s7, 1
	s_mul_i32 s7, s26, s23
	v_cmp_gt_i32_e32 vcc, s7, v0
	s_and_saveexec_b64 s[20:21], vcc
	s_cbranch_execz .LBB49_4
; %bb.2:
	s_lshl_b64 s[0:1], s[30:31], 2
	s_add_u32 s33, s2, s0
	s_addc_u32 s22, s3, s1
	s_load_dwordx2 s[0:1], s[4:5], 0x8
	s_mul_i32 s9, s6, s9
	s_mul_hi_u32 s23, s6, s8
	s_add_i32 s9, s23, s9
	s_load_dword s23, s[4:5], 0x8c
	s_mul_i32 s8, s6, s8
	s_ashr_i32 s27, s26, 31
	s_lshl_b64 s[8:9], s[8:9], 1
	s_waitcnt lgkmcnt(0)
	s_add_u32 s34, s0, s8
	s_addc_u32 s0, s1, s9
	s_abs_i32 s35, s26
	v_cvt_f32_u32_e32 v1, s35
	s_sub_i32 s1, 0, s35
	s_and_b32 s36, s23, 0xffff
	v_mov_b32_e32 v3, s22
	v_rcp_iflag_f32_e32 v1, v1
	s_lshl_b64 s[22:23], s[26:27], 2
	s_sub_i32 s37, 0, s26
	s_lshl_b32 s39, s36, 1
	v_mul_f32_e32 v1, 0x4f7ffffe, v1
	v_cvt_u32_f32_e32 v1, v1
	s_mov_b64 s[8:9], 0
	s_movk_i32 s40, 0x7fff
	v_mov_b32_e32 v5, s23
	v_mul_lo_u32 v2, s1, v1
	v_mul_hi_u32 v2, v1, v2
	s_lshl_b32 s1, s26, 1
	v_add_u32_e32 v1, v1, v2
	s_sub_i32 s38, 0, s1
	v_lshlrev_b32_e32 v2, 1, v0
	v_mov_b32_e32 v6, s0
	v_mov_b32_e32 v7, 0x7fc00000
	;; [unrolled: 1-line block ×3, first 2 shown]
	s_mov_b32 s23, 0x5040100
	v_mov_b32_e32 v4, v0
.LBB49_3:                               ; =>This Inner Loop Header: Depth=1
	v_sub_u32_e32 v10, 0, v4
	v_max_i32_e32 v10, v4, v10
	v_mul_hi_u32 v11, v10, v1
	v_mul_lo_u32 v12, v11, s35
	v_sub_u32_e32 v10, v10, v12
	v_add_u32_e32 v13, 1, v11
	v_cmp_le_u32_e32 vcc, s35, v10
	v_subrev_u32_e32 v12, s35, v10
	v_cndmask_b32_e32 v11, v11, v13, vcc
	v_cndmask_b32_e32 v10, v10, v12, vcc
	v_ashrrev_i32_e32 v9, 31, v4
	v_add_u32_e32 v12, 1, v11
	v_cmp_le_u32_e32 vcc, s35, v10
	v_xor_b32_e32 v9, s27, v9
	v_cndmask_b32_e32 v10, v11, v12, vcc
	v_xor_b32_e32 v10, v10, v9
	v_sub_u32_e32 v9, v10, v9
	v_mad_u64_u32 v[10:11], s[0:1], s37, v9, v[4:5]
	v_ashrrev_i32_e32 v11, 31, v10
	v_lshlrev_b64 v[10:11], 2, v[10:11]
	v_ashrrev_i32_e32 v16, 31, v9
	v_add_co_u32_e32 v10, vcc, s33, v10
	v_mul_lo_u32 v17, v9, s11
	v_mad_u64_u32 v[12:13], s[0:1], v9, s10, 0
	v_mad_u64_u32 v[14:15], s[0:1], s38, v9, v[2:3]
	v_mul_lo_u32 v9, v16, s10
	v_addc_co_u32_e32 v11, vcc, v3, v11, vcc
	v_add3_u32 v13, v13, v17, v9
	v_add_co_u32_e32 v16, vcc, s22, v10
	v_lshlrev_b64 v[12:13], 1, v[12:13]
	v_addc_co_u32_e32 v17, vcc, v11, v5, vcc
	v_ashrrev_i32_e32 v15, 31, v14
	v_add_co_u32_e32 v9, vcc, s34, v12
	v_lshlrev_b64 v[14:15], 1, v[14:15]
	v_addc_co_u32_e32 v12, vcc, v6, v13, vcc
	global_load_dword v18, v[10:11], off
	global_load_dword v19, v[16:17], off
	v_add_co_u32_e32 v10, vcc, v9, v14
	v_addc_co_u32_e32 v11, vcc, v12, v15, vcc
	global_load_dword v9, v[10:11], off
	v_add_u32_e32 v4, s36, v4
	v_cmp_le_i32_e32 vcc, s7, v4
	s_or_b64 s[8:9], vcc, s[8:9]
	v_add_u32_e32 v2, s39, v2
	s_waitcnt vmcnt(2)
	v_bfe_u32 v12, v18, 16, 1
	v_add3_u32 v12, v18, v12, s40
	s_waitcnt vmcnt(1)
	v_bfe_u32 v13, v19, 16, 1
	v_and_b32_e32 v14, 0xffff0000, v12
	v_cmp_o_f32_e32 vcc, v18, v18
	v_add3_u32 v15, v19, v13, s40
	s_waitcnt vmcnt(0)
	v_and_b32_e32 v13, 0xffff0000, v9
	v_lshlrev_b32_e32 v12, 16, v9
	v_cndmask_b32_e32 v14, v7, v14, vcc
	v_and_b32_e32 v9, 0xffff0000, v15
	v_cmp_o_f32_e32 vcc, v19, v19
	v_pk_mul_f32 v[14:15], v[14:15], v[12:13] op_sel_hi:[0,1]
	v_cndmask_b32_e32 v16, v7, v9, vcc
	v_bfe_u32 v17, v15, 16, 1
	v_bfe_u32 v9, v14, 16, 1
	v_pk_mul_f32 v[12:13], v[16:17], v[12:13] op_sel_hi:[0,1]
	v_add3_u32 v16, v15, v17, s40
	v_add3_u32 v9, v14, v9, s40
	v_bfe_u32 v17, v13, 16, 1
	v_bfe_u32 v18, v12, 16, 1
	v_and_b32_e32 v9, 0xffff0000, v9
	v_and_b32_e32 v16, 0xffff0000, v16
	v_add3_u32 v18, v12, v18, s40
	v_add3_u32 v17, v13, v17, s40
	v_cmp_o_f32_e32 vcc, v14, v14
	v_cmp_o_f32_e64 s[0:1], v15, v15
	v_and_b32_e32 v17, 0xffff0000, v17
	v_and_b32_e32 v18, 0xffff0000, v18
	v_cndmask_b32_e64 v15, v7, v16, s[0:1]
	v_cndmask_b32_e32 v14, v7, v9, vcc
	v_cmp_o_f32_e32 vcc, v13, v13
	v_cmp_o_f32_e64 s[0:1], v12, v12
	v_cndmask_b32_e64 v13, v7, v18, s[0:1]
	v_cndmask_b32_e32 v12, v7, v17, vcc
	v_pk_add_f32 v[16:17], v[14:15], v[12:13] neg_lo:[0,1] neg_hi:[0,1]
	v_pk_add_f32 v[12:13], v[14:15], v[12:13]
	v_bfe_u32 v9, v16, 16, 1
	v_bfe_u32 v12, v13, 16, 1
	v_add3_u32 v12, v13, v12, s40
	v_add3_u32 v9, v16, v9, s40
	v_lshrrev_b32_e32 v9, 16, v9
	v_lshrrev_b32_e32 v12, 16, v12
	v_cmp_o_f32_e32 vcc, v13, v13
	v_cmp_o_f32_e64 s[0:1], v16, v16
	v_cndmask_b32_e64 v9, v8, v9, s[0:1]
	v_cndmask_b32_e32 v12, v8, v12, vcc
	v_perm_b32 v9, v12, v9, s23
	global_store_dword v[10:11], v9, off
	s_andn2_b64 exec, exec, s[8:9]
	s_cbranch_execnz .LBB49_3
.LBB49_4:
	s_or_b64 exec, exec, s[20:21]
	s_load_dwordx4 s[20:23], s[4:5], 0x68
	s_waitcnt lgkmcnt(0)
	s_ashr_i32 s9, s23, 31
	s_mov_b32 s8, s23
	s_or_b64 s[0:1], s[28:29], s[8:9]
	s_mov_b32 s0, 0
	s_cmp_lg_u64 s[0:1], 0
	s_cbranch_scc0 .LBB49_14
; %bb.5:
	s_add_u32 s0, s8, s9
	s_mov_b32 s10, s9
	s_mov_b32 s11, s9
	s_addc_u32 s1, s9, s9
	s_xor_b64 s[36:37], s[0:1], s[10:11]
	v_cvt_f32_u32_e32 v1, s36
	v_cvt_f32_u32_e32 v2, s37
	s_sub_u32 s0, 0, s36
	s_subb_u32 s1, 0, s37
	v_madmk_f32 v1, v2, 0x4f800000, v1
	v_rcp_f32_e32 v1, v1
	v_mul_f32_e32 v1, 0x5f7ffffc, v1
	v_mul_f32_e32 v2, 0x2f800000, v1
	v_trunc_f32_e32 v2, v2
	v_madmk_f32 v1, v2, 0xcf800000, v1
	v_cvt_u32_f32_e32 v2, v2
	v_cvt_u32_f32_e32 v1, v1
	v_readfirstlane_b32 s7, v2
	v_readfirstlane_b32 s23, v1
	s_mul_i32 s27, s0, s7
	s_mul_hi_u32 s38, s0, s23
	s_mul_i32 s33, s1, s23
	s_add_i32 s27, s38, s27
	s_add_i32 s27, s27, s33
	s_mul_i32 s39, s0, s23
	s_mul_hi_u32 s33, s23, s27
	s_mul_i32 s38, s23, s27
	s_mul_hi_u32 s23, s23, s39
	s_add_u32 s23, s23, s38
	s_addc_u32 s33, 0, s33
	s_mul_hi_u32 s40, s7, s39
	s_mul_i32 s39, s7, s39
	s_add_u32 s23, s23, s39
	s_mul_hi_u32 s38, s7, s27
	s_addc_u32 s23, s33, s40
	s_addc_u32 s33, s38, 0
	s_mul_i32 s27, s7, s27
	s_add_u32 s23, s23, s27
	s_addc_u32 s27, 0, s33
	v_add_co_u32_e32 v1, vcc, s23, v1
	s_cmp_lg_u64 vcc, 0
	s_addc_u32 s7, s7, s27
	v_readfirstlane_b32 s27, v1
	s_mul_i32 s23, s0, s7
	s_mul_hi_u32 s33, s0, s27
	s_add_i32 s23, s33, s23
	s_mul_i32 s1, s1, s27
	s_add_i32 s23, s23, s1
	s_mul_i32 s0, s0, s27
	s_mul_hi_u32 s33, s7, s0
	s_mul_i32 s38, s7, s0
	s_mul_i32 s40, s27, s23
	s_mul_hi_u32 s0, s27, s0
	s_mul_hi_u32 s39, s27, s23
	s_add_u32 s0, s0, s40
	s_addc_u32 s27, 0, s39
	s_add_u32 s0, s0, s38
	s_mul_hi_u32 s1, s7, s23
	s_addc_u32 s0, s27, s33
	s_addc_u32 s1, s1, 0
	s_mul_i32 s23, s7, s23
	s_add_u32 s0, s0, s23
	s_addc_u32 s1, 0, s1
	v_add_co_u32_e32 v1, vcc, s0, v1
	s_cmp_lg_u64 vcc, 0
	s_addc_u32 s7, s7, s1
	s_ashr_i32 s38, s29, 31
	s_add_u32 s0, s28, s38
	s_mov_b32 s39, s38
	s_addc_u32 s1, s29, s38
	s_xor_b64 s[40:41], s[0:1], s[38:39]
	v_readfirstlane_b32 s23, v1
	s_mul_i32 s1, s40, s7
	s_mul_hi_u32 s27, s40, s23
	s_mul_hi_u32 s0, s40, s7
	s_add_u32 s1, s27, s1
	s_addc_u32 s0, 0, s0
	s_mul_hi_u32 s33, s41, s23
	s_mul_i32 s23, s41, s23
	s_add_u32 s1, s1, s23
	s_mul_hi_u32 s27, s41, s7
	s_addc_u32 s0, s0, s33
	s_addc_u32 s1, s27, 0
	s_mul_i32 s7, s41, s7
	s_add_u32 s7, s0, s7
	s_addc_u32 s23, 0, s1
	s_mul_i32 s0, s36, s23
	s_mul_hi_u32 s1, s36, s7
	s_add_i32 s0, s1, s0
	s_mul_i32 s1, s37, s7
	s_add_i32 s27, s0, s1
	s_mul_i32 s1, s36, s7
	v_mov_b32_e32 v1, s1
	s_sub_i32 s0, s41, s27
	v_sub_co_u32_e32 v1, vcc, s40, v1
	s_cmp_lg_u64 vcc, 0
	s_subb_u32 s33, s0, s37
	v_subrev_co_u32_e64 v2, s[0:1], s36, v1
	s_cmp_lg_u64 s[0:1], 0
	s_subb_u32 s0, s33, 0
	s_cmp_ge_u32 s0, s37
	v_readfirstlane_b32 s33, v2
	s_cselect_b32 s1, -1, 0
	s_cmp_ge_u32 s33, s36
	s_cselect_b32 s33, -1, 0
	s_cmp_eq_u32 s0, s37
	s_cselect_b32 s0, s33, s1
	s_add_u32 s1, s7, 1
	s_addc_u32 s33, s23, 0
	s_add_u32 s40, s7, 2
	s_addc_u32 s42, s23, 0
	s_cmp_lg_u32 s0, 0
	s_cselect_b32 s0, s40, s1
	s_cselect_b32 s1, s42, s33
	s_cmp_lg_u64 vcc, 0
	s_subb_u32 s27, s41, s27
	s_cmp_ge_u32 s27, s37
	v_readfirstlane_b32 s40, v1
	s_cselect_b32 s33, -1, 0
	s_cmp_ge_u32 s40, s36
	s_cselect_b32 s36, -1, 0
	s_cmp_eq_u32 s27, s37
	s_cselect_b32 s27, s36, s33
	s_cmp_lg_u32 s27, 0
	s_cselect_b32 s1, s1, s23
	s_cselect_b32 s0, s0, s7
	s_xor_b64 s[10:11], s[38:39], s[10:11]
	s_xor_b64 s[0:1], s[0:1], s[10:11]
	s_sub_u32 s10, s0, s10
	s_subb_u32 s11, s1, s11
	s_cbranch_execnz .LBB49_7
.LBB49_6:
	v_cvt_f32_u32_e32 v1, s8
	s_sub_i32 s0, 0, s8
	s_mov_b32 s11, 0
	v_rcp_iflag_f32_e32 v1, v1
	v_mul_f32_e32 v1, 0x4f7ffffe, v1
	v_cvt_u32_f32_e32 v1, v1
	v_readfirstlane_b32 s1, v1
	s_mul_i32 s0, s0, s1
	s_mul_hi_u32 s0, s1, s0
	s_add_i32 s1, s1, s0
	s_mul_hi_u32 s0, s28, s1
	s_mul_i32 s7, s0, s8
	s_sub_i32 s7, s28, s7
	s_add_i32 s1, s0, 1
	s_sub_i32 s10, s7, s8
	s_cmp_ge_u32 s7, s8
	s_cselect_b32 s0, s1, s0
	s_cselect_b32 s7, s10, s7
	s_add_i32 s1, s0, 1
	s_cmp_ge_u32 s7, s8
	s_cselect_b32 s10, s1, s0
.LBB49_7:
	s_mul_i32 s0, s10, s9
	s_mul_hi_u32 s1, s10, s8
	s_add_i32 s0, s1, s0
	s_mul_i32 s1, s11, s8
	s_add_i32 s0, s0, s1
	s_mul_i32 s1, s10, s8
	s_sub_u32 s33, s28, s1
	s_subb_u32 s7, s29, s0
	v_cmp_gt_i32_e32 vcc, s26, v0
	s_mul_hi_u32 s38, s10, s20
	s_mul_i32 s39, s11, s20
	s_mul_i32 s34, s10, s20
	s_mul_hi_u32 s11, s33, s21
	s_mul_i32 s7, s7, s21
	s_mul_i32 s28, s33, s21
	s_and_saveexec_b64 s[36:37], vcc
	s_cbranch_execz .LBB49_10
; %bb.8:
	s_load_dword s0, s[4:5], 0x8c
	s_ashr_i32 s27, s26, 31
	s_ashr_i32 s8, s20, 31
	;; [unrolled: 1-line block ×4, first 2 shown]
	s_waitcnt lgkmcnt(0)
	s_and_b32 s40, s0, 0xffff
	s_lshl_b64 s[0:1], s[30:31], 2
	s_add_u32 s0, s2, s0
	v_lshlrev_b32_e32 v7, 2, v0
	s_addc_u32 s1, s3, s1
	v_mov_b32_e32 v2, s1
	v_add_co_u32_e32 v1, vcc, s0, v7
	v_addc_co_u32_e32 v2, vcc, 0, v2, vcc
	s_lshl_b64 s[0:1], s[26:27], 2
	v_mov_b32_e32 v4, s1
	v_add_co_u32_e32 v3, vcc, s0, v1
	s_mul_i32 s0, s13, s6
	s_mul_hi_u32 s1, s12, s6
	s_add_i32 s1, s1, s0
	s_mul_i32 s0, s12, s6
	s_lshl_b32 s30, s40, 2
	s_lshl_b64 s[0:1], s[0:1], 1
	v_addc_co_u32_e32 v4, vcc, v2, v4, vcc
	s_add_u32 s0, s16, s0
	v_add_co_u32_e32 v5, vcc, s0, v7
	s_mul_i32 s0, s10, s8
	s_mul_i32 s2, s33, s9
	s_addc_u32 s1, s17, s1
	s_add_i32 s0, s38, s0
	s_add_i32 s2, s11, s2
	;; [unrolled: 1-line block ×4, first 2 shown]
	v_mov_b32_e32 v6, s1
	s_lshl_b64 s[0:1], s[34:35], 1
	s_lshl_b64 s[2:3], s[28:29], 1
	s_add_u32 s2, s0, s2
	s_addc_u32 s3, s1, s3
	s_lshl_b64 s[0:1], s[22:23], 1
	s_add_u32 s0, s24, s0
	s_addc_u32 s1, s25, s1
	s_add_u32 s0, s0, s2
	v_addc_co_u32_e32 v6, vcc, 0, v6, vcc
	s_addc_u32 s1, s1, s3
	v_mov_b32_e32 v8, s1
	v_add_co_u32_e32 v7, vcc, s0, v7
	v_addc_co_u32_e32 v8, vcc, 0, v8, vcc
	s_mov_b64 s[12:13], 0
	s_movk_i32 s23, 0x7fff
	v_mov_b32_e32 v9, 0x7fc00000
	v_mov_b32_e32 v10, 0x7fc0
	s_mov_b32 s27, 0x5040100
	s_mov_b64 s[16:17], 0
	v_mov_b32_e32 v11, v0
.LBB49_9:                               ; =>This Inner Loop Header: Depth=1
	v_mov_b32_e32 v18, s17
	v_add_co_u32_e64 v16, s[2:3], s16, v1
	v_add_co_u32_e32 v12, vcc, s16, v3
	v_add_co_u32_e64 v14, s[0:1], s16, v5
	v_addc_co_u32_e64 v17, s[2:3], v2, v18, s[2:3]
	v_addc_co_u32_e32 v13, vcc, v4, v18, vcc
	v_addc_co_u32_e64 v15, vcc, v6, v18, s[0:1]
	global_load_dword v19, v[16:17], off
	global_load_dword v20, v[12:13], off
	global_load_dword v21, v[14:15], off
	v_add_co_u32_e32 v12, vcc, s16, v7
	v_add_u32_e32 v11, s40, v11
	s_add_u32 s16, s16, s30
	v_addc_co_u32_e32 v13, vcc, v8, v18, vcc
	s_addc_u32 s17, s17, 0
	v_cmp_le_i32_e32 vcc, s26, v11
	s_or_b64 s[12:13], vcc, s[12:13]
	s_waitcnt vmcnt(2)
	v_bfe_u32 v18, v19, 16, 1
	s_waitcnt vmcnt(1)
	v_bfe_u32 v22, v20, 16, 1
	s_waitcnt vmcnt(0)
	v_and_b32_e32 v17, 0xffff0000, v21
	v_lshlrev_b32_e32 v16, 16, v21
	v_add3_u32 v18, v19, v18, s23
	v_add3_u32 v21, v20, v22, s23
	v_and_b32_e32 v18, 0xffff0000, v18
	v_and_b32_e32 v21, 0xffff0000, v21
	v_cmp_o_f32_e32 vcc, v20, v20
	v_cmp_o_f32_e64 s[0:1], v19, v19
	v_cndmask_b32_e64 v18, v9, v18, s[0:1]
	v_cndmask_b32_e32 v20, v9, v21, vcc
	v_pk_mul_f32 v[18:19], v[18:19], v[16:17] op_sel_hi:[0,1]
	v_pk_mul_f32 v[16:17], v[20:21], v[16:17] op_sel_hi:[0,1]
	v_bfe_u32 v20, v18, 16, 1
	v_bfe_u32 v21, v19, 16, 1
	v_bfe_u32 v22, v17, 16, 1
	v_bfe_u32 v23, v16, 16, 1
	v_add3_u32 v21, v19, v21, s23
	v_add3_u32 v20, v18, v20, s23
	v_add3_u32 v23, v16, v23, s23
	v_add3_u32 v22, v17, v22, s23
	v_and_b32_e32 v20, 0xffff0000, v20
	v_and_b32_e32 v21, 0xffff0000, v21
	;; [unrolled: 1-line block ×4, first 2 shown]
	v_cmp_o_f32_e32 vcc, v18, v18
	v_cmp_o_f32_e64 s[0:1], v16, v16
	v_cmp_o_f32_e64 s[2:3], v17, v17
	;; [unrolled: 1-line block ×3, first 2 shown]
	v_cndmask_b32_e64 v17, v9, v21, s[8:9]
	v_cndmask_b32_e32 v16, v9, v20, vcc
	v_cndmask_b32_e64 v19, v9, v23, s[0:1]
	v_cndmask_b32_e64 v18, v9, v22, s[2:3]
	v_pk_add_f32 v[20:21], v[16:17], v[18:19] neg_lo:[0,1] neg_hi:[0,1]
	v_pk_add_f32 v[16:17], v[16:17], v[18:19]
	v_bfe_u32 v16, v20, 16, 1
	v_bfe_u32 v18, v17, 16, 1
	v_add3_u32 v18, v17, v18, s23
	v_add3_u32 v16, v20, v16, s23
	v_lshrrev_b32_e32 v16, 16, v16
	v_lshrrev_b32_e32 v18, 16, v18
	v_cmp_o_f32_e32 vcc, v17, v17
	v_cmp_o_f32_e64 s[0:1], v20, v20
	v_cndmask_b32_e64 v16, v10, v16, s[0:1]
	v_cndmask_b32_e32 v17, v10, v18, vcc
	v_perm_b32 v16, v17, v16, s27
	global_store_dword v[14:15], v16, off
	global_store_dword v[12:13], v16, off
	s_andn2_b64 exec, exec, s[12:13]
	s_cbranch_execnz .LBB49_9
.LBB49_10:
	s_or_b64 exec, exec, s[36:37]
	v_cmp_gt_i32_e32 vcc, s22, v0
	s_and_saveexec_b64 s[0:1], vcc
	s_cbranch_execz .LBB49_13
; %bb.11:
	s_mul_i32 s0, s6, s15
	s_mul_hi_u32 s1, s6, s14
	s_add_i32 s1, s1, s0
	s_mul_i32 s0, s6, s14
	s_lshl_b64 s[0:1], s[0:1], 1
	s_add_u32 s2, s18, s0
	s_addc_u32 s6, s19, s1
	s_ashr_i32 s0, s20, 31
	s_mul_i32 s0, s10, s0
	s_add_i32 s0, s38, s0
	s_add_i32 s35, s0, s39
	s_lshl_b64 s[0:1], s[34:35], 1
	s_add_u32 s3, s24, s0
	s_addc_u32 s8, s25, s1
	s_ashr_i32 s0, s21, 31
	s_mul_i32 s33, s33, s0
	s_add_i32 s0, s11, s33
	s_load_dword s4, s[4:5], 0x8c
	s_add_i32 s29, s0, s7
	s_lshl_b64 s[0:1], s[28:29], 1
	s_add_u32 s3, s3, s0
	s_addc_u32 s5, s8, s1
	s_waitcnt lgkmcnt(0)
	s_and_b32 s4, s4, 0xffff
	s_mov_b64 s[0:1], 0
	v_mov_b32_e32 v2, s6
	v_mov_b32_e32 v3, s5
.LBB49_12:                              ; =>This Inner Loop Header: Depth=1
	v_ashrrev_i32_e32 v1, 31, v0
	v_lshlrev_b64 v[4:5], 1, v[0:1]
	v_add_co_u32_e32 v6, vcc, s2, v4
	v_addc_co_u32_e32 v7, vcc, v2, v5, vcc
	global_load_ushort v1, v[6:7], off
	v_add_co_u32_e32 v4, vcc, s3, v4
	v_addc_co_u32_e32 v5, vcc, v3, v5, vcc
	v_add_u32_e32 v0, s4, v0
	v_cmp_le_i32_e32 vcc, s22, v0
	s_or_b64 s[0:1], vcc, s[0:1]
	s_waitcnt vmcnt(0)
	global_store_short v[4:5], v1, off
	s_andn2_b64 exec, exec, s[0:1]
	s_cbranch_execnz .LBB49_12
.LBB49_13:
	s_endpgm
.LBB49_14:
                                        ; implicit-def: $sgpr10_sgpr11
	s_branch .LBB49_6
	.section	.rodata,"a",@progbits
	.p2align	6, 0x0
	.amdhsa_kernel _ZN4vllm38concat_and_cache_mla_rope_fused_kernelIN3c108BFloat16EfLb0E14__hip_bfloat16S3_LNS_18Fp8KVCacheDataTypeE0EEEvPKlPT_S8_PKS7_PKT0_illlliPT3_S6_iiiiPKf
		.amdhsa_group_segment_fixed_size 0
		.amdhsa_private_segment_fixed_size 0
		.amdhsa_kernarg_size 384
		.amdhsa_user_sgpr_count 6
		.amdhsa_user_sgpr_private_segment_buffer 1
		.amdhsa_user_sgpr_dispatch_ptr 0
		.amdhsa_user_sgpr_queue_ptr 0
		.amdhsa_user_sgpr_kernarg_segment_ptr 1
		.amdhsa_user_sgpr_dispatch_id 0
		.amdhsa_user_sgpr_flat_scratch_init 0
		.amdhsa_user_sgpr_kernarg_preload_length 0
		.amdhsa_user_sgpr_kernarg_preload_offset 0
		.amdhsa_user_sgpr_private_segment_size 0
		.amdhsa_uses_dynamic_stack 0
		.amdhsa_system_sgpr_private_segment_wavefront_offset 0
		.amdhsa_system_sgpr_workgroup_id_x 1
		.amdhsa_system_sgpr_workgroup_id_y 0
		.amdhsa_system_sgpr_workgroup_id_z 0
		.amdhsa_system_sgpr_workgroup_info 0
		.amdhsa_system_vgpr_workitem_id 0
		.amdhsa_next_free_vgpr 24
		.amdhsa_next_free_sgpr 43
		.amdhsa_accum_offset 24
		.amdhsa_reserve_vcc 1
		.amdhsa_reserve_flat_scratch 0
		.amdhsa_float_round_mode_32 0
		.amdhsa_float_round_mode_16_64 0
		.amdhsa_float_denorm_mode_32 3
		.amdhsa_float_denorm_mode_16_64 3
		.amdhsa_dx10_clamp 1
		.amdhsa_ieee_mode 1
		.amdhsa_fp16_overflow 0
		.amdhsa_tg_split 0
		.amdhsa_exception_fp_ieee_invalid_op 0
		.amdhsa_exception_fp_denorm_src 0
		.amdhsa_exception_fp_ieee_div_zero 0
		.amdhsa_exception_fp_ieee_overflow 0
		.amdhsa_exception_fp_ieee_underflow 0
		.amdhsa_exception_fp_ieee_inexact 0
		.amdhsa_exception_int_div_zero 0
	.end_amdhsa_kernel
	.section	.text._ZN4vllm38concat_and_cache_mla_rope_fused_kernelIN3c108BFloat16EfLb0E14__hip_bfloat16S3_LNS_18Fp8KVCacheDataTypeE0EEEvPKlPT_S8_PKS7_PKT0_illlliPT3_S6_iiiiPKf,"axG",@progbits,_ZN4vllm38concat_and_cache_mla_rope_fused_kernelIN3c108BFloat16EfLb0E14__hip_bfloat16S3_LNS_18Fp8KVCacheDataTypeE0EEEvPKlPT_S8_PKS7_PKT0_illlliPT3_S6_iiiiPKf,comdat
.Lfunc_end49:
	.size	_ZN4vllm38concat_and_cache_mla_rope_fused_kernelIN3c108BFloat16EfLb0E14__hip_bfloat16S3_LNS_18Fp8KVCacheDataTypeE0EEEvPKlPT_S8_PKS7_PKT0_illlliPT3_S6_iiiiPKf, .Lfunc_end49-_ZN4vllm38concat_and_cache_mla_rope_fused_kernelIN3c108BFloat16EfLb0E14__hip_bfloat16S3_LNS_18Fp8KVCacheDataTypeE0EEEvPKlPT_S8_PKS7_PKT0_illlliPT3_S6_iiiiPKf
                                        ; -- End function
	.section	.AMDGPU.csdata,"",@progbits
; Kernel info:
; codeLenInByte = 2632
; NumSgprs: 47
; NumVgprs: 24
; NumAgprs: 0
; TotalNumVgprs: 24
; ScratchSize: 0
; MemoryBound: 0
; FloatMode: 240
; IeeeMode: 1
; LDSByteSize: 0 bytes/workgroup (compile time only)
; SGPRBlocks: 5
; VGPRBlocks: 2
; NumSGPRsForWavesPerEU: 47
; NumVGPRsForWavesPerEU: 24
; AccumOffset: 24
; Occupancy: 8
; WaveLimiterHint : 1
; COMPUTE_PGM_RSRC2:SCRATCH_EN: 0
; COMPUTE_PGM_RSRC2:USER_SGPR: 6
; COMPUTE_PGM_RSRC2:TRAP_HANDLER: 0
; COMPUTE_PGM_RSRC2:TGID_X_EN: 1
; COMPUTE_PGM_RSRC2:TGID_Y_EN: 0
; COMPUTE_PGM_RSRC2:TGID_Z_EN: 0
; COMPUTE_PGM_RSRC2:TIDIG_COMP_CNT: 0
; COMPUTE_PGM_RSRC3_GFX90A:ACCUM_OFFSET: 5
; COMPUTE_PGM_RSRC3_GFX90A:TG_SPLIT: 0
	.section	.text._ZN4vllm38concat_and_cache_mla_rope_fused_kernelIN3c108BFloat16ENS1_4HalfELb1E14__hip_bfloat16S4_LNS_18Fp8KVCacheDataTypeE0EEEvPKlPT_S9_PKS8_PKT0_illlliPT3_S7_iiiiPKf,"axG",@progbits,_ZN4vllm38concat_and_cache_mla_rope_fused_kernelIN3c108BFloat16ENS1_4HalfELb1E14__hip_bfloat16S4_LNS_18Fp8KVCacheDataTypeE0EEEvPKlPT_S9_PKS8_PKT0_illlliPT3_S7_iiiiPKf,comdat
	.protected	_ZN4vllm38concat_and_cache_mla_rope_fused_kernelIN3c108BFloat16ENS1_4HalfELb1E14__hip_bfloat16S4_LNS_18Fp8KVCacheDataTypeE0EEEvPKlPT_S9_PKS8_PKT0_illlliPT3_S7_iiiiPKf ; -- Begin function _ZN4vllm38concat_and_cache_mla_rope_fused_kernelIN3c108BFloat16ENS1_4HalfELb1E14__hip_bfloat16S4_LNS_18Fp8KVCacheDataTypeE0EEEvPKlPT_S9_PKS8_PKT0_illlliPT3_S7_iiiiPKf
	.globl	_ZN4vllm38concat_and_cache_mla_rope_fused_kernelIN3c108BFloat16ENS1_4HalfELb1E14__hip_bfloat16S4_LNS_18Fp8KVCacheDataTypeE0EEEvPKlPT_S9_PKS8_PKT0_illlliPT3_S7_iiiiPKf
	.p2align	8
	.type	_ZN4vllm38concat_and_cache_mla_rope_fused_kernelIN3c108BFloat16ENS1_4HalfELb1E14__hip_bfloat16S4_LNS_18Fp8KVCacheDataTypeE0EEEvPKlPT_S9_PKS8_PKT0_illlliPT3_S7_iiiiPKf,@function
_ZN4vllm38concat_and_cache_mla_rope_fused_kernelIN3c108BFloat16ENS1_4HalfELb1E14__hip_bfloat16S4_LNS_18Fp8KVCacheDataTypeE0EEEvPKlPT_S9_PKS8_PKT0_illlliPT3_S7_iiiiPKf: ; @_ZN4vllm38concat_and_cache_mla_rope_fused_kernelIN3c108BFloat16ENS1_4HalfELb1E14__hip_bfloat16S4_LNS_18Fp8KVCacheDataTypeE0EEEvPKlPT_S9_PKS8_PKT0_illlliPT3_S7_iiiiPKf
; %bb.0:
	s_load_dwordx2 s[2:3], s[4:5], 0x60
	s_mov_b32 s7, 0
	s_lshl_b64 s[0:1], s[6:7], 3
	s_waitcnt lgkmcnt(0)
	s_add_u32 s2, s2, s0
	s_addc_u32 s3, s3, s1
	s_load_dwordx2 s[34:35], s[2:3], 0x0
	s_waitcnt lgkmcnt(0)
	v_cmp_lt_i64_e64 s[2:3], s[34:35], 0
	s_and_b64 vcc, exec, s[2:3]
	s_cbranch_vccnz .LBB50_13
; %bb.1:
	s_load_dword s20, s[4:5], 0x28
	s_load_dwordx2 s[2:3], s[4:5], 0x0
	s_load_dwordx4 s[16:19], s[4:5], 0x10
	s_waitcnt lgkmcnt(0)
	s_ashr_i32 s7, s20, 31
	s_add_u32 s0, s2, s0
	s_addc_u32 s1, s3, s1
	s_load_dwordx2 s[2:3], s[0:1], 0x0
	s_load_dwordx2 s[28:29], s[4:5], 0x20
	s_load_dwordx8 s[8:15], s[4:5], 0x30
	s_load_dwordx2 s[24:25], s[4:5], 0x58
	s_load_dword s21, s[4:5], 0x50
	s_waitcnt lgkmcnt(0)
	s_mul_i32 s0, s2, s7
	s_mul_hi_u32 s1, s2, s20
	s_mul_i32 s3, s3, s20
	s_add_i32 s0, s1, s0
	s_add_i32 s1, s0, s3
	s_mul_i32 s0, s2, s20
	s_lshl_b64 s[30:31], s[0:1], 1
	s_add_u32 s7, s28, s30
	s_addc_u32 s33, s29, s31
	s_lshr_b32 s0, s20, 31
	s_add_i32 s20, s20, s0
	s_ashr_i32 s26, s20, 1
	s_mul_i32 s38, s26, s21
	v_cmp_gt_i32_e32 vcc, s38, v0
	s_and_saveexec_b64 s[20:21], vcc
	s_cbranch_execz .LBB50_4
; %bb.2:
	s_load_dwordx2 s[0:1], s[4:5], 0x8
	s_mul_i32 s2, s6, s9
	s_mul_hi_u32 s3, s6, s8
	s_add_i32 s3, s3, s2
	s_mul_i32 s2, s6, s8
	s_load_dword s8, s[4:5], 0x8c
	s_ashr_i32 s27, s26, 31
	s_lshl_b64 s[2:3], s[2:3], 1
	s_waitcnt lgkmcnt(0)
	s_add_u32 s39, s0, s2
	s_addc_u32 s0, s1, s3
	s_abs_i32 s40, s26
	v_cvt_f32_u32_e32 v1, s40
	s_sub_i32 s1, 0, s40
	s_lshl_b64 s[36:37], s[26:27], 1
	s_mov_b64 s[22:23], 0
	v_rcp_iflag_f32_e32 v2, v1
	v_mov_b32_e32 v1, s33
	s_and_b32 s41, s8, 0xffff
	s_sub_i32 s42, 0, s26
	v_mul_f32_e32 v2, 0x4f7ffffe, v2
	v_cvt_u32_f32_e32 v2, v2
	v_mov_b32_e32 v4, s37
	v_mov_b32_e32 v5, s0
	s_movk_i32 s37, 0x7fff
	v_mul_lo_u32 v3, s1, v2
	v_mul_hi_u32 v3, v2, v3
	v_add_u32_e32 v3, v2, v3
	v_mov_b32_e32 v6, 0x7fc00000
	v_mov_b32_e32 v7, 0x7fc0
	;; [unrolled: 1-line block ×3, first 2 shown]
.LBB50_3:                               ; =>This Inner Loop Header: Depth=1
	v_sub_u32_e32 v9, 0, v2
	v_max_i32_e32 v9, v2, v9
	v_mul_hi_u32 v10, v9, v3
	v_mul_lo_u32 v11, v10, s40
	v_sub_u32_e32 v9, v9, v11
	v_add_u32_e32 v12, 1, v10
	v_cmp_le_u32_e32 vcc, s40, v9
	v_subrev_u32_e32 v11, s40, v9
	v_cndmask_b32_e32 v10, v10, v12, vcc
	v_cndmask_b32_e32 v9, v9, v11, vcc
	v_ashrrev_i32_e32 v8, 31, v2
	v_add_u32_e32 v11, 1, v10
	v_cmp_le_u32_e32 vcc, s40, v9
	v_xor_b32_e32 v8, s27, v8
	v_cndmask_b32_e32 v9, v10, v11, vcc
	v_xor_b32_e32 v9, v9, v8
	v_sub_u32_e32 v10, v9, v8
	v_mad_u64_u32 v[8:9], s[0:1], s42, v10, v[2:3]
	v_ashrrev_i32_e32 v12, 31, v10
	v_ashrrev_i32_e32 v9, 31, v8
	v_mul_lo_u32 v13, v10, s11
	v_mad_u64_u32 v[10:11], s[0:1], v10, s10, 0
	v_mul_lo_u32 v12, v12, s10
	v_lshlrev_b64 v[8:9], 1, v[8:9]
	v_add3_u32 v11, v11, v13, v12
	v_add_co_u32_e32 v12, vcc, s7, v8
	v_addc_co_u32_e32 v13, vcc, v1, v9, vcc
	v_add_co_u32_e32 v14, vcc, s36, v12
	v_lshlrev_b64 v[10:11], 1, v[10:11]
	v_addc_co_u32_e32 v15, vcc, v13, v4, vcc
	global_load_ushort v16, v[12:13], off
	global_load_ushort v17, v[14:15], off
	v_add_co_u32_e32 v10, vcc, s39, v10
	v_addc_co_u32_e32 v11, vcc, v5, v11, vcc
	v_add_co_u32_e32 v8, vcc, v10, v8
	v_addc_co_u32_e32 v9, vcc, v11, v9, vcc
	;; [unrolled: 2-line block ×3, first 2 shown]
	global_load_ushort v12, v[8:9], off
	global_load_ushort v14, v[10:11], off
	v_add_u32_e32 v2, s41, v2
	v_cmp_le_i32_e32 vcc, s38, v2
	s_or_b64 s[22:23], vcc, s[22:23]
	s_waitcnt vmcnt(3)
	v_cvt_f32_f16_e32 v18, v16
	s_waitcnt vmcnt(2)
	v_cvt_f32_f16_e32 v19, v17
	v_cmp_o_f16_e32 vcc, v16, v16
	v_bfe_u32 v20, v18, 16, 1
	v_bfe_u32 v21, v19, 16, 1
	v_add3_u32 v18, v18, v20, s37
	v_add3_u32 v19, v19, v21, s37
	v_and_b32_e32 v18, 0xffff0000, v18
	v_and_b32_e32 v19, 0xffff0000, v19
	v_cndmask_b32_e32 v16, v6, v18, vcc
	v_cmp_o_f16_e32 vcc, v17, v17
	v_cndmask_b32_e32 v17, v6, v19, vcc
	s_waitcnt vmcnt(1)
	v_lshlrev_b32_e32 v13, 16, v12
	s_waitcnt vmcnt(0)
	v_lshlrev_b32_e32 v12, 16, v14
	v_mov_b32_e32 v14, v13
	v_mov_b32_e32 v15, v12
	v_pk_mul_f32 v[14:15], v[16:17], v[14:15]
	v_pk_mul_f32 v[12:13], v[16:17], v[12:13]
	v_bfe_u32 v16, v14, 16, 1
	v_bfe_u32 v17, v15, 16, 1
	;; [unrolled: 1-line block ×4, first 2 shown]
	v_add3_u32 v17, v15, v17, s37
	v_add3_u32 v16, v14, v16, s37
	;; [unrolled: 1-line block ×4, first 2 shown]
	v_and_b32_e32 v16, 0xffff0000, v16
	v_and_b32_e32 v17, 0xffff0000, v17
	v_cmp_o_f32_e32 vcc, v14, v14
	v_cmp_o_f32_e64 s[8:9], v15, v15
	v_and_b32_e32 v14, 0xffff0000, v18
	v_and_b32_e32 v18, 0xffff0000, v19
	v_cmp_o_f32_e64 s[0:1], v13, v13
	v_cmp_o_f32_e64 s[2:3], v12, v12
	v_cndmask_b32_e64 v12, v6, v17, s[8:9]
	v_cndmask_b32_e32 v13, v6, v16, vcc
	v_cndmask_b32_e64 v15, v6, v18, s[0:1]
	v_cndmask_b32_e64 v14, v6, v14, s[2:3]
	v_sub_f32_e32 v12, v13, v12
	v_add_f32_e32 v13, v14, v15
	v_bfe_u32 v14, v12, 16, 1
	v_bfe_u32 v15, v13, 16, 1
	v_add3_u32 v14, v12, v14, s37
	v_add3_u32 v15, v13, v15, s37
	v_lshrrev_b32_e32 v14, 16, v14
	v_cmp_o_f32_e64 s[0:1], v12, v12
	v_lshrrev_b32_e32 v15, 16, v15
	v_cmp_o_f32_e32 vcc, v13, v13
	v_cndmask_b32_e64 v12, v7, v14, s[0:1]
	v_cndmask_b32_e32 v13, v7, v15, vcc
	global_store_short v[8:9], v12, off
	global_store_short v[10:11], v13, off
	s_andn2_b64 exec, exec, s[22:23]
	s_cbranch_execnz .LBB50_3
.LBB50_4:
	s_or_b64 exec, exec, s[20:21]
	s_load_dwordx4 s[20:23], s[4:5], 0x68
	s_waitcnt lgkmcnt(0)
	s_ashr_i32 s3, s23, 31
	s_mov_b32 s2, s23
	s_or_b64 s[0:1], s[34:35], s[2:3]
	s_mov_b32 s0, 0
	s_cmp_lg_u64 s[0:1], 0
	s_cbranch_scc0 .LBB50_14
; %bb.5:
	s_add_u32 s0, s2, s3
	s_mov_b32 s10, s3
	s_mov_b32 s11, s3
	s_addc_u32 s1, s3, s3
	s_xor_b64 s[36:37], s[0:1], s[10:11]
	v_cvt_f32_u32_e32 v1, s36
	v_cvt_f32_u32_e32 v2, s37
	s_sub_u32 s0, 0, s36
	s_subb_u32 s1, 0, s37
	v_madmk_f32 v1, v2, 0x4f800000, v1
	v_rcp_f32_e32 v1, v1
	v_mul_f32_e32 v1, 0x5f7ffffc, v1
	v_mul_f32_e32 v2, 0x2f800000, v1
	v_trunc_f32_e32 v2, v2
	v_madmk_f32 v1, v2, 0xcf800000, v1
	v_cvt_u32_f32_e32 v2, v2
	v_cvt_u32_f32_e32 v1, v1
	v_readfirstlane_b32 s23, v2
	v_readfirstlane_b32 s27, v1
	s_mul_i32 s38, s0, s23
	s_mul_hi_u32 s40, s0, s27
	s_mul_i32 s39, s1, s27
	s_add_i32 s38, s40, s38
	s_add_i32 s38, s38, s39
	s_mul_i32 s41, s0, s27
	s_mul_hi_u32 s39, s27, s38
	s_mul_i32 s40, s27, s38
	s_mul_hi_u32 s27, s27, s41
	s_add_u32 s27, s27, s40
	s_addc_u32 s39, 0, s39
	s_mul_hi_u32 s42, s23, s41
	s_mul_i32 s41, s23, s41
	s_add_u32 s27, s27, s41
	s_mul_hi_u32 s40, s23, s38
	s_addc_u32 s27, s39, s42
	s_addc_u32 s39, s40, 0
	s_mul_i32 s38, s23, s38
	s_add_u32 s27, s27, s38
	s_addc_u32 s38, 0, s39
	v_add_co_u32_e32 v1, vcc, s27, v1
	s_cmp_lg_u64 vcc, 0
	s_addc_u32 s23, s23, s38
	v_readfirstlane_b32 s38, v1
	s_mul_i32 s27, s0, s23
	s_mul_hi_u32 s39, s0, s38
	s_add_i32 s27, s39, s27
	s_mul_i32 s1, s1, s38
	s_add_i32 s27, s27, s1
	s_mul_i32 s0, s0, s38
	s_mul_hi_u32 s39, s23, s0
	s_mul_i32 s40, s23, s0
	s_mul_i32 s42, s38, s27
	s_mul_hi_u32 s0, s38, s0
	s_mul_hi_u32 s41, s38, s27
	s_add_u32 s0, s0, s42
	s_addc_u32 s38, 0, s41
	s_add_u32 s0, s0, s40
	s_mul_hi_u32 s1, s23, s27
	s_addc_u32 s0, s38, s39
	s_addc_u32 s1, s1, 0
	s_mul_i32 s27, s23, s27
	s_add_u32 s0, s0, s27
	s_addc_u32 s1, 0, s1
	v_add_co_u32_e32 v1, vcc, s0, v1
	s_cmp_lg_u64 vcc, 0
	s_addc_u32 s23, s23, s1
	s_ashr_i32 s38, s35, 31
	s_add_u32 s0, s34, s38
	s_mov_b32 s39, s38
	s_addc_u32 s1, s35, s38
	s_xor_b64 s[40:41], s[0:1], s[38:39]
	v_readfirstlane_b32 s27, v1
	s_mul_i32 s1, s40, s23
	s_mul_hi_u32 s42, s40, s27
	s_mul_hi_u32 s0, s40, s23
	s_add_u32 s1, s42, s1
	s_addc_u32 s0, 0, s0
	s_mul_hi_u32 s43, s41, s27
	s_mul_i32 s27, s41, s27
	s_add_u32 s1, s1, s27
	s_mul_hi_u32 s42, s41, s23
	s_addc_u32 s0, s0, s43
	s_addc_u32 s1, s42, 0
	s_mul_i32 s23, s41, s23
	s_add_u32 s23, s0, s23
	s_addc_u32 s27, 0, s1
	s_mul_i32 s0, s36, s27
	s_mul_hi_u32 s1, s36, s23
	s_add_i32 s0, s1, s0
	s_mul_i32 s1, s37, s23
	s_add_i32 s42, s0, s1
	s_mul_i32 s1, s36, s23
	v_mov_b32_e32 v1, s1
	s_sub_i32 s0, s41, s42
	v_sub_co_u32_e32 v1, vcc, s40, v1
	s_cmp_lg_u64 vcc, 0
	s_subb_u32 s40, s0, s37
	v_subrev_co_u32_e64 v2, s[0:1], s36, v1
	s_cmp_lg_u64 s[0:1], 0
	s_subb_u32 s0, s40, 0
	s_cmp_ge_u32 s0, s37
	v_readfirstlane_b32 s40, v2
	s_cselect_b32 s1, -1, 0
	s_cmp_ge_u32 s40, s36
	s_cselect_b32 s40, -1, 0
	s_cmp_eq_u32 s0, s37
	s_cselect_b32 s0, s40, s1
	s_add_u32 s1, s23, 1
	s_addc_u32 s40, s27, 0
	s_add_u32 s43, s23, 2
	s_addc_u32 s44, s27, 0
	s_cmp_lg_u32 s0, 0
	s_cselect_b32 s0, s43, s1
	s_cselect_b32 s1, s44, s40
	s_cmp_lg_u64 vcc, 0
	s_subb_u32 s40, s41, s42
	s_cmp_ge_u32 s40, s37
	v_readfirstlane_b32 s42, v1
	s_cselect_b32 s41, -1, 0
	s_cmp_ge_u32 s42, s36
	s_cselect_b32 s36, -1, 0
	s_cmp_eq_u32 s40, s37
	s_cselect_b32 s36, s36, s41
	s_cmp_lg_u32 s36, 0
	s_cselect_b32 s1, s1, s27
	s_cselect_b32 s0, s0, s23
	s_xor_b64 s[10:11], s[38:39], s[10:11]
	s_xor_b64 s[0:1], s[0:1], s[10:11]
	s_sub_u32 s10, s0, s10
	s_subb_u32 s11, s1, s11
	s_cbranch_execnz .LBB50_7
.LBB50_6:
	v_cvt_f32_u32_e32 v1, s2
	s_sub_i32 s0, 0, s2
	s_mov_b32 s11, 0
	v_rcp_iflag_f32_e32 v1, v1
	v_mul_f32_e32 v1, 0x4f7ffffe, v1
	v_cvt_u32_f32_e32 v1, v1
	v_readfirstlane_b32 s1, v1
	s_mul_i32 s0, s0, s1
	s_mul_hi_u32 s0, s1, s0
	s_add_i32 s1, s1, s0
	s_mul_hi_u32 s0, s34, s1
	s_mul_i32 s8, s0, s2
	s_sub_i32 s8, s34, s8
	s_add_i32 s1, s0, 1
	s_sub_i32 s9, s8, s2
	s_cmp_ge_u32 s8, s2
	s_cselect_b32 s0, s1, s0
	s_cselect_b32 s8, s9, s8
	s_add_i32 s1, s0, 1
	s_cmp_ge_u32 s8, s2
	s_cselect_b32 s10, s1, s0
.LBB50_7:
	s_mul_i32 s0, s10, s3
	s_mul_hi_u32 s1, s10, s2
	s_add_i32 s0, s1, s0
	s_mul_i32 s1, s11, s2
	s_add_i32 s0, s0, s1
	s_mul_i32 s1, s10, s2
	s_sub_u32 s40, s34, s1
	s_subb_u32 s0, s35, s0
	v_cmp_gt_i32_e32 vcc, s26, v0
	s_mul_hi_u32 s42, s10, s20
	s_mul_i32 s43, s11, s20
	s_mul_i32 s36, s10, s20
	s_mul_hi_u32 s41, s40, s21
	s_mul_i32 s11, s0, s21
	s_mul_i32 s34, s40, s21
	s_and_saveexec_b64 s[38:39], vcc
	s_cbranch_execz .LBB50_10
; %bb.8:
	s_mul_i32 s0, s6, s13
	s_mul_hi_u32 s1, s6, s12
	s_add_i32 s1, s1, s0
	s_mul_i32 s0, s6, s12
	s_ashr_i32 s27, s26, 31
	s_lshl_b64 s[0:1], s[0:1], 1
	s_add_u32 s44, s16, s0
	s_addc_u32 s45, s17, s1
	s_ashr_i32 s2, s20, 31
	s_mul_i32 s2, s10, s2
	s_add_i32 s2, s42, s2
	s_add_i32 s37, s2, s43
	s_ashr_i32 s2, s21, 31
	s_mul_i32 s2, s40, s2
	s_add_i32 s2, s41, s2
	s_add_i32 s35, s2, s11
	s_lshl_b64 s[2:3], s[36:37], 1
	s_lshl_b64 s[8:9], s[34:35], 1
	s_add_u32 s12, s2, s8
	s_addc_u32 s13, s3, s9
	s_load_dword s37, s[4:5], 0x8c
	s_add_u32 s8, s12, s24
	s_addc_u32 s9, s13, s25
	s_ashr_i32 s23, s22, 31
	s_lshl_b64 s[2:3], s[22:23], 1
	s_add_u32 s23, s8, s2
	s_addc_u32 s35, s9, s3
	s_waitcnt lgkmcnt(0)
	s_and_b32 s37, s37, 0xffff
	s_lshl_b32 s46, s37, 1
	s_lshl_b64 s[8:9], s[26:27], 1
	s_add_u32 s27, s30, s8
	s_addc_u32 s30, s31, s9
	s_add_u32 s27, s28, s27
	s_addc_u32 s28, s29, s30
	;; [unrolled: 2-line block ×6, first 2 shown]
	s_add_u32 s29, s24, s0
	v_lshlrev_b32_e32 v2, 1, v0
	s_addc_u32 s30, s25, s1
	s_mov_b64 s[12:13], 0
	s_movk_i32 s31, 0x7fff
	v_mov_b32_e32 v1, 0x7fc00000
	v_mov_b32_e32 v3, 0x7fc0
	;; [unrolled: 1-line block ×3, first 2 shown]
.LBB50_9:                               ; =>This Inner Loop Header: Depth=1
	v_mov_b32_e32 v7, s28
	v_add_co_u32_e32 v10, vcc, s27, v2
	v_mov_b32_e32 v5, s33
	v_mov_b32_e32 v9, s45
	v_add_co_u32_e64 v4, s[0:1], s44, v2
	v_mov_b32_e32 v14, s17
	v_add_co_u32_e64 v6, s[2:3], s16, v2
	v_add_co_u32_e64 v12, s[8:9], s7, v2
	v_addc_co_u32_e32 v11, vcc, 0, v7, vcc
	v_addc_co_u32_e64 v13, s[8:9], 0, v5, s[8:9]
	v_addc_co_u32_e64 v5, vcc, 0, v9, s[0:1]
	v_addc_co_u32_e64 v7, vcc, 0, v14, s[2:3]
	global_load_ushort v9, v[10:11], off
	global_load_ushort v18, v[12:13], off
	;; [unrolled: 1-line block ×4, first 2 shown]
	s_add_u32 s7, s7, s46
	s_addc_u32 s33, s33, 0
	s_add_u32 s27, s27, s46
	s_addc_u32 s28, s28, 0
	s_add_u32 s16, s16, s46
	s_addc_u32 s17, s17, 0
	s_add_u32 s44, s44, s46
	s_addc_u32 s45, s45, 0
	v_add_co_u32_e32 v10, vcc, s29, v2
	s_add_u32 s29, s29, s46
	v_mov_b32_e32 v11, s35
	v_mov_b32_e32 v15, s30
	v_add_co_u32_e64 v12, s[0:1], s23, v2
	s_addc_u32 s30, s30, 0
	v_add_u32_e32 v8, s37, v8
	v_addc_co_u32_e64 v13, s[0:1], 0, v11, s[0:1]
	v_addc_co_u32_e32 v11, vcc, 0, v15, vcc
	s_add_u32 s23, s23, s46
	v_cmp_le_i32_e32 vcc, s26, v8
	s_addc_u32 s35, s35, 0
	s_or_b64 s[12:13], vcc, s[12:13]
	s_waitcnt vmcnt(3)
	v_cvt_f32_f16_e32 v19, v9
	s_waitcnt vmcnt(2)
	v_cvt_f32_f16_e32 v20, v18
	s_waitcnt vmcnt(1)
	v_lshlrev_b32_e32 v15, 16, v14
	s_waitcnt vmcnt(0)
	v_lshlrev_b32_e32 v14, 16, v16
	v_bfe_u32 v22, v19, 16, 1
	v_bfe_u32 v21, v20, 16, 1
	v_add3_u32 v19, v19, v22, s31
	v_add3_u32 v20, v20, v21, s31
	v_and_b32_e32 v20, 0xffff0000, v20
	v_and_b32_e32 v19, 0xffff0000, v19
	v_cmp_o_f16_e32 vcc, v18, v18
	v_cmp_o_f16_e64 s[0:1], v9, v9
	v_mov_b32_e32 v16, v15
	v_mov_b32_e32 v17, v14
	v_cndmask_b32_e64 v19, v1, v19, s[0:1]
	v_cndmask_b32_e32 v18, v1, v20, vcc
	v_pk_mul_f32 v[16:17], v[18:19], v[16:17]
	v_pk_mul_f32 v[14:15], v[18:19], v[14:15]
	v_bfe_u32 v9, v16, 16, 1
	v_bfe_u32 v18, v17, 16, 1
	v_bfe_u32 v19, v14, 16, 1
	v_bfe_u32 v20, v15, 16, 1
	v_add3_u32 v18, v17, v18, s31
	v_add3_u32 v9, v16, v9, s31
	;; [unrolled: 1-line block ×4, first 2 shown]
	v_and_b32_e32 v9, 0xffff0000, v9
	v_and_b32_e32 v18, 0xffff0000, v18
	v_cmp_o_f32_e32 vcc, v16, v16
	v_cmp_o_f32_e64 s[8:9], v17, v17
	v_and_b32_e32 v16, 0xffff0000, v19
	v_and_b32_e32 v19, 0xffff0000, v20
	v_cmp_o_f32_e64 s[0:1], v15, v15
	v_cmp_o_f32_e64 s[2:3], v14, v14
	v_cndmask_b32_e64 v14, v1, v18, s[8:9]
	v_cndmask_b32_e32 v9, v1, v9, vcc
	v_cndmask_b32_e64 v15, v1, v19, s[0:1]
	v_cndmask_b32_e64 v16, v1, v16, s[2:3]
	v_sub_f32_e32 v9, v9, v14
	v_add_f32_e32 v14, v16, v15
	v_bfe_u32 v15, v9, 16, 1
	v_bfe_u32 v16, v14, 16, 1
	v_add3_u32 v15, v9, v15, s31
	v_add3_u32 v16, v14, v16, s31
	v_lshrrev_b32_e32 v15, 16, v15
	v_cmp_o_f32_e64 s[0:1], v9, v9
	v_lshrrev_b32_e32 v16, 16, v16
	v_cmp_o_f32_e32 vcc, v14, v14
	v_cndmask_b32_e64 v9, v3, v15, s[0:1]
	v_cndmask_b32_e32 v14, v3, v16, vcc
	global_store_short v[4:5], v9, off
	global_store_short v[6:7], v14, off
	global_store_short v[12:13], v9, off
	global_store_short v[10:11], v14, off
	s_andn2_b64 exec, exec, s[12:13]
	s_cbranch_execnz .LBB50_9
.LBB50_10:
	s_or_b64 exec, exec, s[38:39]
	v_cmp_gt_i32_e32 vcc, s22, v0
	s_and_saveexec_b64 s[0:1], vcc
	s_cbranch_execz .LBB50_13
; %bb.11:
	s_mul_i32 s0, s6, s15
	s_mul_hi_u32 s1, s6, s14
	s_add_i32 s1, s1, s0
	s_mul_i32 s0, s6, s14
	s_lshl_b64 s[0:1], s[0:1], 1
	s_add_u32 s2, s18, s0
	s_addc_u32 s6, s19, s1
	s_ashr_i32 s0, s20, 31
	s_mul_i32 s0, s10, s0
	s_add_i32 s0, s42, s0
	s_add_i32 s37, s0, s43
	s_lshl_b64 s[0:1], s[36:37], 1
	s_add_u32 s3, s24, s0
	s_addc_u32 s7, s25, s1
	s_ashr_i32 s0, s21, 31
	s_mul_i32 s40, s40, s0
	s_add_i32 s0, s41, s40
	s_load_dword s4, s[4:5], 0x8c
	s_add_i32 s35, s0, s11
	s_lshl_b64 s[0:1], s[34:35], 1
	s_add_u32 s3, s3, s0
	s_addc_u32 s5, s7, s1
	s_waitcnt lgkmcnt(0)
	s_and_b32 s4, s4, 0xffff
	s_mov_b64 s[0:1], 0
	v_mov_b32_e32 v2, s6
	v_mov_b32_e32 v3, s5
.LBB50_12:                              ; =>This Inner Loop Header: Depth=1
	v_ashrrev_i32_e32 v1, 31, v0
	v_lshlrev_b64 v[4:5], 1, v[0:1]
	v_add_co_u32_e32 v6, vcc, s2, v4
	v_addc_co_u32_e32 v7, vcc, v2, v5, vcc
	global_load_ushort v1, v[6:7], off
	v_add_co_u32_e32 v4, vcc, s3, v4
	v_addc_co_u32_e32 v5, vcc, v3, v5, vcc
	v_add_u32_e32 v0, s4, v0
	v_cmp_le_i32_e32 vcc, s22, v0
	s_or_b64 s[0:1], vcc, s[0:1]
	s_waitcnt vmcnt(0)
	global_store_short v[4:5], v1, off
	s_andn2_b64 exec, exec, s[0:1]
	s_cbranch_execnz .LBB50_12
.LBB50_13:
	s_endpgm
.LBB50_14:
                                        ; implicit-def: $sgpr10_sgpr11
	s_branch .LBB50_6
	.section	.rodata,"a",@progbits
	.p2align	6, 0x0
	.amdhsa_kernel _ZN4vllm38concat_and_cache_mla_rope_fused_kernelIN3c108BFloat16ENS1_4HalfELb1E14__hip_bfloat16S4_LNS_18Fp8KVCacheDataTypeE0EEEvPKlPT_S9_PKS8_PKT0_illlliPT3_S7_iiiiPKf
		.amdhsa_group_segment_fixed_size 0
		.amdhsa_private_segment_fixed_size 0
		.amdhsa_kernarg_size 384
		.amdhsa_user_sgpr_count 6
		.amdhsa_user_sgpr_private_segment_buffer 1
		.amdhsa_user_sgpr_dispatch_ptr 0
		.amdhsa_user_sgpr_queue_ptr 0
		.amdhsa_user_sgpr_kernarg_segment_ptr 1
		.amdhsa_user_sgpr_dispatch_id 0
		.amdhsa_user_sgpr_flat_scratch_init 0
		.amdhsa_user_sgpr_kernarg_preload_length 0
		.amdhsa_user_sgpr_kernarg_preload_offset 0
		.amdhsa_user_sgpr_private_segment_size 0
		.amdhsa_uses_dynamic_stack 0
		.amdhsa_system_sgpr_private_segment_wavefront_offset 0
		.amdhsa_system_sgpr_workgroup_id_x 1
		.amdhsa_system_sgpr_workgroup_id_y 0
		.amdhsa_system_sgpr_workgroup_id_z 0
		.amdhsa_system_sgpr_workgroup_info 0
		.amdhsa_system_vgpr_workitem_id 0
		.amdhsa_next_free_vgpr 23
		.amdhsa_next_free_sgpr 47
		.amdhsa_accum_offset 24
		.amdhsa_reserve_vcc 1
		.amdhsa_reserve_flat_scratch 0
		.amdhsa_float_round_mode_32 0
		.amdhsa_float_round_mode_16_64 0
		.amdhsa_float_denorm_mode_32 3
		.amdhsa_float_denorm_mode_16_64 3
		.amdhsa_dx10_clamp 1
		.amdhsa_ieee_mode 1
		.amdhsa_fp16_overflow 0
		.amdhsa_tg_split 0
		.amdhsa_exception_fp_ieee_invalid_op 0
		.amdhsa_exception_fp_denorm_src 0
		.amdhsa_exception_fp_ieee_div_zero 0
		.amdhsa_exception_fp_ieee_overflow 0
		.amdhsa_exception_fp_ieee_underflow 0
		.amdhsa_exception_fp_ieee_inexact 0
		.amdhsa_exception_int_div_zero 0
	.end_amdhsa_kernel
	.section	.text._ZN4vllm38concat_and_cache_mla_rope_fused_kernelIN3c108BFloat16ENS1_4HalfELb1E14__hip_bfloat16S4_LNS_18Fp8KVCacheDataTypeE0EEEvPKlPT_S9_PKS8_PKT0_illlliPT3_S7_iiiiPKf,"axG",@progbits,_ZN4vllm38concat_and_cache_mla_rope_fused_kernelIN3c108BFloat16ENS1_4HalfELb1E14__hip_bfloat16S4_LNS_18Fp8KVCacheDataTypeE0EEEvPKlPT_S9_PKS8_PKT0_illlliPT3_S7_iiiiPKf,comdat
.Lfunc_end50:
	.size	_ZN4vllm38concat_and_cache_mla_rope_fused_kernelIN3c108BFloat16ENS1_4HalfELb1E14__hip_bfloat16S4_LNS_18Fp8KVCacheDataTypeE0EEEvPKlPT_S9_PKS8_PKT0_illlliPT3_S7_iiiiPKf, .Lfunc_end50-_ZN4vllm38concat_and_cache_mla_rope_fused_kernelIN3c108BFloat16ENS1_4HalfELb1E14__hip_bfloat16S4_LNS_18Fp8KVCacheDataTypeE0EEEvPKlPT_S9_PKS8_PKT0_illlliPT3_S7_iiiiPKf
                                        ; -- End function
	.section	.AMDGPU.csdata,"",@progbits
; Kernel info:
; codeLenInByte = 2716
; NumSgprs: 51
; NumVgprs: 23
; NumAgprs: 0
; TotalNumVgprs: 23
; ScratchSize: 0
; MemoryBound: 0
; FloatMode: 240
; IeeeMode: 1
; LDSByteSize: 0 bytes/workgroup (compile time only)
; SGPRBlocks: 6
; VGPRBlocks: 2
; NumSGPRsForWavesPerEU: 51
; NumVGPRsForWavesPerEU: 23
; AccumOffset: 24
; Occupancy: 8
; WaveLimiterHint : 1
; COMPUTE_PGM_RSRC2:SCRATCH_EN: 0
; COMPUTE_PGM_RSRC2:USER_SGPR: 6
; COMPUTE_PGM_RSRC2:TRAP_HANDLER: 0
; COMPUTE_PGM_RSRC2:TGID_X_EN: 1
; COMPUTE_PGM_RSRC2:TGID_Y_EN: 0
; COMPUTE_PGM_RSRC2:TGID_Z_EN: 0
; COMPUTE_PGM_RSRC2:TIDIG_COMP_CNT: 0
; COMPUTE_PGM_RSRC3_GFX90A:ACCUM_OFFSET: 5
; COMPUTE_PGM_RSRC3_GFX90A:TG_SPLIT: 0
	.section	.text._ZN4vllm38concat_and_cache_mla_rope_fused_kernelIN3c108BFloat16ENS1_4HalfELb0E14__hip_bfloat16S4_LNS_18Fp8KVCacheDataTypeE0EEEvPKlPT_S9_PKS8_PKT0_illlliPT3_S7_iiiiPKf,"axG",@progbits,_ZN4vllm38concat_and_cache_mla_rope_fused_kernelIN3c108BFloat16ENS1_4HalfELb0E14__hip_bfloat16S4_LNS_18Fp8KVCacheDataTypeE0EEEvPKlPT_S9_PKS8_PKT0_illlliPT3_S7_iiiiPKf,comdat
	.protected	_ZN4vllm38concat_and_cache_mla_rope_fused_kernelIN3c108BFloat16ENS1_4HalfELb0E14__hip_bfloat16S4_LNS_18Fp8KVCacheDataTypeE0EEEvPKlPT_S9_PKS8_PKT0_illlliPT3_S7_iiiiPKf ; -- Begin function _ZN4vllm38concat_and_cache_mla_rope_fused_kernelIN3c108BFloat16ENS1_4HalfELb0E14__hip_bfloat16S4_LNS_18Fp8KVCacheDataTypeE0EEEvPKlPT_S9_PKS8_PKT0_illlliPT3_S7_iiiiPKf
	.globl	_ZN4vllm38concat_and_cache_mla_rope_fused_kernelIN3c108BFloat16ENS1_4HalfELb0E14__hip_bfloat16S4_LNS_18Fp8KVCacheDataTypeE0EEEvPKlPT_S9_PKS8_PKT0_illlliPT3_S7_iiiiPKf
	.p2align	8
	.type	_ZN4vllm38concat_and_cache_mla_rope_fused_kernelIN3c108BFloat16ENS1_4HalfELb0E14__hip_bfloat16S4_LNS_18Fp8KVCacheDataTypeE0EEEvPKlPT_S9_PKS8_PKT0_illlliPT3_S7_iiiiPKf,@function
_ZN4vllm38concat_and_cache_mla_rope_fused_kernelIN3c108BFloat16ENS1_4HalfELb0E14__hip_bfloat16S4_LNS_18Fp8KVCacheDataTypeE0EEEvPKlPT_S9_PKS8_PKT0_illlliPT3_S7_iiiiPKf: ; @_ZN4vllm38concat_and_cache_mla_rope_fused_kernelIN3c108BFloat16ENS1_4HalfELb0E14__hip_bfloat16S4_LNS_18Fp8KVCacheDataTypeE0EEEvPKlPT_S9_PKS8_PKT0_illlliPT3_S7_iiiiPKf
; %bb.0:
	s_load_dwordx2 s[2:3], s[4:5], 0x60
	s_mov_b32 s7, 0
	s_lshl_b64 s[0:1], s[6:7], 3
	s_waitcnt lgkmcnt(0)
	s_add_u32 s2, s2, s0
	s_addc_u32 s3, s3, s1
	s_load_dwordx2 s[24:25], s[2:3], 0x0
	s_waitcnt lgkmcnt(0)
	v_cmp_lt_i64_e64 s[2:3], s[24:25], 0
	s_and_b64 vcc, exec, s[2:3]
	s_cbranch_vccnz .LBB51_13
; %bb.1:
	s_load_dword s7, s[4:5], 0x28
	s_load_dwordx2 s[2:3], s[4:5], 0x0
	s_load_dwordx4 s[16:19], s[4:5], 0x10
	v_lshlrev_b32_e32 v1, 1, v0
	s_waitcnt lgkmcnt(0)
	s_ashr_i32 s26, s7, 31
	s_add_u32 s0, s2, s0
	s_addc_u32 s1, s3, s1
	s_load_dwordx2 s[20:21], s[0:1], 0x0
	s_load_dwordx2 s[22:23], s[4:5], 0x20
	s_load_dwordx8 s[8:15], s[4:5], 0x30
	s_load_dwordx2 s[2:3], s[4:5], 0x58
	s_load_dword s28, s[4:5], 0x50
	s_waitcnt lgkmcnt(0)
	s_mul_i32 s0, s20, s26
	s_mul_hi_u32 s1, s20, s7
	s_mul_i32 s21, s21, s7
	s_add_i32 s0, s1, s0
	s_add_i32 s27, s0, s21
	s_lshr_b32 s0, s7, 31
	s_mul_i32 s26, s20, s7
	s_add_i32 s7, s7, s0
	s_ashr_i32 s20, s7, 1
	s_mul_i32 s7, s20, s28
	v_cmp_gt_i32_e32 vcc, s7, v0
	s_and_saveexec_b64 s[28:29], vcc
	s_cbranch_execz .LBB51_4
; %bb.2:
	s_lshl_b64 s[0:1], s[26:27], 1
	s_add_u32 s33, s22, s0
	s_addc_u32 s30, s23, s1
	s_load_dwordx2 s[0:1], s[4:5], 0x8
	s_mul_i32 s9, s6, s9
	s_mul_hi_u32 s31, s6, s8
	s_add_i32 s9, s31, s9
	s_load_dword s31, s[4:5], 0x8c
	s_mul_i32 s8, s6, s8
	s_ashr_i32 s21, s20, 31
	s_lshl_b64 s[8:9], s[8:9], 1
	s_waitcnt lgkmcnt(0)
	s_add_u32 s34, s0, s8
	s_addc_u32 s0, s1, s9
	s_abs_i32 s35, s20
	v_cvt_f32_u32_e32 v2, s35
	s_sub_i32 s1, 0, s35
	s_and_b32 s36, s31, 0xffff
	v_mov_b32_e32 v5, s30
	v_rcp_iflag_f32_e32 v2, v2
	s_lshl_b64 s[30:31], s[20:21], 1
	s_sub_i32 s37, 0, s20
	s_lshl_b32 s39, s36, 1
	v_mul_f32_e32 v2, 0x4f7ffffe, v2
	v_cvt_u32_f32_e32 v2, v2
	s_mov_b64 s[8:9], 0
	s_movk_i32 s40, 0x7fff
	v_mov_b32_e32 v6, s31
	v_mul_lo_u32 v3, s1, v2
	v_mul_hi_u32 v3, v2, v3
	s_lshl_b32 s1, s20, 1
	v_add_u32_e32 v3, v2, v3
	s_sub_i32 s38, 0, s1
	v_mov_b32_e32 v7, s0
	v_mov_b32_e32 v8, 0x7fc00000
	;; [unrolled: 1-line block ×3, first 2 shown]
	s_mov_b32 s31, 0x5040100
	v_mov_b32_e32 v2, v1
	v_mov_b32_e32 v4, v0
.LBB51_3:                               ; =>This Inner Loop Header: Depth=1
	v_sub_u32_e32 v11, 0, v4
	v_max_i32_e32 v11, v4, v11
	v_mul_hi_u32 v12, v11, v3
	v_mul_lo_u32 v13, v12, s35
	v_sub_u32_e32 v11, v11, v13
	v_add_u32_e32 v14, 1, v12
	v_cmp_le_u32_e32 vcc, s35, v11
	v_subrev_u32_e32 v13, s35, v11
	v_cndmask_b32_e32 v12, v12, v14, vcc
	v_cndmask_b32_e32 v11, v11, v13, vcc
	v_ashrrev_i32_e32 v10, 31, v4
	v_add_u32_e32 v13, 1, v12
	v_cmp_le_u32_e32 vcc, s35, v11
	v_xor_b32_e32 v10, s21, v10
	v_cndmask_b32_e32 v11, v12, v13, vcc
	v_xor_b32_e32 v11, v11, v10
	v_sub_u32_e32 v14, v11, v10
	v_mad_u64_u32 v[10:11], s[0:1], s37, v14, v[4:5]
	v_ashrrev_i32_e32 v11, 31, v10
	v_lshlrev_b64 v[10:11], 1, v[10:11]
	v_ashrrev_i32_e32 v16, 31, v14
	v_add_co_u32_e32 v10, vcc, s33, v10
	v_mul_lo_u32 v17, v14, s11
	v_mad_u64_u32 v[12:13], s[0:1], v14, s10, 0
	v_mul_lo_u32 v16, v16, s10
	v_addc_co_u32_e32 v11, vcc, v5, v11, vcc
	v_add3_u32 v13, v13, v17, v16
	v_add_co_u32_e32 v16, vcc, s30, v10
	v_addc_co_u32_e32 v17, vcc, v11, v6, vcc
	global_load_ushort v18, v[10:11], off
	global_load_ushort v19, v[16:17], off
	v_mad_u64_u32 v[14:15], s[0:1], s38, v14, v[2:3]
	v_lshlrev_b64 v[12:13], 1, v[12:13]
	v_ashrrev_i32_e32 v15, 31, v14
	v_add_co_u32_e32 v12, vcc, s34, v12
	v_lshlrev_b64 v[14:15], 1, v[14:15]
	v_addc_co_u32_e32 v13, vcc, v7, v13, vcc
	v_add_co_u32_e32 v10, vcc, v12, v14
	v_addc_co_u32_e32 v11, vcc, v13, v15, vcc
	global_load_dword v12, v[10:11], off
	v_add_u32_e32 v4, s36, v4
	v_cmp_le_i32_e32 vcc, s7, v4
	s_or_b64 s[8:9], vcc, s[8:9]
	v_add_u32_e32 v2, s39, v2
	s_waitcnt vmcnt(2)
	v_cvt_f32_f16_e32 v14, v18
	s_waitcnt vmcnt(1)
	v_cvt_f32_f16_e32 v15, v19
	v_cmp_o_f16_e32 vcc, v18, v18
	v_bfe_u32 v16, v14, 16, 1
	v_add3_u32 v14, v14, v16, s40
	v_bfe_u32 v16, v15, 16, 1
	v_and_b32_e32 v14, 0xffff0000, v14
	v_add3_u32 v15, v15, v16, s40
	v_and_b32_e32 v15, 0xffff0000, v15
	v_cndmask_b32_e32 v14, v8, v14, vcc
	v_cmp_o_f16_e32 vcc, v19, v19
	v_cndmask_b32_e32 v16, v8, v15, vcc
	s_waitcnt vmcnt(0)
	v_and_b32_e32 v13, 0xffff0000, v12
	v_lshlrev_b32_e32 v12, 16, v12
	v_pk_mul_f32 v[14:15], v[14:15], v[12:13] op_sel_hi:[0,1]
	v_bfe_u32 v17, v14, 16, 1
	v_bfe_u32 v18, v15, 16, 1
	v_pk_mul_f32 v[12:13], v[16:17], v[12:13] op_sel_hi:[0,1]
	v_add3_u32 v16, v15, v18, s40
	v_add3_u32 v17, v14, v17, s40
	v_bfe_u32 v18, v13, 16, 1
	v_bfe_u32 v19, v12, 16, 1
	v_and_b32_e32 v17, 0xffff0000, v17
	v_and_b32_e32 v16, 0xffff0000, v16
	v_add3_u32 v19, v12, v19, s40
	v_add3_u32 v18, v13, v18, s40
	v_cmp_o_f32_e32 vcc, v14, v14
	v_cmp_o_f32_e64 s[0:1], v15, v15
	v_and_b32_e32 v18, 0xffff0000, v18
	v_and_b32_e32 v19, 0xffff0000, v19
	v_cndmask_b32_e64 v15, v8, v16, s[0:1]
	v_cndmask_b32_e32 v14, v8, v17, vcc
	v_cmp_o_f32_e32 vcc, v13, v13
	v_cmp_o_f32_e64 s[0:1], v12, v12
	v_cndmask_b32_e64 v13, v8, v19, s[0:1]
	v_cndmask_b32_e32 v12, v8, v18, vcc
	v_pk_add_f32 v[16:17], v[14:15], v[12:13] neg_lo:[0,1] neg_hi:[0,1]
	v_pk_add_f32 v[12:13], v[14:15], v[12:13]
	v_bfe_u32 v12, v16, 16, 1
	v_bfe_u32 v14, v13, 16, 1
	v_add3_u32 v14, v13, v14, s40
	v_add3_u32 v12, v16, v12, s40
	v_lshrrev_b32_e32 v12, 16, v12
	v_lshrrev_b32_e32 v14, 16, v14
	v_cmp_o_f32_e32 vcc, v13, v13
	v_cmp_o_f32_e64 s[0:1], v16, v16
	v_cndmask_b32_e64 v12, v9, v12, s[0:1]
	v_cndmask_b32_e32 v13, v9, v14, vcc
	v_perm_b32 v12, v13, v12, s31
	global_store_dword v[10:11], v12, off
	s_andn2_b64 exec, exec, s[8:9]
	s_cbranch_execnz .LBB51_3
.LBB51_4:
	s_or_b64 exec, exec, s[28:29]
	s_load_dwordx4 s[8:11], s[4:5], 0x68
	s_waitcnt lgkmcnt(0)
	s_ashr_i32 s31, s11, 31
	s_mov_b32 s30, s11
	s_or_b64 s[0:1], s[24:25], s[30:31]
	s_mov_b32 s0, 0
	s_cmp_lg_u64 s[0:1], 0
	s_cbranch_scc0 .LBB51_14
; %bb.5:
	s_add_u32 s0, s30, s31
	s_mov_b32 s28, s31
	s_mov_b32 s29, s31
	s_addc_u32 s1, s31, s31
	s_xor_b64 s[36:37], s[0:1], s[28:29]
	v_cvt_f32_u32_e32 v2, s36
	v_cvt_f32_u32_e32 v3, s37
	s_sub_u32 s0, 0, s36
	s_subb_u32 s1, 0, s37
	v_madmk_f32 v2, v3, 0x4f800000, v2
	v_rcp_f32_e32 v2, v2
	v_mul_f32_e32 v2, 0x5f7ffffc, v2
	v_mul_f32_e32 v3, 0x2f800000, v2
	v_trunc_f32_e32 v3, v3
	v_madmk_f32 v2, v3, 0xcf800000, v2
	v_cvt_u32_f32_e32 v3, v3
	v_cvt_u32_f32_e32 v2, v2
	v_readfirstlane_b32 s7, v3
	v_readfirstlane_b32 s11, v2
	s_mul_i32 s21, s0, s7
	s_mul_hi_u32 s38, s0, s11
	s_mul_i32 s33, s1, s11
	s_add_i32 s21, s38, s21
	s_add_i32 s21, s21, s33
	s_mul_i32 s39, s0, s11
	s_mul_hi_u32 s33, s11, s21
	s_mul_i32 s38, s11, s21
	s_mul_hi_u32 s11, s11, s39
	s_add_u32 s11, s11, s38
	s_addc_u32 s33, 0, s33
	s_mul_hi_u32 s40, s7, s39
	s_mul_i32 s39, s7, s39
	s_add_u32 s11, s11, s39
	s_mul_hi_u32 s38, s7, s21
	s_addc_u32 s11, s33, s40
	s_addc_u32 s33, s38, 0
	s_mul_i32 s21, s7, s21
	s_add_u32 s11, s11, s21
	s_addc_u32 s21, 0, s33
	v_add_co_u32_e32 v2, vcc, s11, v2
	s_cmp_lg_u64 vcc, 0
	s_addc_u32 s7, s7, s21
	v_readfirstlane_b32 s21, v2
	s_mul_i32 s11, s0, s7
	s_mul_hi_u32 s33, s0, s21
	s_add_i32 s11, s33, s11
	s_mul_i32 s1, s1, s21
	s_add_i32 s11, s11, s1
	s_mul_i32 s0, s0, s21
	s_mul_hi_u32 s33, s7, s0
	s_mul_i32 s38, s7, s0
	s_mul_i32 s40, s21, s11
	s_mul_hi_u32 s0, s21, s0
	s_mul_hi_u32 s39, s21, s11
	s_add_u32 s0, s0, s40
	s_addc_u32 s21, 0, s39
	s_add_u32 s0, s0, s38
	s_mul_hi_u32 s1, s7, s11
	s_addc_u32 s0, s21, s33
	s_addc_u32 s1, s1, 0
	s_mul_i32 s11, s7, s11
	s_add_u32 s0, s0, s11
	s_addc_u32 s1, 0, s1
	v_add_co_u32_e32 v2, vcc, s0, v2
	s_cmp_lg_u64 vcc, 0
	s_addc_u32 s7, s7, s1
	s_ashr_i32 s38, s25, 31
	s_add_u32 s0, s24, s38
	s_mov_b32 s39, s38
	s_addc_u32 s1, s25, s38
	s_xor_b64 s[40:41], s[0:1], s[38:39]
	v_readfirstlane_b32 s11, v2
	s_mul_i32 s1, s40, s7
	s_mul_hi_u32 s21, s40, s11
	s_mul_hi_u32 s0, s40, s7
	s_add_u32 s1, s21, s1
	s_addc_u32 s0, 0, s0
	s_mul_hi_u32 s33, s41, s11
	s_mul_i32 s11, s41, s11
	s_add_u32 s1, s1, s11
	s_mul_hi_u32 s21, s41, s7
	s_addc_u32 s0, s0, s33
	s_addc_u32 s1, s21, 0
	s_mul_i32 s7, s41, s7
	s_add_u32 s7, s0, s7
	s_addc_u32 s11, 0, s1
	s_mul_i32 s0, s36, s11
	s_mul_hi_u32 s1, s36, s7
	s_add_i32 s0, s1, s0
	s_mul_i32 s1, s37, s7
	s_add_i32 s21, s0, s1
	s_mul_i32 s1, s36, s7
	v_mov_b32_e32 v2, s1
	s_sub_i32 s0, s41, s21
	v_sub_co_u32_e32 v2, vcc, s40, v2
	s_cmp_lg_u64 vcc, 0
	s_subb_u32 s33, s0, s37
	v_subrev_co_u32_e64 v3, s[0:1], s36, v2
	s_cmp_lg_u64 s[0:1], 0
	s_subb_u32 s0, s33, 0
	s_cmp_ge_u32 s0, s37
	v_readfirstlane_b32 s33, v3
	s_cselect_b32 s1, -1, 0
	s_cmp_ge_u32 s33, s36
	s_cselect_b32 s33, -1, 0
	s_cmp_eq_u32 s0, s37
	s_cselect_b32 s0, s33, s1
	s_add_u32 s1, s7, 1
	s_addc_u32 s33, s11, 0
	s_add_u32 s40, s7, 2
	s_addc_u32 s42, s11, 0
	s_cmp_lg_u32 s0, 0
	s_cselect_b32 s0, s40, s1
	s_cselect_b32 s1, s42, s33
	s_cmp_lg_u64 vcc, 0
	s_subb_u32 s21, s41, s21
	s_cmp_ge_u32 s21, s37
	v_readfirstlane_b32 s40, v2
	s_cselect_b32 s33, -1, 0
	s_cmp_ge_u32 s40, s36
	s_cselect_b32 s36, -1, 0
	s_cmp_eq_u32 s21, s37
	s_cselect_b32 s21, s36, s33
	s_cmp_lg_u32 s21, 0
	s_cselect_b32 s1, s1, s11
	s_cselect_b32 s0, s0, s7
	s_xor_b64 s[28:29], s[38:39], s[28:29]
	s_xor_b64 s[0:1], s[0:1], s[28:29]
	s_sub_u32 s28, s0, s28
	s_subb_u32 s29, s1, s29
	s_cbranch_execnz .LBB51_7
.LBB51_6:
	v_cvt_f32_u32_e32 v2, s30
	s_sub_i32 s0, 0, s30
	s_mov_b32 s29, 0
	v_rcp_iflag_f32_e32 v2, v2
	v_mul_f32_e32 v2, 0x4f7ffffe, v2
	v_cvt_u32_f32_e32 v2, v2
	v_readfirstlane_b32 s1, v2
	s_mul_i32 s0, s0, s1
	s_mul_hi_u32 s0, s1, s0
	s_add_i32 s1, s1, s0
	s_mul_hi_u32 s0, s24, s1
	s_mul_i32 s7, s0, s30
	s_sub_i32 s7, s24, s7
	s_add_i32 s1, s0, 1
	s_sub_i32 s11, s7, s30
	s_cmp_ge_u32 s7, s30
	s_cselect_b32 s0, s1, s0
	s_cselect_b32 s7, s11, s7
	s_add_i32 s1, s0, 1
	s_cmp_ge_u32 s7, s30
	s_cselect_b32 s28, s1, s0
.LBB51_7:
	s_mul_i32 s0, s28, s31
	s_mul_hi_u32 s1, s28, s30
	s_add_i32 s0, s1, s0
	s_mul_i32 s1, s29, s30
	s_add_i32 s0, s0, s1
	s_mul_i32 s1, s28, s30
	s_sub_u32 s33, s24, s1
	s_subb_u32 s7, s25, s0
	v_cmp_gt_i32_e32 vcc, s20, v0
	s_mul_hi_u32 s36, s28, s8
	s_mul_i32 s37, s29, s8
	s_mul_i32 s30, s28, s8
	s_mul_hi_u32 s29, s33, s9
	s_mul_i32 s7, s7, s9
	s_mul_i32 s24, s33, s9
	s_and_saveexec_b64 s[34:35], vcc
	s_cbranch_execz .LBB51_10
; %bb.8:
	s_load_dword s0, s[4:5], 0x8c
	s_ashr_i32 s21, s20, 31
	s_ashr_i32 s25, s8, 31
	;; [unrolled: 1-line block ×4, first 2 shown]
	s_waitcnt lgkmcnt(0)
	s_and_b32 s38, s0, 0xffff
	s_lshl_b64 s[0:1], s[26:27], 1
	s_add_u32 s0, s22, s0
	s_addc_u32 s1, s23, s1
	v_mov_b32_e32 v3, s1
	v_add_co_u32_e32 v2, vcc, s0, v1
	s_mul_i32 s0, s13, s6
	s_mul_hi_u32 s1, s12, s6
	s_add_i32 s1, s1, s0
	s_mul_i32 s0, s12, s6
	s_lshl_b32 s26, s38, 1
	s_lshl_b64 s[22:23], s[20:21], 1
	s_lshl_b64 s[0:1], s[0:1], 1
	v_addc_co_u32_e32 v3, vcc, 0, v3, vcc
	v_lshlrev_b32_e32 v5, 2, v0
	s_add_u32 s0, s16, s0
	v_add_co_u32_e32 v1, vcc, s0, v5
	s_mul_i32 s0, s28, s25
	s_mul_i32 s12, s33, s39
	s_addc_u32 s1, s17, s1
	s_add_i32 s0, s36, s0
	s_add_i32 s12, s29, s12
	;; [unrolled: 1-line block ×4, first 2 shown]
	v_mov_b32_e32 v4, s1
	s_lshl_b32 s21, s38, 2
	s_lshl_b64 s[0:1], s[30:31], 1
	s_lshl_b64 s[12:13], s[24:25], 1
	s_add_u32 s12, s0, s12
	s_addc_u32 s13, s1, s13
	s_lshl_b64 s[0:1], s[10:11], 1
	s_add_u32 s0, s2, s0
	s_addc_u32 s1, s3, s1
	s_add_u32 s0, s0, s12
	v_addc_co_u32_e32 v4, vcc, 0, v4, vcc
	s_addc_u32 s1, s1, s13
	s_mov_b32 s27, 0
	v_mov_b32_e32 v6, s1
	v_add_co_u32_e32 v5, vcc, s0, v5
	v_addc_co_u32_e32 v6, vcc, 0, v6, vcc
	s_mov_b64 s[12:13], 0
	s_movk_i32 s11, 0x7fff
	v_mov_b32_e32 v7, s23
	v_mov_b32_e32 v8, 0x7fc00000
	;; [unrolled: 1-line block ×3, first 2 shown]
	s_mov_b32 s23, 0x5040100
	v_mov_b32_e32 v10, s27
	s_mov_b64 s[16:17], 0
	v_mov_b32_e32 v11, v0
.LBB51_9:                               ; =>This Inner Loop Header: Depth=1
	global_load_ushort v18, v[2:3], off
	v_add_co_u32_e32 v12, vcc, s22, v2
	v_addc_co_u32_e32 v13, vcc, v3, v7, vcc
	global_load_ushort v19, v[12:13], off
	v_mov_b32_e32 v16, s17
	v_add_co_u32_e32 v14, vcc, s16, v1
	v_addc_co_u32_e32 v15, vcc, v4, v16, vcc
	global_load_dword v20, v[14:15], off
	v_add_co_u32_e32 v2, vcc, s26, v2
	v_addc_co_u32_e32 v3, vcc, v3, v10, vcc
	v_add_co_u32_e32 v12, vcc, s16, v5
	v_add_u32_e32 v11, s38, v11
	s_add_u32 s16, s16, s21
	v_addc_co_u32_e32 v13, vcc, v6, v16, vcc
	s_addc_u32 s17, s17, 0
	v_cmp_le_i32_e32 vcc, s20, v11
	s_or_b64 s[12:13], vcc, s[12:13]
	s_waitcnt vmcnt(2)
	v_cvt_f32_f16_e32 v21, v18
	v_cmp_o_f16_e32 vcc, v18, v18
	s_waitcnt vmcnt(1)
	v_cvt_f32_f16_e32 v22, v19
	s_waitcnt vmcnt(0)
	v_and_b32_e32 v17, 0xffff0000, v20
	v_lshlrev_b32_e32 v16, 16, v20
	v_bfe_u32 v20, v21, 16, 1
	v_add3_u32 v20, v21, v20, s11
	v_bfe_u32 v21, v22, 16, 1
	v_and_b32_e32 v20, 0xffff0000, v20
	v_add3_u32 v21, v22, v21, s11
	v_cndmask_b32_e32 v18, v8, v20, vcc
	v_and_b32_e32 v21, 0xffff0000, v21
	v_cmp_o_f16_e32 vcc, v19, v19
	v_pk_mul_f32 v[18:19], v[18:19], v[16:17] op_sel_hi:[0,1]
	v_cndmask_b32_e32 v20, v8, v21, vcc
	v_bfe_u32 v21, v18, 16, 1
	v_bfe_u32 v22, v19, 16, 1
	v_pk_mul_f32 v[16:17], v[20:21], v[16:17] op_sel_hi:[0,1]
	v_add3_u32 v20, v19, v22, s11
	v_add3_u32 v21, v18, v21, s11
	v_bfe_u32 v22, v17, 16, 1
	v_bfe_u32 v23, v16, 16, 1
	v_and_b32_e32 v21, 0xffff0000, v21
	v_and_b32_e32 v20, 0xffff0000, v20
	v_add3_u32 v23, v16, v23, s11
	v_add3_u32 v22, v17, v22, s11
	v_cmp_o_f32_e32 vcc, v18, v18
	v_cmp_o_f32_e64 s[0:1], v19, v19
	v_and_b32_e32 v22, 0xffff0000, v22
	v_and_b32_e32 v23, 0xffff0000, v23
	v_cndmask_b32_e64 v19, v8, v20, s[0:1]
	v_cndmask_b32_e32 v18, v8, v21, vcc
	v_cmp_o_f32_e32 vcc, v17, v17
	v_cmp_o_f32_e64 s[0:1], v16, v16
	v_cndmask_b32_e64 v17, v8, v23, s[0:1]
	v_cndmask_b32_e32 v16, v8, v22, vcc
	v_pk_add_f32 v[20:21], v[18:19], v[16:17] neg_lo:[0,1] neg_hi:[0,1]
	v_pk_add_f32 v[16:17], v[18:19], v[16:17]
	v_bfe_u32 v16, v20, 16, 1
	v_bfe_u32 v18, v17, 16, 1
	v_add3_u32 v18, v17, v18, s11
	v_add3_u32 v16, v20, v16, s11
	v_lshrrev_b32_e32 v16, 16, v16
	v_lshrrev_b32_e32 v18, 16, v18
	v_cmp_o_f32_e32 vcc, v17, v17
	v_cmp_o_f32_e64 s[0:1], v20, v20
	v_cndmask_b32_e64 v16, v9, v16, s[0:1]
	v_cndmask_b32_e32 v17, v9, v18, vcc
	v_perm_b32 v16, v17, v16, s23
	global_store_dword v[14:15], v16, off
	global_store_dword v[12:13], v16, off
	s_andn2_b64 exec, exec, s[12:13]
	s_cbranch_execnz .LBB51_9
.LBB51_10:
	s_or_b64 exec, exec, s[34:35]
	v_cmp_gt_i32_e32 vcc, s10, v0
	s_and_saveexec_b64 s[0:1], vcc
	s_cbranch_execz .LBB51_13
; %bb.11:
	s_mul_i32 s0, s6, s15
	s_mul_hi_u32 s1, s6, s14
	s_add_i32 s1, s1, s0
	s_mul_i32 s0, s6, s14
	s_lshl_b64 s[0:1], s[0:1], 1
	s_add_u32 s6, s18, s0
	s_addc_u32 s11, s19, s1
	s_ashr_i32 s0, s8, 31
	s_mul_i32 s0, s28, s0
	s_add_i32 s0, s36, s0
	s_add_i32 s31, s0, s37
	s_lshl_b64 s[0:1], s[30:31], 1
	s_add_u32 s2, s2, s0
	s_addc_u32 s3, s3, s1
	s_ashr_i32 s0, s9, 31
	s_mul_i32 s33, s33, s0
	s_add_i32 s0, s29, s33
	s_load_dword s4, s[4:5], 0x8c
	s_add_i32 s25, s0, s7
	s_lshl_b64 s[0:1], s[24:25], 1
	s_add_u32 s2, s2, s0
	s_addc_u32 s5, s3, s1
	s_waitcnt lgkmcnt(0)
	s_and_b32 s3, s4, 0xffff
	s_mov_b64 s[0:1], 0
	v_mov_b32_e32 v2, s11
	v_mov_b32_e32 v3, s5
.LBB51_12:                              ; =>This Inner Loop Header: Depth=1
	v_ashrrev_i32_e32 v1, 31, v0
	v_lshlrev_b64 v[4:5], 1, v[0:1]
	v_add_co_u32_e32 v6, vcc, s6, v4
	v_addc_co_u32_e32 v7, vcc, v2, v5, vcc
	global_load_ushort v1, v[6:7], off
	v_add_co_u32_e32 v4, vcc, s2, v4
	v_addc_co_u32_e32 v5, vcc, v3, v5, vcc
	v_add_u32_e32 v0, s3, v0
	v_cmp_le_i32_e32 vcc, s10, v0
	s_or_b64 s[0:1], vcc, s[0:1]
	s_waitcnt vmcnt(0)
	global_store_short v[4:5], v1, off
	s_andn2_b64 exec, exec, s[0:1]
	s_cbranch_execnz .LBB51_12
.LBB51_13:
	s_endpgm
.LBB51_14:
                                        ; implicit-def: $sgpr28_sgpr29
	s_branch .LBB51_6
	.section	.rodata,"a",@progbits
	.p2align	6, 0x0
	.amdhsa_kernel _ZN4vllm38concat_and_cache_mla_rope_fused_kernelIN3c108BFloat16ENS1_4HalfELb0E14__hip_bfloat16S4_LNS_18Fp8KVCacheDataTypeE0EEEvPKlPT_S9_PKS8_PKT0_illlliPT3_S7_iiiiPKf
		.amdhsa_group_segment_fixed_size 0
		.amdhsa_private_segment_fixed_size 0
		.amdhsa_kernarg_size 384
		.amdhsa_user_sgpr_count 6
		.amdhsa_user_sgpr_private_segment_buffer 1
		.amdhsa_user_sgpr_dispatch_ptr 0
		.amdhsa_user_sgpr_queue_ptr 0
		.amdhsa_user_sgpr_kernarg_segment_ptr 1
		.amdhsa_user_sgpr_dispatch_id 0
		.amdhsa_user_sgpr_flat_scratch_init 0
		.amdhsa_user_sgpr_kernarg_preload_length 0
		.amdhsa_user_sgpr_kernarg_preload_offset 0
		.amdhsa_user_sgpr_private_segment_size 0
		.amdhsa_uses_dynamic_stack 0
		.amdhsa_system_sgpr_private_segment_wavefront_offset 0
		.amdhsa_system_sgpr_workgroup_id_x 1
		.amdhsa_system_sgpr_workgroup_id_y 0
		.amdhsa_system_sgpr_workgroup_id_z 0
		.amdhsa_system_sgpr_workgroup_info 0
		.amdhsa_system_vgpr_workitem_id 0
		.amdhsa_next_free_vgpr 24
		.amdhsa_next_free_sgpr 43
		.amdhsa_accum_offset 24
		.amdhsa_reserve_vcc 1
		.amdhsa_reserve_flat_scratch 0
		.amdhsa_float_round_mode_32 0
		.amdhsa_float_round_mode_16_64 0
		.amdhsa_float_denorm_mode_32 3
		.amdhsa_float_denorm_mode_16_64 3
		.amdhsa_dx10_clamp 1
		.amdhsa_ieee_mode 1
		.amdhsa_fp16_overflow 0
		.amdhsa_tg_split 0
		.amdhsa_exception_fp_ieee_invalid_op 0
		.amdhsa_exception_fp_denorm_src 0
		.amdhsa_exception_fp_ieee_div_zero 0
		.amdhsa_exception_fp_ieee_overflow 0
		.amdhsa_exception_fp_ieee_underflow 0
		.amdhsa_exception_fp_ieee_inexact 0
		.amdhsa_exception_int_div_zero 0
	.end_amdhsa_kernel
	.section	.text._ZN4vllm38concat_and_cache_mla_rope_fused_kernelIN3c108BFloat16ENS1_4HalfELb0E14__hip_bfloat16S4_LNS_18Fp8KVCacheDataTypeE0EEEvPKlPT_S9_PKS8_PKT0_illlliPT3_S7_iiiiPKf,"axG",@progbits,_ZN4vllm38concat_and_cache_mla_rope_fused_kernelIN3c108BFloat16ENS1_4HalfELb0E14__hip_bfloat16S4_LNS_18Fp8KVCacheDataTypeE0EEEvPKlPT_S9_PKS8_PKT0_illlliPT3_S7_iiiiPKf,comdat
.Lfunc_end51:
	.size	_ZN4vllm38concat_and_cache_mla_rope_fused_kernelIN3c108BFloat16ENS1_4HalfELb0E14__hip_bfloat16S4_LNS_18Fp8KVCacheDataTypeE0EEEvPKlPT_S9_PKS8_PKT0_illlliPT3_S7_iiiiPKf, .Lfunc_end51-_ZN4vllm38concat_and_cache_mla_rope_fused_kernelIN3c108BFloat16ENS1_4HalfELb0E14__hip_bfloat16S4_LNS_18Fp8KVCacheDataTypeE0EEEvPKlPT_S9_PKS8_PKT0_illlliPT3_S7_iiiiPKf
                                        ; -- End function
	.section	.AMDGPU.csdata,"",@progbits
; Kernel info:
; codeLenInByte = 2624
; NumSgprs: 47
; NumVgprs: 24
; NumAgprs: 0
; TotalNumVgprs: 24
; ScratchSize: 0
; MemoryBound: 0
; FloatMode: 240
; IeeeMode: 1
; LDSByteSize: 0 bytes/workgroup (compile time only)
; SGPRBlocks: 5
; VGPRBlocks: 2
; NumSGPRsForWavesPerEU: 47
; NumVGPRsForWavesPerEU: 24
; AccumOffset: 24
; Occupancy: 8
; WaveLimiterHint : 1
; COMPUTE_PGM_RSRC2:SCRATCH_EN: 0
; COMPUTE_PGM_RSRC2:USER_SGPR: 6
; COMPUTE_PGM_RSRC2:TRAP_HANDLER: 0
; COMPUTE_PGM_RSRC2:TGID_X_EN: 1
; COMPUTE_PGM_RSRC2:TGID_Y_EN: 0
; COMPUTE_PGM_RSRC2:TGID_Z_EN: 0
; COMPUTE_PGM_RSRC2:TIDIG_COMP_CNT: 0
; COMPUTE_PGM_RSRC3_GFX90A:ACCUM_OFFSET: 5
; COMPUTE_PGM_RSRC3_GFX90A:TG_SPLIT: 0
	.section	.text._ZN4vllm38concat_and_cache_mla_rope_fused_kernelIN3c108BFloat16ES2_Lb1E14__hip_bfloat16S3_LNS_18Fp8KVCacheDataTypeE0EEEvPKlPT_S8_PKS7_PKT0_illlliPT3_S6_iiiiPKf,"axG",@progbits,_ZN4vllm38concat_and_cache_mla_rope_fused_kernelIN3c108BFloat16ES2_Lb1E14__hip_bfloat16S3_LNS_18Fp8KVCacheDataTypeE0EEEvPKlPT_S8_PKS7_PKT0_illlliPT3_S6_iiiiPKf,comdat
	.protected	_ZN4vllm38concat_and_cache_mla_rope_fused_kernelIN3c108BFloat16ES2_Lb1E14__hip_bfloat16S3_LNS_18Fp8KVCacheDataTypeE0EEEvPKlPT_S8_PKS7_PKT0_illlliPT3_S6_iiiiPKf ; -- Begin function _ZN4vllm38concat_and_cache_mla_rope_fused_kernelIN3c108BFloat16ES2_Lb1E14__hip_bfloat16S3_LNS_18Fp8KVCacheDataTypeE0EEEvPKlPT_S8_PKS7_PKT0_illlliPT3_S6_iiiiPKf
	.globl	_ZN4vllm38concat_and_cache_mla_rope_fused_kernelIN3c108BFloat16ES2_Lb1E14__hip_bfloat16S3_LNS_18Fp8KVCacheDataTypeE0EEEvPKlPT_S8_PKS7_PKT0_illlliPT3_S6_iiiiPKf
	.p2align	8
	.type	_ZN4vllm38concat_and_cache_mla_rope_fused_kernelIN3c108BFloat16ES2_Lb1E14__hip_bfloat16S3_LNS_18Fp8KVCacheDataTypeE0EEEvPKlPT_S8_PKS7_PKT0_illlliPT3_S6_iiiiPKf,@function
_ZN4vllm38concat_and_cache_mla_rope_fused_kernelIN3c108BFloat16ES2_Lb1E14__hip_bfloat16S3_LNS_18Fp8KVCacheDataTypeE0EEEvPKlPT_S8_PKS7_PKT0_illlliPT3_S6_iiiiPKf: ; @_ZN4vllm38concat_and_cache_mla_rope_fused_kernelIN3c108BFloat16ES2_Lb1E14__hip_bfloat16S3_LNS_18Fp8KVCacheDataTypeE0EEEvPKlPT_S8_PKS7_PKT0_illlliPT3_S6_iiiiPKf
; %bb.0:
	s_load_dwordx2 s[2:3], s[4:5], 0x60
	s_mov_b32 s7, 0
	s_lshl_b64 s[0:1], s[6:7], 3
	s_waitcnt lgkmcnt(0)
	s_add_u32 s2, s2, s0
	s_addc_u32 s3, s3, s1
	s_load_dwordx2 s[34:35], s[2:3], 0x0
	s_waitcnt lgkmcnt(0)
	v_cmp_lt_i64_e64 s[2:3], s[34:35], 0
	s_and_b64 vcc, exec, s[2:3]
	s_cbranch_vccnz .LBB52_13
; %bb.1:
	s_load_dword s20, s[4:5], 0x28
	s_load_dwordx2 s[2:3], s[4:5], 0x0
	s_load_dwordx4 s[16:19], s[4:5], 0x10
	s_waitcnt lgkmcnt(0)
	s_ashr_i32 s7, s20, 31
	s_add_u32 s0, s2, s0
	s_addc_u32 s1, s3, s1
	s_load_dwordx2 s[2:3], s[0:1], 0x0
	s_load_dwordx2 s[28:29], s[4:5], 0x20
	s_load_dwordx8 s[8:15], s[4:5], 0x30
	s_load_dwordx2 s[24:25], s[4:5], 0x58
	s_load_dword s21, s[4:5], 0x50
	s_waitcnt lgkmcnt(0)
	s_mul_i32 s0, s2, s7
	s_mul_hi_u32 s1, s2, s20
	s_mul_i32 s3, s3, s20
	s_add_i32 s0, s1, s0
	s_add_i32 s1, s0, s3
	s_mul_i32 s0, s2, s20
	s_lshl_b64 s[30:31], s[0:1], 1
	s_add_u32 s7, s28, s30
	s_addc_u32 s33, s29, s31
	s_lshr_b32 s0, s20, 31
	s_add_i32 s20, s20, s0
	s_ashr_i32 s26, s20, 1
	s_mul_i32 s38, s26, s21
	v_cmp_gt_i32_e32 vcc, s38, v0
	s_and_saveexec_b64 s[20:21], vcc
	s_cbranch_execz .LBB52_4
; %bb.2:
	s_load_dwordx2 s[0:1], s[4:5], 0x8
	s_mul_i32 s2, s6, s9
	s_mul_hi_u32 s3, s6, s8
	s_add_i32 s3, s3, s2
	s_mul_i32 s2, s6, s8
	s_load_dword s8, s[4:5], 0x8c
	s_ashr_i32 s27, s26, 31
	s_lshl_b64 s[2:3], s[2:3], 1
	s_waitcnt lgkmcnt(0)
	s_add_u32 s39, s0, s2
	s_addc_u32 s0, s1, s3
	s_abs_i32 s40, s26
	v_cvt_f32_u32_e32 v1, s40
	s_sub_i32 s1, 0, s40
	s_lshl_b64 s[36:37], s[26:27], 1
	s_mov_b64 s[22:23], 0
	v_rcp_iflag_f32_e32 v2, v1
	v_mov_b32_e32 v1, s33
	s_and_b32 s41, s8, 0xffff
	s_sub_i32 s42, 0, s26
	v_mul_f32_e32 v2, 0x4f7ffffe, v2
	v_cvt_u32_f32_e32 v2, v2
	v_mov_b32_e32 v4, s37
	v_mov_b32_e32 v5, s0
	s_movk_i32 s37, 0x7fff
	v_mul_lo_u32 v3, s1, v2
	v_mul_hi_u32 v3, v2, v3
	v_add_u32_e32 v3, v2, v3
	v_mov_b32_e32 v6, 0x7fc00000
	v_mov_b32_e32 v7, 0x7fc0
	;; [unrolled: 1-line block ×3, first 2 shown]
.LBB52_3:                               ; =>This Inner Loop Header: Depth=1
	v_sub_u32_e32 v9, 0, v2
	v_max_i32_e32 v9, v2, v9
	v_mul_hi_u32 v10, v9, v3
	v_mul_lo_u32 v11, v10, s40
	v_sub_u32_e32 v9, v9, v11
	v_add_u32_e32 v12, 1, v10
	v_cmp_le_u32_e32 vcc, s40, v9
	v_subrev_u32_e32 v11, s40, v9
	v_cndmask_b32_e32 v10, v10, v12, vcc
	v_cndmask_b32_e32 v9, v9, v11, vcc
	v_ashrrev_i32_e32 v8, 31, v2
	v_add_u32_e32 v11, 1, v10
	v_cmp_le_u32_e32 vcc, s40, v9
	v_xor_b32_e32 v8, s27, v8
	v_cndmask_b32_e32 v9, v10, v11, vcc
	v_xor_b32_e32 v9, v9, v8
	v_sub_u32_e32 v10, v9, v8
	v_mad_u64_u32 v[8:9], s[0:1], s42, v10, v[2:3]
	v_ashrrev_i32_e32 v12, 31, v10
	v_ashrrev_i32_e32 v9, 31, v8
	v_mul_lo_u32 v13, v10, s11
	v_mad_u64_u32 v[10:11], s[0:1], v10, s10, 0
	v_mul_lo_u32 v12, v12, s10
	v_lshlrev_b64 v[8:9], 1, v[8:9]
	v_add3_u32 v11, v11, v13, v12
	v_add_co_u32_e32 v12, vcc, s7, v8
	v_addc_co_u32_e32 v13, vcc, v1, v9, vcc
	v_add_co_u32_e32 v14, vcc, s36, v12
	v_lshlrev_b64 v[10:11], 1, v[10:11]
	v_addc_co_u32_e32 v15, vcc, v13, v4, vcc
	v_add_co_u32_e32 v10, vcc, s39, v10
	v_addc_co_u32_e32 v11, vcc, v5, v11, vcc
	v_add_co_u32_e32 v8, vcc, v10, v8
	v_addc_co_u32_e32 v9, vcc, v11, v9, vcc
	global_load_ushort v16, v[14:15], off
	global_load_ushort v17, v[12:13], off
	v_add_co_u32_e32 v10, vcc, s36, v8
	v_addc_co_u32_e32 v11, vcc, v9, v4, vcc
	global_load_ushort v18, v[8:9], off
	global_load_ushort v19, v[10:11], off
	v_add_u32_e32 v2, s41, v2
	v_cmp_le_i32_e32 vcc, s38, v2
	s_or_b64 s[22:23], vcc, s[22:23]
	s_waitcnt vmcnt(3)
	v_lshlrev_b32_e32 v12, 16, v16
	s_waitcnt vmcnt(2)
	v_lshlrev_b32_e32 v13, 16, v17
	v_mov_b32_e32 v14, v13
	v_mov_b32_e32 v15, v12
	s_waitcnt vmcnt(1)
	v_lshlrev_b32_e32 v16, 16, v18
	s_waitcnt vmcnt(0)
	v_lshlrev_b32_e32 v17, 16, v19
	v_pk_mul_f32 v[14:15], v[14:15], v[16:17]
	v_pk_mul_f32 v[12:13], v[12:13], v[16:17]
	v_bfe_u32 v16, v14, 16, 1
	v_bfe_u32 v17, v15, 16, 1
	;; [unrolled: 1-line block ×4, first 2 shown]
	v_add3_u32 v17, v15, v17, s37
	v_add3_u32 v16, v14, v16, s37
	v_add3_u32 v19, v13, v19, s37
	v_add3_u32 v18, v12, v18, s37
	v_and_b32_e32 v16, 0xffff0000, v16
	v_and_b32_e32 v17, 0xffff0000, v17
	v_cmp_o_f32_e32 vcc, v14, v14
	v_cmp_o_f32_e64 s[8:9], v15, v15
	v_and_b32_e32 v14, 0xffff0000, v18
	v_and_b32_e32 v18, 0xffff0000, v19
	v_cmp_o_f32_e64 s[0:1], v13, v13
	v_cmp_o_f32_e64 s[2:3], v12, v12
	v_cndmask_b32_e64 v12, v6, v17, s[8:9]
	v_cndmask_b32_e32 v13, v6, v16, vcc
	v_cndmask_b32_e64 v15, v6, v18, s[0:1]
	v_cndmask_b32_e64 v14, v6, v14, s[2:3]
	v_sub_f32_e32 v12, v13, v12
	v_add_f32_e32 v13, v14, v15
	v_bfe_u32 v14, v12, 16, 1
	v_bfe_u32 v15, v13, 16, 1
	v_add3_u32 v14, v12, v14, s37
	v_add3_u32 v15, v13, v15, s37
	v_lshrrev_b32_e32 v14, 16, v14
	v_cmp_o_f32_e64 s[0:1], v12, v12
	v_lshrrev_b32_e32 v15, 16, v15
	v_cmp_o_f32_e32 vcc, v13, v13
	v_cndmask_b32_e64 v12, v7, v14, s[0:1]
	v_cndmask_b32_e32 v13, v7, v15, vcc
	global_store_short v[8:9], v12, off
	global_store_short v[10:11], v13, off
	s_andn2_b64 exec, exec, s[22:23]
	s_cbranch_execnz .LBB52_3
.LBB52_4:
	s_or_b64 exec, exec, s[20:21]
	s_load_dwordx4 s[20:23], s[4:5], 0x68
	s_waitcnt lgkmcnt(0)
	s_ashr_i32 s3, s23, 31
	s_mov_b32 s2, s23
	s_or_b64 s[0:1], s[34:35], s[2:3]
	s_mov_b32 s0, 0
	s_cmp_lg_u64 s[0:1], 0
	s_cbranch_scc0 .LBB52_14
; %bb.5:
	s_add_u32 s0, s2, s3
	s_mov_b32 s10, s3
	s_mov_b32 s11, s3
	s_addc_u32 s1, s3, s3
	s_xor_b64 s[36:37], s[0:1], s[10:11]
	v_cvt_f32_u32_e32 v1, s36
	v_cvt_f32_u32_e32 v2, s37
	s_sub_u32 s0, 0, s36
	s_subb_u32 s1, 0, s37
	v_madmk_f32 v1, v2, 0x4f800000, v1
	v_rcp_f32_e32 v1, v1
	v_mul_f32_e32 v1, 0x5f7ffffc, v1
	v_mul_f32_e32 v2, 0x2f800000, v1
	v_trunc_f32_e32 v2, v2
	v_madmk_f32 v1, v2, 0xcf800000, v1
	v_cvt_u32_f32_e32 v2, v2
	v_cvt_u32_f32_e32 v1, v1
	v_readfirstlane_b32 s23, v2
	v_readfirstlane_b32 s27, v1
	s_mul_i32 s38, s0, s23
	s_mul_hi_u32 s40, s0, s27
	s_mul_i32 s39, s1, s27
	s_add_i32 s38, s40, s38
	s_add_i32 s38, s38, s39
	s_mul_i32 s41, s0, s27
	s_mul_hi_u32 s39, s27, s38
	s_mul_i32 s40, s27, s38
	s_mul_hi_u32 s27, s27, s41
	s_add_u32 s27, s27, s40
	s_addc_u32 s39, 0, s39
	s_mul_hi_u32 s42, s23, s41
	s_mul_i32 s41, s23, s41
	s_add_u32 s27, s27, s41
	s_mul_hi_u32 s40, s23, s38
	s_addc_u32 s27, s39, s42
	s_addc_u32 s39, s40, 0
	s_mul_i32 s38, s23, s38
	s_add_u32 s27, s27, s38
	s_addc_u32 s38, 0, s39
	v_add_co_u32_e32 v1, vcc, s27, v1
	s_cmp_lg_u64 vcc, 0
	s_addc_u32 s23, s23, s38
	v_readfirstlane_b32 s38, v1
	s_mul_i32 s27, s0, s23
	s_mul_hi_u32 s39, s0, s38
	s_add_i32 s27, s39, s27
	s_mul_i32 s1, s1, s38
	s_add_i32 s27, s27, s1
	s_mul_i32 s0, s0, s38
	s_mul_hi_u32 s39, s23, s0
	s_mul_i32 s40, s23, s0
	s_mul_i32 s42, s38, s27
	s_mul_hi_u32 s0, s38, s0
	s_mul_hi_u32 s41, s38, s27
	s_add_u32 s0, s0, s42
	s_addc_u32 s38, 0, s41
	s_add_u32 s0, s0, s40
	s_mul_hi_u32 s1, s23, s27
	s_addc_u32 s0, s38, s39
	s_addc_u32 s1, s1, 0
	s_mul_i32 s27, s23, s27
	s_add_u32 s0, s0, s27
	s_addc_u32 s1, 0, s1
	v_add_co_u32_e32 v1, vcc, s0, v1
	s_cmp_lg_u64 vcc, 0
	s_addc_u32 s23, s23, s1
	s_ashr_i32 s38, s35, 31
	s_add_u32 s0, s34, s38
	s_mov_b32 s39, s38
	s_addc_u32 s1, s35, s38
	s_xor_b64 s[40:41], s[0:1], s[38:39]
	v_readfirstlane_b32 s27, v1
	s_mul_i32 s1, s40, s23
	s_mul_hi_u32 s42, s40, s27
	s_mul_hi_u32 s0, s40, s23
	s_add_u32 s1, s42, s1
	s_addc_u32 s0, 0, s0
	s_mul_hi_u32 s43, s41, s27
	s_mul_i32 s27, s41, s27
	s_add_u32 s1, s1, s27
	s_mul_hi_u32 s42, s41, s23
	s_addc_u32 s0, s0, s43
	s_addc_u32 s1, s42, 0
	s_mul_i32 s23, s41, s23
	s_add_u32 s23, s0, s23
	s_addc_u32 s27, 0, s1
	s_mul_i32 s0, s36, s27
	s_mul_hi_u32 s1, s36, s23
	s_add_i32 s0, s1, s0
	s_mul_i32 s1, s37, s23
	s_add_i32 s42, s0, s1
	s_mul_i32 s1, s36, s23
	v_mov_b32_e32 v1, s1
	s_sub_i32 s0, s41, s42
	v_sub_co_u32_e32 v1, vcc, s40, v1
	s_cmp_lg_u64 vcc, 0
	s_subb_u32 s40, s0, s37
	v_subrev_co_u32_e64 v2, s[0:1], s36, v1
	s_cmp_lg_u64 s[0:1], 0
	s_subb_u32 s0, s40, 0
	s_cmp_ge_u32 s0, s37
	v_readfirstlane_b32 s40, v2
	s_cselect_b32 s1, -1, 0
	s_cmp_ge_u32 s40, s36
	s_cselect_b32 s40, -1, 0
	s_cmp_eq_u32 s0, s37
	s_cselect_b32 s0, s40, s1
	s_add_u32 s1, s23, 1
	s_addc_u32 s40, s27, 0
	s_add_u32 s43, s23, 2
	s_addc_u32 s44, s27, 0
	s_cmp_lg_u32 s0, 0
	s_cselect_b32 s0, s43, s1
	s_cselect_b32 s1, s44, s40
	s_cmp_lg_u64 vcc, 0
	s_subb_u32 s40, s41, s42
	s_cmp_ge_u32 s40, s37
	v_readfirstlane_b32 s42, v1
	s_cselect_b32 s41, -1, 0
	s_cmp_ge_u32 s42, s36
	s_cselect_b32 s36, -1, 0
	s_cmp_eq_u32 s40, s37
	s_cselect_b32 s36, s36, s41
	s_cmp_lg_u32 s36, 0
	s_cselect_b32 s1, s1, s27
	s_cselect_b32 s0, s0, s23
	s_xor_b64 s[10:11], s[38:39], s[10:11]
	s_xor_b64 s[0:1], s[0:1], s[10:11]
	s_sub_u32 s10, s0, s10
	s_subb_u32 s11, s1, s11
	s_cbranch_execnz .LBB52_7
.LBB52_6:
	v_cvt_f32_u32_e32 v1, s2
	s_sub_i32 s0, 0, s2
	s_mov_b32 s11, 0
	v_rcp_iflag_f32_e32 v1, v1
	v_mul_f32_e32 v1, 0x4f7ffffe, v1
	v_cvt_u32_f32_e32 v1, v1
	v_readfirstlane_b32 s1, v1
	s_mul_i32 s0, s0, s1
	s_mul_hi_u32 s0, s1, s0
	s_add_i32 s1, s1, s0
	s_mul_hi_u32 s0, s34, s1
	s_mul_i32 s8, s0, s2
	s_sub_i32 s8, s34, s8
	s_add_i32 s1, s0, 1
	s_sub_i32 s9, s8, s2
	s_cmp_ge_u32 s8, s2
	s_cselect_b32 s0, s1, s0
	s_cselect_b32 s8, s9, s8
	s_add_i32 s1, s0, 1
	s_cmp_ge_u32 s8, s2
	s_cselect_b32 s10, s1, s0
.LBB52_7:
	s_mul_i32 s0, s10, s3
	s_mul_hi_u32 s1, s10, s2
	s_add_i32 s0, s1, s0
	s_mul_i32 s1, s11, s2
	s_add_i32 s0, s0, s1
	s_mul_i32 s1, s10, s2
	s_sub_u32 s40, s34, s1
	s_subb_u32 s0, s35, s0
	v_cmp_gt_i32_e32 vcc, s26, v0
	s_mul_hi_u32 s42, s10, s20
	s_mul_i32 s43, s11, s20
	s_mul_i32 s36, s10, s20
	s_mul_hi_u32 s41, s40, s21
	s_mul_i32 s11, s0, s21
	s_mul_i32 s34, s40, s21
	s_and_saveexec_b64 s[38:39], vcc
	s_cbranch_execz .LBB52_10
; %bb.8:
	s_mul_i32 s0, s6, s13
	s_mul_hi_u32 s1, s6, s12
	s_add_i32 s1, s1, s0
	s_mul_i32 s0, s6, s12
	s_ashr_i32 s27, s26, 31
	s_lshl_b64 s[0:1], s[0:1], 1
	s_add_u32 s44, s16, s0
	s_addc_u32 s45, s17, s1
	s_ashr_i32 s2, s20, 31
	s_mul_i32 s2, s10, s2
	s_add_i32 s2, s42, s2
	s_add_i32 s37, s2, s43
	s_ashr_i32 s2, s21, 31
	s_mul_i32 s2, s40, s2
	s_add_i32 s2, s41, s2
	s_add_i32 s35, s2, s11
	s_lshl_b64 s[2:3], s[36:37], 1
	s_lshl_b64 s[8:9], s[34:35], 1
	s_add_u32 s12, s2, s8
	s_addc_u32 s13, s3, s9
	s_load_dword s37, s[4:5], 0x8c
	s_add_u32 s8, s12, s24
	s_addc_u32 s9, s13, s25
	s_ashr_i32 s23, s22, 31
	s_lshl_b64 s[2:3], s[22:23], 1
	s_add_u32 s23, s8, s2
	s_addc_u32 s35, s9, s3
	s_waitcnt lgkmcnt(0)
	s_and_b32 s37, s37, 0xffff
	s_lshl_b32 s46, s37, 1
	s_lshl_b64 s[8:9], s[26:27], 1
	s_add_u32 s27, s30, s8
	s_addc_u32 s30, s31, s9
	s_add_u32 s27, s28, s27
	s_addc_u32 s28, s29, s30
	;; [unrolled: 2-line block ×6, first 2 shown]
	s_add_u32 s29, s24, s0
	v_lshlrev_b32_e32 v2, 1, v0
	s_addc_u32 s30, s25, s1
	s_mov_b64 s[12:13], 0
	s_movk_i32 s31, 0x7fff
	v_mov_b32_e32 v1, 0x7fc00000
	v_mov_b32_e32 v3, 0x7fc0
	;; [unrolled: 1-line block ×3, first 2 shown]
.LBB52_9:                               ; =>This Inner Loop Header: Depth=1
	v_mov_b32_e32 v7, s28
	v_add_co_u32_e32 v10, vcc, s27, v2
	v_mov_b32_e32 v14, s17
	v_add_co_u32_e64 v6, s[2:3], s16, v2
	v_mov_b32_e32 v5, s33
	v_mov_b32_e32 v9, s45
	v_add_co_u32_e64 v4, s[0:1], s44, v2
	v_add_co_u32_e64 v12, s[8:9], s7, v2
	v_addc_co_u32_e32 v11, vcc, 0, v7, vcc
	v_addc_co_u32_e64 v7, vcc, 0, v14, s[2:3]
	v_addc_co_u32_e64 v13, s[8:9], 0, v5, s[8:9]
	v_addc_co_u32_e64 v5, vcc, 0, v9, s[0:1]
	global_load_ushort v9, v[6:7], off
	global_load_ushort v16, v[10:11], off
	;; [unrolled: 1-line block ×4, first 2 shown]
	s_add_u32 s7, s7, s46
	s_addc_u32 s33, s33, 0
	s_add_u32 s27, s27, s46
	s_addc_u32 s28, s28, 0
	;; [unrolled: 2-line block ×3, first 2 shown]
	s_add_u32 s44, s44, s46
	v_mov_b32_e32 v11, s35
	v_mov_b32_e32 v15, s30
	v_add_co_u32_e32 v10, vcc, s29, v2
	v_add_co_u32_e64 v12, s[0:1], s23, v2
	s_addc_u32 s45, s45, 0
	v_addc_co_u32_e64 v13, s[0:1], 0, v11, s[0:1]
	v_addc_co_u32_e32 v11, vcc, 0, v15, vcc
	s_add_u32 s29, s29, s46
	s_addc_u32 s30, s30, 0
	v_add_u32_e32 v8, s37, v8
	s_add_u32 s23, s23, s46
	v_cmp_le_i32_e32 vcc, s26, v8
	s_addc_u32 s35, s35, 0
	s_or_b64 s[12:13], vcc, s[12:13]
	s_waitcnt vmcnt(3)
	v_lshlrev_b32_e32 v15, 16, v9
	s_waitcnt vmcnt(2)
	v_lshlrev_b32_e32 v16, 16, v16
	;; [unrolled: 2-line block ×4, first 2 shown]
	v_mov_b32_e32 v18, v17
	v_mov_b32_e32 v19, v16
	v_pk_mul_f32 v[16:17], v[16:17], v[14:15]
	v_pk_mul_f32 v[14:15], v[18:19], v[14:15]
	v_bfe_u32 v9, v16, 16, 1
	v_bfe_u32 v18, v17, 16, 1
	;; [unrolled: 1-line block ×4, first 2 shown]
	v_add3_u32 v18, v17, v18, s31
	v_add3_u32 v9, v16, v9, s31
	;; [unrolled: 1-line block ×4, first 2 shown]
	v_and_b32_e32 v9, 0xffff0000, v9
	v_and_b32_e32 v18, 0xffff0000, v18
	v_cmp_o_f32_e32 vcc, v16, v16
	v_cmp_o_f32_e64 s[0:1], v17, v17
	v_and_b32_e32 v16, 0xffff0000, v19
	v_and_b32_e32 v17, 0xffff0000, v20
	v_cmp_o_f32_e64 s[2:3], v14, v14
	v_cndmask_b32_e64 v14, v1, v18, s[0:1]
	v_cndmask_b32_e32 v9, v1, v9, vcc
	v_cmp_o_f32_e32 vcc, v15, v15
	v_cndmask_b32_e32 v15, v1, v17, vcc
	v_cndmask_b32_e64 v16, v1, v16, s[2:3]
	v_add_f32_e32 v9, v9, v14
	v_sub_f32_e32 v14, v16, v15
	v_bfe_u32 v15, v9, 16, 1
	v_bfe_u32 v16, v14, 16, 1
	v_add3_u32 v15, v9, v15, s31
	v_add3_u32 v16, v14, v16, s31
	v_lshrrev_b32_e32 v15, 16, v15
	v_cmp_o_f32_e32 vcc, v9, v9
	v_lshrrev_b32_e32 v9, 16, v16
	v_cndmask_b32_e32 v15, v3, v15, vcc
	v_cmp_o_f32_e32 vcc, v14, v14
	v_cndmask_b32_e32 v9, v3, v9, vcc
	global_store_short v[4:5], v9, off
	global_store_short v[6:7], v15, off
	;; [unrolled: 1-line block ×4, first 2 shown]
	s_andn2_b64 exec, exec, s[12:13]
	s_cbranch_execnz .LBB52_9
.LBB52_10:
	s_or_b64 exec, exec, s[38:39]
	v_cmp_gt_i32_e32 vcc, s22, v0
	s_and_saveexec_b64 s[0:1], vcc
	s_cbranch_execz .LBB52_13
; %bb.11:
	s_mul_i32 s0, s6, s15
	s_mul_hi_u32 s1, s6, s14
	s_add_i32 s1, s1, s0
	s_mul_i32 s0, s6, s14
	s_lshl_b64 s[0:1], s[0:1], 1
	s_add_u32 s2, s18, s0
	s_addc_u32 s6, s19, s1
	s_ashr_i32 s0, s20, 31
	s_mul_i32 s0, s10, s0
	s_add_i32 s0, s42, s0
	s_add_i32 s37, s0, s43
	s_lshl_b64 s[0:1], s[36:37], 1
	s_add_u32 s3, s24, s0
	s_addc_u32 s7, s25, s1
	s_ashr_i32 s0, s21, 31
	s_mul_i32 s40, s40, s0
	s_add_i32 s0, s41, s40
	s_load_dword s4, s[4:5], 0x8c
	s_add_i32 s35, s0, s11
	s_lshl_b64 s[0:1], s[34:35], 1
	s_add_u32 s3, s3, s0
	s_addc_u32 s5, s7, s1
	s_waitcnt lgkmcnt(0)
	s_and_b32 s4, s4, 0xffff
	s_mov_b64 s[0:1], 0
	v_mov_b32_e32 v2, s6
	v_mov_b32_e32 v3, s5
.LBB52_12:                              ; =>This Inner Loop Header: Depth=1
	v_ashrrev_i32_e32 v1, 31, v0
	v_lshlrev_b64 v[4:5], 1, v[0:1]
	v_add_co_u32_e32 v6, vcc, s2, v4
	v_addc_co_u32_e32 v7, vcc, v2, v5, vcc
	global_load_ushort v1, v[6:7], off
	v_add_co_u32_e32 v4, vcc, s3, v4
	v_addc_co_u32_e32 v5, vcc, v3, v5, vcc
	v_add_u32_e32 v0, s4, v0
	v_cmp_le_i32_e32 vcc, s22, v0
	s_or_b64 s[0:1], vcc, s[0:1]
	s_waitcnt vmcnt(0)
	global_store_short v[4:5], v1, off
	s_andn2_b64 exec, exec, s[0:1]
	s_cbranch_execnz .LBB52_12
.LBB52_13:
	s_endpgm
.LBB52_14:
                                        ; implicit-def: $sgpr10_sgpr11
	s_branch .LBB52_6
	.section	.rodata,"a",@progbits
	.p2align	6, 0x0
	.amdhsa_kernel _ZN4vllm38concat_and_cache_mla_rope_fused_kernelIN3c108BFloat16ES2_Lb1E14__hip_bfloat16S3_LNS_18Fp8KVCacheDataTypeE0EEEvPKlPT_S8_PKS7_PKT0_illlliPT3_S6_iiiiPKf
		.amdhsa_group_segment_fixed_size 0
		.amdhsa_private_segment_fixed_size 0
		.amdhsa_kernarg_size 384
		.amdhsa_user_sgpr_count 6
		.amdhsa_user_sgpr_private_segment_buffer 1
		.amdhsa_user_sgpr_dispatch_ptr 0
		.amdhsa_user_sgpr_queue_ptr 0
		.amdhsa_user_sgpr_kernarg_segment_ptr 1
		.amdhsa_user_sgpr_dispatch_id 0
		.amdhsa_user_sgpr_flat_scratch_init 0
		.amdhsa_user_sgpr_kernarg_preload_length 0
		.amdhsa_user_sgpr_kernarg_preload_offset 0
		.amdhsa_user_sgpr_private_segment_size 0
		.amdhsa_uses_dynamic_stack 0
		.amdhsa_system_sgpr_private_segment_wavefront_offset 0
		.amdhsa_system_sgpr_workgroup_id_x 1
		.amdhsa_system_sgpr_workgroup_id_y 0
		.amdhsa_system_sgpr_workgroup_id_z 0
		.amdhsa_system_sgpr_workgroup_info 0
		.amdhsa_system_vgpr_workitem_id 0
		.amdhsa_next_free_vgpr 21
		.amdhsa_next_free_sgpr 47
		.amdhsa_accum_offset 24
		.amdhsa_reserve_vcc 1
		.amdhsa_reserve_flat_scratch 0
		.amdhsa_float_round_mode_32 0
		.amdhsa_float_round_mode_16_64 0
		.amdhsa_float_denorm_mode_32 3
		.amdhsa_float_denorm_mode_16_64 3
		.amdhsa_dx10_clamp 1
		.amdhsa_ieee_mode 1
		.amdhsa_fp16_overflow 0
		.amdhsa_tg_split 0
		.amdhsa_exception_fp_ieee_invalid_op 0
		.amdhsa_exception_fp_denorm_src 0
		.amdhsa_exception_fp_ieee_div_zero 0
		.amdhsa_exception_fp_ieee_overflow 0
		.amdhsa_exception_fp_ieee_underflow 0
		.amdhsa_exception_fp_ieee_inexact 0
		.amdhsa_exception_int_div_zero 0
	.end_amdhsa_kernel
	.section	.text._ZN4vllm38concat_and_cache_mla_rope_fused_kernelIN3c108BFloat16ES2_Lb1E14__hip_bfloat16S3_LNS_18Fp8KVCacheDataTypeE0EEEvPKlPT_S8_PKS7_PKT0_illlliPT3_S6_iiiiPKf,"axG",@progbits,_ZN4vllm38concat_and_cache_mla_rope_fused_kernelIN3c108BFloat16ES2_Lb1E14__hip_bfloat16S3_LNS_18Fp8KVCacheDataTypeE0EEEvPKlPT_S8_PKS7_PKT0_illlliPT3_S6_iiiiPKf,comdat
.Lfunc_end52:
	.size	_ZN4vllm38concat_and_cache_mla_rope_fused_kernelIN3c108BFloat16ES2_Lb1E14__hip_bfloat16S3_LNS_18Fp8KVCacheDataTypeE0EEEvPKlPT_S8_PKS7_PKT0_illlliPT3_S6_iiiiPKf, .Lfunc_end52-_ZN4vllm38concat_and_cache_mla_rope_fused_kernelIN3c108BFloat16ES2_Lb1E14__hip_bfloat16S3_LNS_18Fp8KVCacheDataTypeE0EEEvPKlPT_S8_PKS7_PKT0_illlliPT3_S6_iiiiPKf
                                        ; -- End function
	.section	.AMDGPU.csdata,"",@progbits
; Kernel info:
; codeLenInByte = 2564
; NumSgprs: 51
; NumVgprs: 21
; NumAgprs: 0
; TotalNumVgprs: 21
; ScratchSize: 0
; MemoryBound: 0
; FloatMode: 240
; IeeeMode: 1
; LDSByteSize: 0 bytes/workgroup (compile time only)
; SGPRBlocks: 6
; VGPRBlocks: 2
; NumSGPRsForWavesPerEU: 51
; NumVGPRsForWavesPerEU: 21
; AccumOffset: 24
; Occupancy: 8
; WaveLimiterHint : 1
; COMPUTE_PGM_RSRC2:SCRATCH_EN: 0
; COMPUTE_PGM_RSRC2:USER_SGPR: 6
; COMPUTE_PGM_RSRC2:TRAP_HANDLER: 0
; COMPUTE_PGM_RSRC2:TGID_X_EN: 1
; COMPUTE_PGM_RSRC2:TGID_Y_EN: 0
; COMPUTE_PGM_RSRC2:TGID_Z_EN: 0
; COMPUTE_PGM_RSRC2:TIDIG_COMP_CNT: 0
; COMPUTE_PGM_RSRC3_GFX90A:ACCUM_OFFSET: 5
; COMPUTE_PGM_RSRC3_GFX90A:TG_SPLIT: 0
	.section	.text._ZN4vllm38concat_and_cache_mla_rope_fused_kernelIN3c108BFloat16ES2_Lb0E14__hip_bfloat16S3_LNS_18Fp8KVCacheDataTypeE0EEEvPKlPT_S8_PKS7_PKT0_illlliPT3_S6_iiiiPKf,"axG",@progbits,_ZN4vllm38concat_and_cache_mla_rope_fused_kernelIN3c108BFloat16ES2_Lb0E14__hip_bfloat16S3_LNS_18Fp8KVCacheDataTypeE0EEEvPKlPT_S8_PKS7_PKT0_illlliPT3_S6_iiiiPKf,comdat
	.protected	_ZN4vllm38concat_and_cache_mla_rope_fused_kernelIN3c108BFloat16ES2_Lb0E14__hip_bfloat16S3_LNS_18Fp8KVCacheDataTypeE0EEEvPKlPT_S8_PKS7_PKT0_illlliPT3_S6_iiiiPKf ; -- Begin function _ZN4vllm38concat_and_cache_mla_rope_fused_kernelIN3c108BFloat16ES2_Lb0E14__hip_bfloat16S3_LNS_18Fp8KVCacheDataTypeE0EEEvPKlPT_S8_PKS7_PKT0_illlliPT3_S6_iiiiPKf
	.globl	_ZN4vllm38concat_and_cache_mla_rope_fused_kernelIN3c108BFloat16ES2_Lb0E14__hip_bfloat16S3_LNS_18Fp8KVCacheDataTypeE0EEEvPKlPT_S8_PKS7_PKT0_illlliPT3_S6_iiiiPKf
	.p2align	8
	.type	_ZN4vllm38concat_and_cache_mla_rope_fused_kernelIN3c108BFloat16ES2_Lb0E14__hip_bfloat16S3_LNS_18Fp8KVCacheDataTypeE0EEEvPKlPT_S8_PKS7_PKT0_illlliPT3_S6_iiiiPKf,@function
_ZN4vllm38concat_and_cache_mla_rope_fused_kernelIN3c108BFloat16ES2_Lb0E14__hip_bfloat16S3_LNS_18Fp8KVCacheDataTypeE0EEEvPKlPT_S8_PKS7_PKT0_illlliPT3_S6_iiiiPKf: ; @_ZN4vllm38concat_and_cache_mla_rope_fused_kernelIN3c108BFloat16ES2_Lb0E14__hip_bfloat16S3_LNS_18Fp8KVCacheDataTypeE0EEEvPKlPT_S8_PKS7_PKT0_illlliPT3_S6_iiiiPKf
; %bb.0:
	s_load_dwordx2 s[2:3], s[4:5], 0x60
	s_mov_b32 s7, 0
	s_lshl_b64 s[0:1], s[6:7], 3
	s_waitcnt lgkmcnt(0)
	s_add_u32 s2, s2, s0
	s_addc_u32 s3, s3, s1
	s_load_dwordx2 s[24:25], s[2:3], 0x0
	s_waitcnt lgkmcnt(0)
	v_cmp_lt_i64_e64 s[2:3], s[24:25], 0
	s_and_b64 vcc, exec, s[2:3]
	s_cbranch_vccnz .LBB53_13
; %bb.1:
	s_load_dword s7, s[4:5], 0x28
	s_load_dwordx2 s[2:3], s[4:5], 0x0
	s_load_dwordx4 s[16:19], s[4:5], 0x10
	v_lshlrev_b32_e32 v1, 1, v0
	s_waitcnt lgkmcnt(0)
	s_ashr_i32 s26, s7, 31
	s_add_u32 s0, s2, s0
	s_addc_u32 s1, s3, s1
	s_load_dwordx2 s[20:21], s[0:1], 0x0
	s_load_dwordx2 s[22:23], s[4:5], 0x20
	s_load_dwordx8 s[8:15], s[4:5], 0x30
	s_load_dwordx2 s[2:3], s[4:5], 0x58
	s_load_dword s28, s[4:5], 0x50
	s_waitcnt lgkmcnt(0)
	s_mul_i32 s0, s20, s26
	s_mul_hi_u32 s1, s20, s7
	s_mul_i32 s21, s21, s7
	s_add_i32 s0, s1, s0
	s_add_i32 s27, s0, s21
	s_lshr_b32 s0, s7, 31
	s_mul_i32 s26, s20, s7
	s_add_i32 s7, s7, s0
	s_ashr_i32 s20, s7, 1
	s_mul_i32 s7, s20, s28
	v_cmp_gt_i32_e32 vcc, s7, v0
	s_and_saveexec_b64 s[28:29], vcc
	s_cbranch_execz .LBB53_4
; %bb.2:
	s_lshl_b64 s[0:1], s[26:27], 1
	s_add_u32 s33, s22, s0
	s_addc_u32 s30, s23, s1
	s_load_dwordx2 s[0:1], s[4:5], 0x8
	s_mul_i32 s9, s6, s9
	s_mul_hi_u32 s31, s6, s8
	s_add_i32 s9, s31, s9
	s_load_dword s31, s[4:5], 0x8c
	s_mul_i32 s8, s6, s8
	s_ashr_i32 s21, s20, 31
	s_lshl_b64 s[8:9], s[8:9], 1
	s_waitcnt lgkmcnt(0)
	s_add_u32 s34, s0, s8
	s_addc_u32 s0, s1, s9
	s_abs_i32 s35, s20
	v_cvt_f32_u32_e32 v2, s35
	s_sub_i32 s1, 0, s35
	s_and_b32 s36, s31, 0xffff
	v_mov_b32_e32 v5, s30
	v_rcp_iflag_f32_e32 v2, v2
	s_lshl_b64 s[30:31], s[20:21], 1
	s_sub_i32 s37, 0, s20
	s_lshl_b32 s39, s36, 1
	v_mul_f32_e32 v2, 0x4f7ffffe, v2
	v_cvt_u32_f32_e32 v2, v2
	s_mov_b64 s[8:9], 0
	v_mov_b32_e32 v6, s31
	v_mov_b32_e32 v7, s0
	v_mul_lo_u32 v3, s1, v2
	v_mul_hi_u32 v3, v2, v3
	s_lshl_b32 s1, s20, 1
	v_add_u32_e32 v3, v2, v3
	s_sub_i32 s38, 0, s1
	s_movk_i32 s31, 0x7fff
	v_mov_b32_e32 v8, 0x7fc00000
	v_mov_b32_e32 v9, 0x7fc0
	s_mov_b32 s40, 0x5040100
	v_mov_b32_e32 v2, v1
	v_mov_b32_e32 v4, v0
.LBB53_3:                               ; =>This Inner Loop Header: Depth=1
	v_sub_u32_e32 v11, 0, v4
	v_max_i32_e32 v11, v4, v11
	v_mul_hi_u32 v12, v11, v3
	v_mul_lo_u32 v13, v12, s35
	v_sub_u32_e32 v11, v11, v13
	v_add_u32_e32 v14, 1, v12
	v_cmp_le_u32_e32 vcc, s35, v11
	v_subrev_u32_e32 v13, s35, v11
	v_cndmask_b32_e32 v12, v12, v14, vcc
	v_cndmask_b32_e32 v11, v11, v13, vcc
	v_ashrrev_i32_e32 v10, 31, v4
	v_add_u32_e32 v13, 1, v12
	v_cmp_le_u32_e32 vcc, s35, v11
	v_xor_b32_e32 v10, s21, v10
	v_cndmask_b32_e32 v11, v12, v13, vcc
	v_xor_b32_e32 v11, v11, v10
	v_sub_u32_e32 v14, v11, v10
	v_mad_u64_u32 v[10:11], s[0:1], s37, v14, v[4:5]
	v_ashrrev_i32_e32 v11, 31, v10
	v_lshlrev_b64 v[10:11], 1, v[10:11]
	v_ashrrev_i32_e32 v16, 31, v14
	v_add_co_u32_e32 v10, vcc, s33, v10
	v_mul_lo_u32 v17, v14, s11
	v_mad_u64_u32 v[12:13], s[0:1], v14, s10, 0
	v_mul_lo_u32 v16, v16, s10
	v_addc_co_u32_e32 v11, vcc, v5, v11, vcc
	v_add3_u32 v13, v13, v17, v16
	v_add_co_u32_e32 v16, vcc, s30, v10
	v_mad_u64_u32 v[14:15], s[0:1], s38, v14, v[2:3]
	v_lshlrev_b64 v[12:13], 1, v[12:13]
	v_addc_co_u32_e32 v17, vcc, v11, v6, vcc
	v_ashrrev_i32_e32 v15, 31, v14
	v_add_co_u32_e32 v12, vcc, s34, v12
	v_lshlrev_b64 v[14:15], 1, v[14:15]
	v_addc_co_u32_e32 v13, vcc, v7, v13, vcc
	global_load_ushort v18, v[10:11], off
	global_load_ushort v19, v[16:17], off
	v_add_co_u32_e32 v10, vcc, v12, v14
	v_addc_co_u32_e32 v11, vcc, v13, v15, vcc
	global_load_dword v12, v[10:11], off
	v_add_u32_e32 v4, s36, v4
	v_cmp_le_i32_e32 vcc, s7, v4
	s_or_b64 s[8:9], vcc, s[8:9]
	v_add_u32_e32 v2, s39, v2
	s_waitcnt vmcnt(2)
	v_lshlrev_b32_e32 v13, 16, v18
	s_waitcnt vmcnt(1)
	v_lshlrev_b32_e32 v15, 16, v19
	v_mov_b32_e32 v16, v13
	s_waitcnt vmcnt(0)
	v_and_b32_e32 v18, 0xffff0000, v12
	v_lshlrev_b32_e32 v14, 16, v12
	v_mov_b32_e32 v12, v15
	v_pk_mul_f32 v[12:13], v[12:13], v[18:19] op_sel_hi:[1,0]
	v_mov_b32_e32 v17, v14
	v_bfe_u32 v18, v12, 16, 1
	v_bfe_u32 v19, v13, 16, 1
	v_pk_mul_f32 v[14:15], v[16:17], v[14:15]
	v_add3_u32 v16, v13, v19, s31
	v_add3_u32 v17, v12, v18, s31
	v_bfe_u32 v18, v14, 16, 1
	v_bfe_u32 v19, v15, 16, 1
	v_and_b32_e32 v17, 0xffff0000, v17
	v_and_b32_e32 v16, 0xffff0000, v16
	v_add3_u32 v19, v15, v19, s31
	v_add3_u32 v18, v14, v18, s31
	v_cmp_o_f32_e32 vcc, v12, v12
	v_cmp_o_f32_e64 s[0:1], v13, v13
	v_and_b32_e32 v18, 0xffff0000, v18
	v_and_b32_e32 v19, 0xffff0000, v19
	v_cndmask_b32_e64 v13, v8, v16, s[0:1]
	v_cndmask_b32_e32 v12, v8, v17, vcc
	v_cmp_o_f32_e32 vcc, v14, v14
	v_cmp_o_f32_e64 s[0:1], v15, v15
	v_cndmask_b32_e64 v15, v8, v19, s[0:1]
	v_cndmask_b32_e32 v14, v8, v18, vcc
	v_pk_add_f32 v[16:17], v[14:15], v[12:13] neg_lo:[0,1] neg_hi:[0,1]
	v_pk_add_f32 v[12:13], v[14:15], v[12:13]
	v_bfe_u32 v12, v16, 16, 1
	v_bfe_u32 v14, v13, 16, 1
	v_add3_u32 v14, v13, v14, s31
	v_add3_u32 v12, v16, v12, s31
	v_lshrrev_b32_e32 v12, 16, v12
	v_lshrrev_b32_e32 v14, 16, v14
	v_cmp_o_f32_e32 vcc, v13, v13
	v_cmp_o_f32_e64 s[0:1], v16, v16
	v_cndmask_b32_e64 v12, v9, v12, s[0:1]
	v_cndmask_b32_e32 v13, v9, v14, vcc
	v_perm_b32 v12, v13, v12, s40
	global_store_dword v[10:11], v12, off
	s_andn2_b64 exec, exec, s[8:9]
	s_cbranch_execnz .LBB53_3
.LBB53_4:
	s_or_b64 exec, exec, s[28:29]
	s_load_dwordx4 s[8:11], s[4:5], 0x68
	s_waitcnt lgkmcnt(0)
	s_ashr_i32 s31, s11, 31
	s_mov_b32 s30, s11
	s_or_b64 s[0:1], s[24:25], s[30:31]
	s_mov_b32 s0, 0
	s_cmp_lg_u64 s[0:1], 0
	s_cbranch_scc0 .LBB53_14
; %bb.5:
	s_add_u32 s0, s30, s31
	s_mov_b32 s28, s31
	s_mov_b32 s29, s31
	s_addc_u32 s1, s31, s31
	s_xor_b64 s[36:37], s[0:1], s[28:29]
	v_cvt_f32_u32_e32 v2, s36
	v_cvt_f32_u32_e32 v3, s37
	s_sub_u32 s0, 0, s36
	s_subb_u32 s1, 0, s37
	v_madmk_f32 v2, v3, 0x4f800000, v2
	v_rcp_f32_e32 v2, v2
	v_mul_f32_e32 v2, 0x5f7ffffc, v2
	v_mul_f32_e32 v3, 0x2f800000, v2
	v_trunc_f32_e32 v3, v3
	v_madmk_f32 v2, v3, 0xcf800000, v2
	v_cvt_u32_f32_e32 v3, v3
	v_cvt_u32_f32_e32 v2, v2
	v_readfirstlane_b32 s7, v3
	v_readfirstlane_b32 s11, v2
	s_mul_i32 s21, s0, s7
	s_mul_hi_u32 s38, s0, s11
	s_mul_i32 s33, s1, s11
	s_add_i32 s21, s38, s21
	s_add_i32 s21, s21, s33
	s_mul_i32 s39, s0, s11
	s_mul_hi_u32 s33, s11, s21
	s_mul_i32 s38, s11, s21
	s_mul_hi_u32 s11, s11, s39
	s_add_u32 s11, s11, s38
	s_addc_u32 s33, 0, s33
	s_mul_hi_u32 s40, s7, s39
	s_mul_i32 s39, s7, s39
	s_add_u32 s11, s11, s39
	s_mul_hi_u32 s38, s7, s21
	s_addc_u32 s11, s33, s40
	s_addc_u32 s33, s38, 0
	s_mul_i32 s21, s7, s21
	s_add_u32 s11, s11, s21
	s_addc_u32 s21, 0, s33
	v_add_co_u32_e32 v2, vcc, s11, v2
	s_cmp_lg_u64 vcc, 0
	s_addc_u32 s7, s7, s21
	v_readfirstlane_b32 s21, v2
	s_mul_i32 s11, s0, s7
	s_mul_hi_u32 s33, s0, s21
	s_add_i32 s11, s33, s11
	s_mul_i32 s1, s1, s21
	s_add_i32 s11, s11, s1
	s_mul_i32 s0, s0, s21
	s_mul_hi_u32 s33, s7, s0
	s_mul_i32 s38, s7, s0
	s_mul_i32 s40, s21, s11
	s_mul_hi_u32 s0, s21, s0
	s_mul_hi_u32 s39, s21, s11
	s_add_u32 s0, s0, s40
	s_addc_u32 s21, 0, s39
	s_add_u32 s0, s0, s38
	s_mul_hi_u32 s1, s7, s11
	s_addc_u32 s0, s21, s33
	s_addc_u32 s1, s1, 0
	s_mul_i32 s11, s7, s11
	s_add_u32 s0, s0, s11
	s_addc_u32 s1, 0, s1
	v_add_co_u32_e32 v2, vcc, s0, v2
	s_cmp_lg_u64 vcc, 0
	s_addc_u32 s7, s7, s1
	s_ashr_i32 s38, s25, 31
	s_add_u32 s0, s24, s38
	s_mov_b32 s39, s38
	s_addc_u32 s1, s25, s38
	s_xor_b64 s[40:41], s[0:1], s[38:39]
	v_readfirstlane_b32 s11, v2
	s_mul_i32 s1, s40, s7
	s_mul_hi_u32 s21, s40, s11
	s_mul_hi_u32 s0, s40, s7
	s_add_u32 s1, s21, s1
	s_addc_u32 s0, 0, s0
	s_mul_hi_u32 s33, s41, s11
	s_mul_i32 s11, s41, s11
	s_add_u32 s1, s1, s11
	s_mul_hi_u32 s21, s41, s7
	s_addc_u32 s0, s0, s33
	s_addc_u32 s1, s21, 0
	s_mul_i32 s7, s41, s7
	s_add_u32 s7, s0, s7
	s_addc_u32 s11, 0, s1
	s_mul_i32 s0, s36, s11
	s_mul_hi_u32 s1, s36, s7
	s_add_i32 s0, s1, s0
	s_mul_i32 s1, s37, s7
	s_add_i32 s21, s0, s1
	s_mul_i32 s1, s36, s7
	v_mov_b32_e32 v2, s1
	s_sub_i32 s0, s41, s21
	v_sub_co_u32_e32 v2, vcc, s40, v2
	s_cmp_lg_u64 vcc, 0
	s_subb_u32 s33, s0, s37
	v_subrev_co_u32_e64 v3, s[0:1], s36, v2
	s_cmp_lg_u64 s[0:1], 0
	s_subb_u32 s0, s33, 0
	s_cmp_ge_u32 s0, s37
	v_readfirstlane_b32 s33, v3
	s_cselect_b32 s1, -1, 0
	s_cmp_ge_u32 s33, s36
	s_cselect_b32 s33, -1, 0
	s_cmp_eq_u32 s0, s37
	s_cselect_b32 s0, s33, s1
	s_add_u32 s1, s7, 1
	s_addc_u32 s33, s11, 0
	s_add_u32 s40, s7, 2
	s_addc_u32 s42, s11, 0
	s_cmp_lg_u32 s0, 0
	s_cselect_b32 s0, s40, s1
	s_cselect_b32 s1, s42, s33
	s_cmp_lg_u64 vcc, 0
	s_subb_u32 s21, s41, s21
	s_cmp_ge_u32 s21, s37
	v_readfirstlane_b32 s40, v2
	s_cselect_b32 s33, -1, 0
	s_cmp_ge_u32 s40, s36
	s_cselect_b32 s36, -1, 0
	s_cmp_eq_u32 s21, s37
	s_cselect_b32 s21, s36, s33
	s_cmp_lg_u32 s21, 0
	s_cselect_b32 s1, s1, s11
	s_cselect_b32 s0, s0, s7
	s_xor_b64 s[28:29], s[38:39], s[28:29]
	s_xor_b64 s[0:1], s[0:1], s[28:29]
	s_sub_u32 s28, s0, s28
	s_subb_u32 s29, s1, s29
	s_cbranch_execnz .LBB53_7
.LBB53_6:
	v_cvt_f32_u32_e32 v2, s30
	s_sub_i32 s0, 0, s30
	s_mov_b32 s29, 0
	v_rcp_iflag_f32_e32 v2, v2
	v_mul_f32_e32 v2, 0x4f7ffffe, v2
	v_cvt_u32_f32_e32 v2, v2
	v_readfirstlane_b32 s1, v2
	s_mul_i32 s0, s0, s1
	s_mul_hi_u32 s0, s1, s0
	s_add_i32 s1, s1, s0
	s_mul_hi_u32 s0, s24, s1
	s_mul_i32 s7, s0, s30
	s_sub_i32 s7, s24, s7
	s_add_i32 s1, s0, 1
	s_sub_i32 s11, s7, s30
	s_cmp_ge_u32 s7, s30
	s_cselect_b32 s0, s1, s0
	s_cselect_b32 s7, s11, s7
	s_add_i32 s1, s0, 1
	s_cmp_ge_u32 s7, s30
	s_cselect_b32 s28, s1, s0
.LBB53_7:
	s_mul_i32 s0, s28, s31
	s_mul_hi_u32 s1, s28, s30
	s_add_i32 s0, s1, s0
	s_mul_i32 s1, s29, s30
	s_add_i32 s0, s0, s1
	s_mul_i32 s1, s28, s30
	s_sub_u32 s33, s24, s1
	s_subb_u32 s7, s25, s0
	v_cmp_gt_i32_e32 vcc, s20, v0
	s_mul_hi_u32 s36, s28, s8
	s_mul_i32 s37, s29, s8
	s_mul_i32 s30, s28, s8
	s_mul_hi_u32 s29, s33, s9
	s_mul_i32 s7, s7, s9
	s_mul_i32 s24, s33, s9
	s_and_saveexec_b64 s[34:35], vcc
	s_cbranch_execz .LBB53_10
; %bb.8:
	s_load_dword s0, s[4:5], 0x8c
	s_ashr_i32 s21, s20, 31
	s_ashr_i32 s25, s8, 31
	;; [unrolled: 1-line block ×4, first 2 shown]
	s_waitcnt lgkmcnt(0)
	s_and_b32 s38, s0, 0xffff
	s_lshl_b64 s[0:1], s[26:27], 1
	s_add_u32 s0, s22, s0
	s_addc_u32 s1, s23, s1
	v_mov_b32_e32 v3, s1
	v_add_co_u32_e32 v2, vcc, s0, v1
	s_mul_i32 s0, s13, s6
	s_mul_hi_u32 s1, s12, s6
	s_add_i32 s1, s1, s0
	s_mul_i32 s0, s12, s6
	s_lshl_b32 s26, s38, 1
	s_lshl_b64 s[22:23], s[20:21], 1
	s_lshl_b64 s[0:1], s[0:1], 1
	v_addc_co_u32_e32 v3, vcc, 0, v3, vcc
	v_lshlrev_b32_e32 v5, 2, v0
	s_add_u32 s0, s16, s0
	v_add_co_u32_e32 v1, vcc, s0, v5
	s_mul_i32 s0, s28, s25
	s_mul_i32 s12, s33, s39
	s_addc_u32 s1, s17, s1
	s_add_i32 s0, s36, s0
	s_add_i32 s12, s29, s12
	;; [unrolled: 1-line block ×4, first 2 shown]
	v_mov_b32_e32 v4, s1
	s_lshl_b32 s21, s38, 2
	s_lshl_b64 s[0:1], s[30:31], 1
	s_lshl_b64 s[12:13], s[24:25], 1
	s_add_u32 s12, s0, s12
	s_addc_u32 s13, s1, s13
	s_lshl_b64 s[0:1], s[10:11], 1
	s_add_u32 s0, s2, s0
	s_addc_u32 s1, s3, s1
	s_add_u32 s0, s0, s12
	v_addc_co_u32_e32 v4, vcc, 0, v4, vcc
	s_addc_u32 s1, s1, s13
	s_mov_b32 s27, 0
	v_mov_b32_e32 v6, s1
	v_add_co_u32_e32 v5, vcc, s0, v5
	v_addc_co_u32_e32 v6, vcc, 0, v6, vcc
	s_mov_b64 s[12:13], 0
	v_mov_b32_e32 v7, s23
	s_movk_i32 s11, 0x7fff
	v_mov_b32_e32 v8, 0x7fc00000
	v_mov_b32_e32 v9, 0x7fc0
	s_mov_b32 s23, 0x5040100
	v_mov_b32_e32 v10, s27
	s_mov_b64 s[16:17], 0
	v_mov_b32_e32 v11, v0
.LBB53_9:                               ; =>This Inner Loop Header: Depth=1
	v_add_co_u32_e32 v12, vcc, s22, v2
	v_addc_co_u32_e32 v13, vcc, v3, v7, vcc
	v_mov_b32_e32 v16, s17
	v_add_co_u32_e32 v14, vcc, s16, v1
	global_load_ushort v17, v[2:3], off
	global_load_ushort v18, v[12:13], off
	v_addc_co_u32_e32 v15, vcc, v4, v16, vcc
	global_load_dword v21, v[14:15], off
	v_add_co_u32_e32 v2, vcc, s26, v2
	v_addc_co_u32_e32 v3, vcc, v3, v10, vcc
	v_add_co_u32_e32 v12, vcc, s16, v5
	v_addc_co_u32_e32 v13, vcc, v6, v16, vcc
	v_add_u32_e32 v11, s38, v11
	s_add_u32 s16, s16, s21
	s_addc_u32 s17, s17, 0
	v_cmp_le_i32_e32 vcc, s20, v11
	s_or_b64 s[12:13], vcc, s[12:13]
	s_waitcnt vmcnt(2)
	v_lshlrev_b32_e32 v17, 16, v17
	s_waitcnt vmcnt(1)
	v_lshlrev_b32_e32 v19, 16, v18
	v_mov_b32_e32 v16, v19
	v_mov_b32_e32 v20, v17
	s_waitcnt vmcnt(0)
	v_and_b32_e32 v22, 0xffff0000, v21
	v_lshlrev_b32_e32 v18, 16, v21
	v_pk_mul_f32 v[16:17], v[16:17], v[22:23] op_sel_hi:[1,0]
	v_mov_b32_e32 v21, v18
	v_bfe_u32 v22, v16, 16, 1
	v_bfe_u32 v23, v17, 16, 1
	v_pk_mul_f32 v[18:19], v[20:21], v[18:19]
	v_add3_u32 v20, v17, v23, s11
	v_add3_u32 v21, v16, v22, s11
	v_bfe_u32 v22, v18, 16, 1
	v_bfe_u32 v23, v19, 16, 1
	v_and_b32_e32 v21, 0xffff0000, v21
	v_and_b32_e32 v20, 0xffff0000, v20
	v_add3_u32 v23, v19, v23, s11
	v_add3_u32 v22, v18, v22, s11
	v_cmp_o_f32_e32 vcc, v16, v16
	v_cmp_o_f32_e64 s[0:1], v17, v17
	v_and_b32_e32 v22, 0xffff0000, v22
	v_and_b32_e32 v23, 0xffff0000, v23
	v_cndmask_b32_e64 v17, v8, v20, s[0:1]
	v_cndmask_b32_e32 v16, v8, v21, vcc
	v_cmp_o_f32_e32 vcc, v18, v18
	v_cmp_o_f32_e64 s[0:1], v19, v19
	v_cndmask_b32_e64 v19, v8, v23, s[0:1]
	v_cndmask_b32_e32 v18, v8, v22, vcc
	v_pk_add_f32 v[20:21], v[18:19], v[16:17] neg_lo:[0,1] neg_hi:[0,1]
	v_pk_add_f32 v[16:17], v[18:19], v[16:17]
	v_bfe_u32 v16, v20, 16, 1
	v_bfe_u32 v18, v17, 16, 1
	v_add3_u32 v18, v17, v18, s11
	v_add3_u32 v16, v20, v16, s11
	v_lshrrev_b32_e32 v16, 16, v16
	v_lshrrev_b32_e32 v18, 16, v18
	v_cmp_o_f32_e32 vcc, v17, v17
	v_cmp_o_f32_e64 s[0:1], v20, v20
	v_cndmask_b32_e64 v16, v9, v16, s[0:1]
	v_cndmask_b32_e32 v17, v9, v18, vcc
	v_perm_b32 v16, v17, v16, s23
	global_store_dword v[14:15], v16, off
	global_store_dword v[12:13], v16, off
	s_andn2_b64 exec, exec, s[12:13]
	s_cbranch_execnz .LBB53_9
.LBB53_10:
	s_or_b64 exec, exec, s[34:35]
	v_cmp_gt_i32_e32 vcc, s10, v0
	s_and_saveexec_b64 s[0:1], vcc
	s_cbranch_execz .LBB53_13
; %bb.11:
	s_mul_i32 s0, s6, s15
	s_mul_hi_u32 s1, s6, s14
	s_add_i32 s1, s1, s0
	s_mul_i32 s0, s6, s14
	s_lshl_b64 s[0:1], s[0:1], 1
	s_add_u32 s6, s18, s0
	s_addc_u32 s11, s19, s1
	s_ashr_i32 s0, s8, 31
	s_mul_i32 s0, s28, s0
	s_add_i32 s0, s36, s0
	s_add_i32 s31, s0, s37
	s_lshl_b64 s[0:1], s[30:31], 1
	s_add_u32 s2, s2, s0
	s_addc_u32 s3, s3, s1
	s_ashr_i32 s0, s9, 31
	s_mul_i32 s33, s33, s0
	s_add_i32 s0, s29, s33
	s_load_dword s4, s[4:5], 0x8c
	s_add_i32 s25, s0, s7
	s_lshl_b64 s[0:1], s[24:25], 1
	s_add_u32 s2, s2, s0
	s_addc_u32 s5, s3, s1
	s_waitcnt lgkmcnt(0)
	s_and_b32 s3, s4, 0xffff
	s_mov_b64 s[0:1], 0
	v_mov_b32_e32 v2, s11
	v_mov_b32_e32 v3, s5
.LBB53_12:                              ; =>This Inner Loop Header: Depth=1
	v_ashrrev_i32_e32 v1, 31, v0
	v_lshlrev_b64 v[4:5], 1, v[0:1]
	v_add_co_u32_e32 v6, vcc, s6, v4
	v_addc_co_u32_e32 v7, vcc, v2, v5, vcc
	global_load_ushort v1, v[6:7], off
	v_add_co_u32_e32 v4, vcc, s2, v4
	v_addc_co_u32_e32 v5, vcc, v3, v5, vcc
	v_add_u32_e32 v0, s3, v0
	v_cmp_le_i32_e32 vcc, s10, v0
	s_or_b64 s[0:1], vcc, s[0:1]
	s_waitcnt vmcnt(0)
	global_store_short v[4:5], v1, off
	s_andn2_b64 exec, exec, s[0:1]
	s_cbranch_execnz .LBB53_12
.LBB53_13:
	s_endpgm
.LBB53_14:
                                        ; implicit-def: $sgpr28_sgpr29
	s_branch .LBB53_6
	.section	.rodata,"a",@progbits
	.p2align	6, 0x0
	.amdhsa_kernel _ZN4vllm38concat_and_cache_mla_rope_fused_kernelIN3c108BFloat16ES2_Lb0E14__hip_bfloat16S3_LNS_18Fp8KVCacheDataTypeE0EEEvPKlPT_S8_PKS7_PKT0_illlliPT3_S6_iiiiPKf
		.amdhsa_group_segment_fixed_size 0
		.amdhsa_private_segment_fixed_size 0
		.amdhsa_kernarg_size 384
		.amdhsa_user_sgpr_count 6
		.amdhsa_user_sgpr_private_segment_buffer 1
		.amdhsa_user_sgpr_dispatch_ptr 0
		.amdhsa_user_sgpr_queue_ptr 0
		.amdhsa_user_sgpr_kernarg_segment_ptr 1
		.amdhsa_user_sgpr_dispatch_id 0
		.amdhsa_user_sgpr_flat_scratch_init 0
		.amdhsa_user_sgpr_kernarg_preload_length 0
		.amdhsa_user_sgpr_kernarg_preload_offset 0
		.amdhsa_user_sgpr_private_segment_size 0
		.amdhsa_uses_dynamic_stack 0
		.amdhsa_system_sgpr_private_segment_wavefront_offset 0
		.amdhsa_system_sgpr_workgroup_id_x 1
		.amdhsa_system_sgpr_workgroup_id_y 0
		.amdhsa_system_sgpr_workgroup_id_z 0
		.amdhsa_system_sgpr_workgroup_info 0
		.amdhsa_system_vgpr_workitem_id 0
		.amdhsa_next_free_vgpr 24
		.amdhsa_next_free_sgpr 43
		.amdhsa_accum_offset 24
		.amdhsa_reserve_vcc 1
		.amdhsa_reserve_flat_scratch 0
		.amdhsa_float_round_mode_32 0
		.amdhsa_float_round_mode_16_64 0
		.amdhsa_float_denorm_mode_32 3
		.amdhsa_float_denorm_mode_16_64 3
		.amdhsa_dx10_clamp 1
		.amdhsa_ieee_mode 1
		.amdhsa_fp16_overflow 0
		.amdhsa_tg_split 0
		.amdhsa_exception_fp_ieee_invalid_op 0
		.amdhsa_exception_fp_denorm_src 0
		.amdhsa_exception_fp_ieee_div_zero 0
		.amdhsa_exception_fp_ieee_overflow 0
		.amdhsa_exception_fp_ieee_underflow 0
		.amdhsa_exception_fp_ieee_inexact 0
		.amdhsa_exception_int_div_zero 0
	.end_amdhsa_kernel
	.section	.text._ZN4vllm38concat_and_cache_mla_rope_fused_kernelIN3c108BFloat16ES2_Lb0E14__hip_bfloat16S3_LNS_18Fp8KVCacheDataTypeE0EEEvPKlPT_S8_PKS7_PKT0_illlliPT3_S6_iiiiPKf,"axG",@progbits,_ZN4vllm38concat_and_cache_mla_rope_fused_kernelIN3c108BFloat16ES2_Lb0E14__hip_bfloat16S3_LNS_18Fp8KVCacheDataTypeE0EEEvPKlPT_S8_PKS7_PKT0_illlliPT3_S6_iiiiPKf,comdat
.Lfunc_end53:
	.size	_ZN4vllm38concat_and_cache_mla_rope_fused_kernelIN3c108BFloat16ES2_Lb0E14__hip_bfloat16S3_LNS_18Fp8KVCacheDataTypeE0EEEvPKlPT_S8_PKS7_PKT0_illlliPT3_S6_iiiiPKf, .Lfunc_end53-_ZN4vllm38concat_and_cache_mla_rope_fused_kernelIN3c108BFloat16ES2_Lb0E14__hip_bfloat16S3_LNS_18Fp8KVCacheDataTypeE0EEEvPKlPT_S8_PKS7_PKT0_illlliPT3_S6_iiiiPKf
                                        ; -- End function
	.section	.AMDGPU.csdata,"",@progbits
; Kernel info:
; codeLenInByte = 2520
; NumSgprs: 47
; NumVgprs: 24
; NumAgprs: 0
; TotalNumVgprs: 24
; ScratchSize: 0
; MemoryBound: 0
; FloatMode: 240
; IeeeMode: 1
; LDSByteSize: 0 bytes/workgroup (compile time only)
; SGPRBlocks: 5
; VGPRBlocks: 2
; NumSGPRsForWavesPerEU: 47
; NumVGPRsForWavesPerEU: 24
; AccumOffset: 24
; Occupancy: 8
; WaveLimiterHint : 1
; COMPUTE_PGM_RSRC2:SCRATCH_EN: 0
; COMPUTE_PGM_RSRC2:USER_SGPR: 6
; COMPUTE_PGM_RSRC2:TRAP_HANDLER: 0
; COMPUTE_PGM_RSRC2:TGID_X_EN: 1
; COMPUTE_PGM_RSRC2:TGID_Y_EN: 0
; COMPUTE_PGM_RSRC2:TGID_Z_EN: 0
; COMPUTE_PGM_RSRC2:TIDIG_COMP_CNT: 0
; COMPUTE_PGM_RSRC3_GFX90A:ACCUM_OFFSET: 5
; COMPUTE_PGM_RSRC3_GFX90A:TG_SPLIT: 0
	.section	.text._ZN4vllm38concat_and_cache_mla_rope_fused_kernelIffLb1EfhLNS_18Fp8KVCacheDataTypeE1EEEvPKlPT_S5_PKS4_PKT0_illlliPT3_S3_iiiiPKf,"axG",@progbits,_ZN4vllm38concat_and_cache_mla_rope_fused_kernelIffLb1EfhLNS_18Fp8KVCacheDataTypeE1EEEvPKlPT_S5_PKS4_PKT0_illlliPT3_S3_iiiiPKf,comdat
	.protected	_ZN4vllm38concat_and_cache_mla_rope_fused_kernelIffLb1EfhLNS_18Fp8KVCacheDataTypeE1EEEvPKlPT_S5_PKS4_PKT0_illlliPT3_S3_iiiiPKf ; -- Begin function _ZN4vllm38concat_and_cache_mla_rope_fused_kernelIffLb1EfhLNS_18Fp8KVCacheDataTypeE1EEEvPKlPT_S5_PKS4_PKT0_illlliPT3_S3_iiiiPKf
	.globl	_ZN4vllm38concat_and_cache_mla_rope_fused_kernelIffLb1EfhLNS_18Fp8KVCacheDataTypeE1EEEvPKlPT_S5_PKS4_PKT0_illlliPT3_S3_iiiiPKf
	.p2align	8
	.type	_ZN4vllm38concat_and_cache_mla_rope_fused_kernelIffLb1EfhLNS_18Fp8KVCacheDataTypeE1EEEvPKlPT_S5_PKS4_PKT0_illlliPT3_S3_iiiiPKf,@function
_ZN4vllm38concat_and_cache_mla_rope_fused_kernelIffLb1EfhLNS_18Fp8KVCacheDataTypeE1EEEvPKlPT_S5_PKS4_PKT0_illlliPT3_S3_iiiiPKf: ; @_ZN4vllm38concat_and_cache_mla_rope_fused_kernelIffLb1EfhLNS_18Fp8KVCacheDataTypeE1EEEvPKlPT_S5_PKS4_PKT0_illlliPT3_S3_iiiiPKf
; %bb.0:
	s_load_dwordx2 s[2:3], s[4:5], 0x60
	s_mov_b32 s7, 0
	s_lshl_b64 s[0:1], s[6:7], 3
	s_waitcnt lgkmcnt(0)
	s_add_u32 s2, s2, s0
	s_addc_u32 s3, s3, s1
	s_load_dwordx2 s[26:27], s[2:3], 0x0
	s_waitcnt lgkmcnt(0)
	v_cmp_lt_i64_e64 s[2:3], s[26:27], 0
	s_and_b64 vcc, exec, s[2:3]
	s_cbranch_vccnz .LBB54_61
; %bb.1:
	s_load_dword s22, s[4:5], 0x28
	s_load_dwordx2 s[2:3], s[4:5], 0x0
	s_load_dwordx4 s[16:19], s[4:5], 0x10
	s_waitcnt lgkmcnt(0)
	s_ashr_i32 s7, s22, 31
	s_add_u32 s0, s2, s0
	s_addc_u32 s1, s3, s1
	s_load_dwordx2 s[20:21], s[0:1], 0x0
	s_load_dwordx2 s[28:29], s[4:5], 0x20
	s_load_dwordx8 s[8:15], s[4:5], 0x30
	s_load_dwordx2 s[2:3], s[4:5], 0x58
	s_load_dword s23, s[4:5], 0x50
	s_waitcnt lgkmcnt(0)
	s_mul_i32 s0, s20, s7
	s_mul_hi_u32 s1, s20, s22
	s_mul_i32 s7, s21, s22
	s_add_i32 s0, s1, s0
	s_add_i32 s1, s0, s7
	s_mul_i32 s0, s20, s22
	s_lshl_b64 s[30:31], s[0:1], 2
	s_add_u32 s7, s28, s30
	s_addc_u32 s33, s29, s31
	s_lshr_b32 s0, s22, 31
	s_add_i32 s22, s22, s0
	s_ashr_i32 s20, s22, 1
	s_mul_i32 s24, s20, s23
	v_cmp_gt_i32_e32 vcc, s24, v0
	s_and_saveexec_b64 s[0:1], vcc
	s_cbranch_execz .LBB54_4
; %bb.2:
	s_load_dwordx2 s[22:23], s[4:5], 0x8
	s_load_dword s35, s[4:5], 0x8c
	s_mul_i32 s9, s6, s9
	s_mul_hi_u32 s25, s6, s8
	s_add_i32 s9, s25, s9
	s_mul_i32 s8, s6, s8
	s_ashr_i32 s21, s20, 31
	s_lshl_b64 s[8:9], s[8:9], 2
	s_waitcnt lgkmcnt(0)
	s_add_u32 s25, s22, s8
	s_addc_u32 s37, s23, s9
	s_abs_i32 s34, s20
	v_cvt_f32_u32_e32 v1, s34
	s_sub_i32 s22, 0, s34
	s_mov_b64 s[8:9], 0
	s_and_b32 s35, s35, 0xffff
	v_rcp_iflag_f32_e32 v2, v1
	v_mov_b32_e32 v1, s33
	s_sub_i32 s36, 0, s20
	v_mov_b32_e32 v5, s37
	v_mul_f32_e32 v2, 0x4f7ffffe, v2
	v_cvt_u32_f32_e32 v2, v2
	v_mul_lo_u32 v3, s22, v2
	v_mul_hi_u32 v3, v2, v3
	s_lshl_b64 s[22:23], s[20:21], 2
	v_add_u32_e32 v3, v2, v3
	v_mov_b32_e32 v4, s23
	v_mov_b32_e32 v2, v0
.LBB54_3:                               ; =>This Inner Loop Header: Depth=1
	v_sub_u32_e32 v7, 0, v2
	v_max_i32_e32 v7, v2, v7
	v_mul_hi_u32 v8, v7, v3
	v_mul_lo_u32 v9, v8, s34
	v_sub_u32_e32 v7, v7, v9
	v_add_u32_e32 v10, 1, v8
	v_cmp_le_u32_e32 vcc, s34, v7
	v_subrev_u32_e32 v9, s34, v7
	v_cndmask_b32_e32 v8, v8, v10, vcc
	v_cndmask_b32_e32 v7, v7, v9, vcc
	v_ashrrev_i32_e32 v6, 31, v2
	v_add_u32_e32 v9, 1, v8
	v_cmp_le_u32_e32 vcc, s34, v7
	v_xor_b32_e32 v6, s21, v6
	v_cndmask_b32_e32 v7, v8, v9, vcc
	v_xor_b32_e32 v7, v7, v6
	v_sub_u32_e32 v8, v7, v6
	v_mad_u64_u32 v[6:7], s[38:39], s36, v8, v[2:3]
	v_ashrrev_i32_e32 v10, 31, v8
	v_ashrrev_i32_e32 v7, 31, v6
	v_mul_lo_u32 v11, v8, s11
	v_mad_u64_u32 v[8:9], s[38:39], v8, s10, 0
	v_mul_lo_u32 v10, v10, s10
	v_lshlrev_b64 v[6:7], 2, v[6:7]
	v_add3_u32 v9, v9, v11, v10
	v_add_co_u32_e32 v10, vcc, s7, v6
	v_addc_co_u32_e32 v11, vcc, v1, v7, vcc
	v_add_co_u32_e32 v12, vcc, s22, v10
	v_lshlrev_b64 v[8:9], 2, v[8:9]
	v_addc_co_u32_e32 v13, vcc, v11, v4, vcc
	v_add_co_u32_e32 v8, vcc, s25, v8
	v_addc_co_u32_e32 v9, vcc, v5, v9, vcc
	v_add_co_u32_e32 v6, vcc, v8, v6
	;; [unrolled: 2-line block ×3, first 2 shown]
	global_load_dword v14, v[10:11], off
	global_load_dword v15, v[12:13], off
	v_addc_co_u32_e32 v9, vcc, v7, v4, vcc
	global_load_dword v10, v[6:7], off
	global_load_dword v11, v[8:9], off
	v_add_u32_e32 v2, s35, v2
	v_cmp_le_i32_e32 vcc, s24, v2
	s_or_b64 s[8:9], vcc, s[8:9]
	s_waitcnt vmcnt(0)
	v_mul_f32_e32 v12, v15, v11
	v_mul_f32_e32 v11, v14, v11
	v_fma_f32 v12, v14, v10, -v12
	v_fmac_f32_e32 v11, v15, v10
	global_store_dword v[6:7], v12, off
	global_store_dword v[8:9], v11, off
	s_andn2_b64 exec, exec, s[8:9]
	s_cbranch_execnz .LBB54_3
.LBB54_4:
	s_or_b64 exec, exec, s[0:1]
	s_load_dwordx4 s[8:11], s[4:5], 0x68
	s_waitcnt lgkmcnt(0)
	s_ashr_i32 s35, s11, 31
	s_mov_b32 s34, s11
	s_or_b64 s[0:1], s[26:27], s[34:35]
	s_mov_b32 s0, 0
	s_cmp_lg_u64 s[0:1], 0
	s_cbranch_scc0 .LBB54_62
; %bb.5:
	s_add_u32 s0, s34, s35
	s_mov_b32 s22, s35
	s_mov_b32 s23, s35
	s_addc_u32 s1, s35, s35
	s_xor_b64 s[36:37], s[0:1], s[22:23]
	v_cvt_f32_u32_e32 v1, s36
	v_cvt_f32_u32_e32 v2, s37
	s_sub_u32 s0, 0, s36
	s_subb_u32 s1, 0, s37
	v_madmk_f32 v1, v2, 0x4f800000, v1
	v_rcp_f32_e32 v1, v1
	v_mul_f32_e32 v1, 0x5f7ffffc, v1
	v_mul_f32_e32 v2, 0x2f800000, v1
	v_trunc_f32_e32 v2, v2
	v_madmk_f32 v1, v2, 0xcf800000, v1
	v_cvt_u32_f32_e32 v2, v2
	v_cvt_u32_f32_e32 v1, v1
	v_readfirstlane_b32 s11, v2
	v_readfirstlane_b32 s21, v1
	s_mul_i32 s38, s0, s11
	s_mul_hi_u32 s40, s0, s21
	s_mul_i32 s39, s1, s21
	s_add_i32 s38, s40, s38
	s_add_i32 s38, s38, s39
	s_mul_i32 s41, s0, s21
	s_mul_hi_u32 s39, s21, s38
	s_mul_i32 s40, s21, s38
	s_mul_hi_u32 s21, s21, s41
	s_add_u32 s21, s21, s40
	s_addc_u32 s39, 0, s39
	s_mul_hi_u32 s42, s11, s41
	s_mul_i32 s41, s11, s41
	s_add_u32 s21, s21, s41
	s_mul_hi_u32 s40, s11, s38
	s_addc_u32 s21, s39, s42
	s_addc_u32 s39, s40, 0
	s_mul_i32 s38, s11, s38
	s_add_u32 s21, s21, s38
	s_addc_u32 s38, 0, s39
	v_add_co_u32_e32 v1, vcc, s21, v1
	s_cmp_lg_u64 vcc, 0
	s_addc_u32 s11, s11, s38
	v_readfirstlane_b32 s38, v1
	s_mul_i32 s21, s0, s11
	s_mul_hi_u32 s39, s0, s38
	s_add_i32 s21, s39, s21
	s_mul_i32 s1, s1, s38
	s_add_i32 s21, s21, s1
	s_mul_i32 s0, s0, s38
	s_mul_hi_u32 s39, s11, s0
	s_mul_i32 s40, s11, s0
	s_mul_i32 s42, s38, s21
	s_mul_hi_u32 s0, s38, s0
	s_mul_hi_u32 s41, s38, s21
	s_add_u32 s0, s0, s42
	s_addc_u32 s38, 0, s41
	s_add_u32 s0, s0, s40
	s_mul_hi_u32 s1, s11, s21
	s_addc_u32 s0, s38, s39
	s_addc_u32 s1, s1, 0
	s_mul_i32 s21, s11, s21
	s_add_u32 s0, s0, s21
	s_addc_u32 s1, 0, s1
	v_add_co_u32_e32 v1, vcc, s0, v1
	s_cmp_lg_u64 vcc, 0
	s_addc_u32 s11, s11, s1
	s_ashr_i32 s38, s27, 31
	s_add_u32 s0, s26, s38
	s_mov_b32 s39, s38
	s_addc_u32 s1, s27, s38
	s_xor_b64 s[40:41], s[0:1], s[38:39]
	v_readfirstlane_b32 s21, v1
	s_mul_i32 s1, s40, s11
	s_mul_hi_u32 s42, s40, s21
	s_mul_hi_u32 s0, s40, s11
	s_add_u32 s1, s42, s1
	s_addc_u32 s0, 0, s0
	s_mul_hi_u32 s43, s41, s21
	s_mul_i32 s21, s41, s21
	s_add_u32 s1, s1, s21
	s_mul_hi_u32 s42, s41, s11
	s_addc_u32 s0, s0, s43
	s_addc_u32 s1, s42, 0
	s_mul_i32 s11, s41, s11
	s_add_u32 s11, s0, s11
	s_addc_u32 s21, 0, s1
	s_mul_i32 s0, s36, s21
	s_mul_hi_u32 s1, s36, s11
	s_add_i32 s0, s1, s0
	s_mul_i32 s1, s37, s11
	s_add_i32 s42, s0, s1
	s_mul_i32 s1, s36, s11
	v_mov_b32_e32 v1, s1
	s_sub_i32 s0, s41, s42
	v_sub_co_u32_e32 v1, vcc, s40, v1
	s_cmp_lg_u64 vcc, 0
	s_subb_u32 s40, s0, s37
	v_subrev_co_u32_e64 v2, s[0:1], s36, v1
	s_cmp_lg_u64 s[0:1], 0
	s_subb_u32 s0, s40, 0
	s_cmp_ge_u32 s0, s37
	v_readfirstlane_b32 s40, v2
	s_cselect_b32 s1, -1, 0
	s_cmp_ge_u32 s40, s36
	s_cselect_b32 s40, -1, 0
	s_cmp_eq_u32 s0, s37
	s_cselect_b32 s0, s40, s1
	s_add_u32 s1, s11, 1
	s_addc_u32 s40, s21, 0
	s_add_u32 s43, s11, 2
	s_addc_u32 s44, s21, 0
	s_cmp_lg_u32 s0, 0
	s_cselect_b32 s0, s43, s1
	s_cselect_b32 s1, s44, s40
	s_cmp_lg_u64 vcc, 0
	s_subb_u32 s40, s41, s42
	s_cmp_ge_u32 s40, s37
	v_readfirstlane_b32 s42, v1
	s_cselect_b32 s41, -1, 0
	s_cmp_ge_u32 s42, s36
	s_cselect_b32 s36, -1, 0
	s_cmp_eq_u32 s40, s37
	s_cselect_b32 s36, s36, s41
	s_cmp_lg_u32 s36, 0
	s_cselect_b32 s1, s1, s21
	s_cselect_b32 s0, s0, s11
	s_xor_b64 s[22:23], s[38:39], s[22:23]
	s_xor_b64 s[0:1], s[0:1], s[22:23]
	s_sub_u32 s22, s0, s22
	s_subb_u32 s23, s1, s23
	s_cbranch_execnz .LBB54_7
.LBB54_6:
	v_cvt_f32_u32_e32 v1, s34
	s_sub_i32 s0, 0, s34
	s_mov_b32 s23, 0
	v_rcp_iflag_f32_e32 v1, v1
	v_mul_f32_e32 v1, 0x4f7ffffe, v1
	v_cvt_u32_f32_e32 v1, v1
	v_readfirstlane_b32 s1, v1
	s_mul_i32 s0, s0, s1
	s_mul_hi_u32 s0, s1, s0
	s_add_i32 s1, s1, s0
	s_mul_hi_u32 s0, s26, s1
	s_mul_i32 s11, s0, s34
	s_sub_i32 s11, s26, s11
	s_add_i32 s1, s0, 1
	s_sub_i32 s21, s11, s34
	s_cmp_ge_u32 s11, s34
	s_cselect_b32 s0, s1, s0
	s_cselect_b32 s11, s21, s11
	s_add_i32 s1, s0, 1
	s_cmp_ge_u32 s11, s34
	s_cselect_b32 s22, s1, s0
.LBB54_7:
	s_mul_i32 s0, s22, s35
	s_mul_hi_u32 s1, s22, s34
	s_load_dwordx2 s[24:25], s[4:5], 0x78
	s_add_i32 s0, s1, s0
	s_mul_i32 s1, s23, s34
	s_add_i32 s0, s0, s1
	s_mul_i32 s1, s22, s34
	s_sub_u32 s11, s26, s1
	s_subb_u32 s0, s27, s0
	v_cmp_gt_i32_e32 vcc, s20, v0
	s_mul_hi_u32 s42, s22, s8
	s_mul_i32 s43, s23, s8
	s_mul_i32 s44, s22, s8
	s_mul_hi_u32 s41, s11, s9
	s_mul_i32 s23, s0, s9
	s_mul_i32 s40, s11, s9
	s_and_saveexec_b64 s[26:27], vcc
	s_cbranch_execz .LBB54_42
; %bb.8:
	s_mul_i32 s0, s6, s13
	s_mul_hi_u32 s1, s6, s12
	s_add_i32 s1, s1, s0
	s_mul_i32 s0, s6, s12
	s_ashr_i32 s21, s20, 31
	s_lshl_b64 s[0:1], s[0:1], 2
	s_add_u32 s45, s16, s0
	s_addc_u32 s46, s17, s1
	s_ashr_i32 s12, s8, 31
	s_load_dword s13, s[4:5], 0x8c
	s_mul_i32 s12, s22, s12
	s_add_i32 s12, s42, s12
	s_add_i32 s34, s12, s43
	s_ashr_i32 s12, s9, 31
	s_mul_i32 s12, s11, s12
	s_add_i32 s12, s41, s12
	s_waitcnt lgkmcnt(0)
	s_and_b32 s48, s13, 0xffff
	s_add_i32 s35, s12, s23
	s_ashr_i32 s36, s10, 31
	s_lshl_b32 s50, s48, 2
	s_lshl_b64 s[12:13], s[20:21], 2
	s_add_u32 s30, s30, s12
	s_addc_u32 s31, s31, s13
	s_add_u32 s51, s28, s30
	s_addc_u32 s52, s29, s31
	;; [unrolled: 2-line block ×5, first 2 shown]
	s_add_u32 s0, s0, s10
	s_load_dword s47, s[24:25], 0x0
	s_addc_u32 s1, s1, s36
	s_add_u32 s0, s2, s0
	s_addc_u32 s1, s3, s1
	v_mov_b32_e32 v1, s1
	v_add_co_u32_e32 v6, vcc, s0, v0
	s_mov_b32 s49, 0
	v_mov_b32_e32 v3, 0
	v_lshlrev_b32_e32 v4, 2, v0
	v_addc_co_u32_e32 v7, vcc, 0, v1, vcc
	s_mov_b64 s[12:13], 0
	s_movk_i32 s55, 0x80
	s_mov_b64 s[16:17], 0x7f800000
	s_mov_b64 s[28:29], 0x43e00001
	s_movk_i32 s56, 0x7a
	s_mov_b64 s[30:31], 0xffffff
	s_movk_i32 s57, 0x7f
	v_mov_b32_e32 v1, 0xffffff82
	v_mov_b32_e32 v5, 0x78
	;; [unrolled: 1-line block ×3, first 2 shown]
	s_branch .LBB54_10
.LBB54_9:                               ;   in Loop: Header=BB54_10 Depth=1
	s_or_b64 exec, exec, s[0:1]
	s_add_u32 s7, s7, s50
	s_addc_u32 s33, s33, 0
	s_add_u32 s51, s51, s50
	s_addc_u32 s52, s52, 0
	s_add_u32 s53, s53, s50
	v_mov_b32_e32 v2, s21
	v_add_co_u32_e32 v12, vcc, s20, v6
	s_addc_u32 s54, s54, 0
	v_addc_co_u32_e32 v13, vcc, v7, v2, vcc
	v_add_u32_e32 v10, s48, v10
	s_add_u32 s45, s45, s50
	s_addc_u32 s46, s46, 0
	v_cmp_le_i32_e32 vcc, s20, v10
	v_mov_b32_e32 v2, s49
	s_or_b64 s[12:13], vcc, s[12:13]
	v_add_co_u32_e32 v6, vcc, s48, v6
	v_addc_co_u32_e32 v7, vcc, v7, v2, vcc
	global_store_byte v[12:13], v9, off
	s_andn2_b64 exec, exec, s[12:13]
	s_cbranch_execz .LBB54_42
.LBB54_10:                              ; =>This Inner Loop Header: Depth=1
	v_mov_b32_e32 v2, s33
	v_add_co_u32_e32 v8, vcc, s7, v4
	v_addc_co_u32_e32 v9, vcc, 0, v2, vcc
	global_load_dword v2, v[8:9], off
	v_mov_b32_e32 v9, s52
	v_add_co_u32_e32 v8, vcc, s51, v4
	v_addc_co_u32_e32 v9, vcc, 0, v9, vcc
	global_load_dword v14, v[8:9], off
	v_mov_b32_e32 v9, s54
	v_add_co_u32_e32 v8, vcc, s53, v4
	v_addc_co_u32_e32 v9, vcc, 0, v9, vcc
	v_mov_b32_e32 v11, s46
	v_add_co_u32_e32 v12, vcc, s45, v4
	global_load_dword v16, v[8:9], off
	v_addc_co_u32_e32 v13, vcc, 0, v11, vcc
	global_load_dword v17, v[12:13], off
	v_mov_b32_e32 v15, v3
	s_waitcnt vmcnt(1)
	v_mul_f32_e32 v18, v14, v16
	v_mul_f32_e32 v11, v2, v16
	s_waitcnt vmcnt(0)
	v_fma_f32 v2, v2, v17, -v18
	global_store_dword v[12:13], v2, off
	s_waitcnt lgkmcnt(0)
	v_div_scale_f32 v12, s[0:1], s47, s47, v2
	v_rcp_f32_e32 v13, v12
	v_fmac_f32_e32 v11, v14, v17
	global_store_dword v[8:9], v11, off
	v_div_scale_f32 v8, vcc, v2, s47, v2
	v_fma_f32 v9, -v12, v13, 1.0
	v_fmac_f32_e32 v13, v9, v13
	v_mul_f32_e32 v9, v8, v13
	v_fma_f32 v14, -v12, v9, v8
	v_fmac_f32_e32 v9, v14, v13
	v_fma_f32 v8, -v12, v9, v8
	v_div_fmas_f32 v8, v8, v13, v9
	v_div_fixup_f32 v8, v8, s47, v2
	v_and_b32_sdwa v12, v8, s55 dst_sel:DWORD dst_unused:UNUSED_PAD src0_sel:BYTE_3 src1_sel:DWORD
	v_and_b32_e32 v14, 0x7f800000, v8
	v_and_b32_e32 v2, 0x7fffff, v8
	v_or_b32_e32 v9, 0x7e, v12
	v_cmp_ne_u64_e32 vcc, s[16:17], v[14:15]
	s_and_saveexec_b64 s[0:1], vcc
	s_xor_b64 s[34:35], exec, s[0:1]
	s_cbranch_execz .LBB54_24
; %bb.11:                               ;   in Loop: Header=BB54_10 Depth=1
	v_and_b32_e32 v14, 0x7fffffff, v8
	v_mov_b32_e32 v15, v3
	v_cmp_gt_u64_e32 vcc, s[28:29], v[14:15]
	s_and_saveexec_b64 s[0:1], vcc
	s_xor_b64 s[36:37], exec, s[0:1]
	s_cbranch_execz .LBB54_23
; %bb.12:                               ;   in Loop: Header=BB54_10 Depth=1
	v_cmp_ne_u32_e32 vcc, 0, v8
	v_mov_b32_e32 v9, 0
	s_and_saveexec_b64 s[38:39], vcc
	s_cbranch_execz .LBB54_22
; %bb.13:                               ;   in Loop: Header=BB54_10 Depth=1
	v_bfe_u32 v8, v8, 23, 8
	v_sub_u32_e32 v13, 0x79, v8
	v_cmp_gt_u32_e32 vcc, s56, v8
	v_cndmask_b32_e32 v13, 0, v13, vcc
	v_cmp_eq_u32_e32 vcc, 0, v8
	v_cndmask_b32_e32 v13, v13, v5, vcc
	v_add_u32_e32 v9, 0xffffff81, v8
	v_or_b32_e32 v14, 0x800000, v2
	v_add_u32_e32 v8, 20, v13
	v_cndmask_b32_e32 v15, v9, v1, vcc
	v_cndmask_b32_e32 v2, v14, v2, vcc
	v_lshlrev_b64 v[8:9], v8, -1
	v_not_b32_e32 v8, v8
	v_lshrrev_b64 v[18:19], v13, v[2:3]
	v_not_b32_e32 v9, v9
	v_and_b32_e32 v8, v2, v8
	v_add_u32_e32 v14, 19, v13
	v_lshrrev_b32_e32 v2, 23, v18
	v_and_b32_e32 v9, 0, v9
	v_lshlrev_b64 v[16:17], v14, 1
	v_add3_u32 v14, v13, v15, v2
	v_bfe_u32 v2, v18, 20, 1
	v_add_u32_e32 v2, -1, v2
	v_cmp_eq_u64_e32 vcc, v[8:9], v[16:17]
	v_cndmask_b32_e32 v2, 0, v2, vcc
	v_add_u32_e32 v2, v2, v18
	v_and_b32_e32 v2, 0xfffff, v2
	v_add_co_u32_e32 v8, vcc, v2, v18
	v_add_u32_e32 v13, 6, v14
	v_addc_co_u32_e32 v9, vcc, 0, v19, vcc
	v_cmp_ne_u32_e32 vcc, 0, v13
                                        ; implicit-def: $vgpr2
	s_and_saveexec_b64 s[0:1], vcc
	s_xor_b64 s[0:1], exec, s[0:1]
; %bb.14:                               ;   in Loop: Header=BB54_10 Depth=1
	v_add_u32_e32 v2, 7, v14
	v_cmp_lt_u64_e32 vcc, s[30:31], v[8:9]
	v_cndmask_b32_e32 v2, v13, v2, vcc
	v_cndmask_b32_e64 v13, 0, 1, vcc
	v_lshrrev_b64 v[8:9], v13, v[8:9]
; %bb.15:                               ;   in Loop: Header=BB54_10 Depth=1
	s_andn2_saveexec_b64 s[0:1], s[0:1]
; %bb.16:                               ;   in Loop: Header=BB54_10 Depth=1
	v_bfe_u32 v2, v8, 23, 1
; %bb.17:                               ;   in Loop: Header=BB54_10 Depth=1
	s_or_b64 exec, exec, s[0:1]
	v_lshrrev_b64 v[8:9], 20, v[8:9]
	v_cmp_gt_i32_e32 vcc, 16, v2
	v_cndmask_b32_e32 v9, 0, v9, vcc
	v_cndmask_b32_e32 v8, 7, v8, vcc
	v_cmp_ne_u32_e32 vcc, 0, v2
	v_cmp_ne_u64_e64 s[0:1], 0, v[8:9]
	s_or_b64 s[0:1], vcc, s[0:1]
                                        ; implicit-def: $vgpr9
	s_and_saveexec_b64 s[58:59], s[0:1]
	s_xor_b64 s[0:1], exec, s[58:59]
; %bb.18:                               ;   in Loop: Header=BB54_10 Depth=1
	v_min_i32_e32 v2, 15, v2
	v_lshl_or_b32 v2, v2, 3, v12
	v_and_or_b32 v9, v8, 7, v2
                                        ; implicit-def: $vgpr12
; %bb.19:                               ;   in Loop: Header=BB54_10 Depth=1
	s_andn2_saveexec_b64 s[0:1], s[0:1]
; %bb.20:                               ;   in Loop: Header=BB54_10 Depth=1
	v_mov_b32_e32 v9, v12
; %bb.21:                               ;   in Loop: Header=BB54_10 Depth=1
	s_or_b64 exec, exec, s[0:1]
.LBB54_22:                              ;   in Loop: Header=BB54_10 Depth=1
	s_or_b64 exec, exec, s[38:39]
.LBB54_23:                              ;   in Loop: Header=BB54_10 Depth=1
	s_andn2_saveexec_b64 s[0:1], s[36:37]
	s_or_b64 exec, exec, s[0:1]
                                        ; implicit-def: $vgpr8
.LBB54_24:                              ;   in Loop: Header=BB54_10 Depth=1
	s_andn2_saveexec_b64 s[0:1], s[34:35]
; %bb.25:                               ;   in Loop: Header=BB54_10 Depth=1
	v_or_b32_sdwa v8, v8, s57 dst_sel:DWORD dst_unused:UNUSED_PAD src0_sel:BYTE_3 src1_sel:DWORD
	v_cmp_eq_u64_e32 vcc, 0, v[2:3]
	v_cndmask_b32_e32 v9, v8, v9, vcc
; %bb.26:                               ;   in Loop: Header=BB54_10 Depth=1
	s_or_b64 exec, exec, s[0:1]
	v_div_scale_f32 v2, s[0:1], s47, s47, v11
	v_rcp_f32_e32 v8, v2
	global_store_byte v[6:7], v9, off
	v_fma_f32 v9, -v2, v8, 1.0
	v_fmac_f32_e32 v8, v9, v8
	v_div_scale_f32 v9, vcc, v11, s47, v11
	v_mul_f32_e32 v12, v9, v8
	v_fma_f32 v13, -v2, v12, v9
	v_fmac_f32_e32 v12, v13, v8
	v_fma_f32 v2, -v2, v12, v9
	v_div_fmas_f32 v2, v2, v8, v12
	v_div_fixup_f32 v8, v2, s47, v11
	v_and_b32_sdwa v11, v8, s55 dst_sel:DWORD dst_unused:UNUSED_PAD src0_sel:BYTE_3 src1_sel:DWORD
	v_and_b32_e32 v12, 0x7f800000, v8
	v_mov_b32_e32 v13, v3
	v_and_b32_e32 v2, 0x7fffff, v8
	v_or_b32_e32 v9, 0x7e, v11
	v_cmp_ne_u64_e32 vcc, s[16:17], v[12:13]
	s_and_saveexec_b64 s[0:1], vcc
	s_xor_b64 s[34:35], exec, s[0:1]
	s_cbranch_execz .LBB54_40
; %bb.27:                               ;   in Loop: Header=BB54_10 Depth=1
	v_and_b32_e32 v12, 0x7fffffff, v8
	v_mov_b32_e32 v13, v3
	v_cmp_gt_u64_e32 vcc, s[28:29], v[12:13]
	s_and_saveexec_b64 s[0:1], vcc
	s_xor_b64 s[36:37], exec, s[0:1]
	s_cbranch_execz .LBB54_39
; %bb.28:                               ;   in Loop: Header=BB54_10 Depth=1
	v_cmp_ne_u32_e32 vcc, 0, v8
	v_mov_b32_e32 v9, 0
	s_and_saveexec_b64 s[38:39], vcc
	s_cbranch_execz .LBB54_38
; %bb.29:                               ;   in Loop: Header=BB54_10 Depth=1
	v_bfe_u32 v8, v8, 23, 8
	v_sub_u32_e32 v12, 0x79, v8
	v_cmp_gt_u32_e32 vcc, s56, v8
	v_cndmask_b32_e32 v12, 0, v12, vcc
	v_cmp_eq_u32_e32 vcc, 0, v8
	v_cndmask_b32_e32 v12, v12, v5, vcc
	v_add_u32_e32 v9, 0xffffff81, v8
	v_or_b32_e32 v13, 0x800000, v2
	v_add_u32_e32 v8, 20, v12
	v_cndmask_b32_e32 v18, v9, v1, vcc
	v_cndmask_b32_e32 v2, v13, v2, vcc
	v_lshlrev_b64 v[8:9], v8, -1
	v_not_b32_e32 v8, v8
	v_lshrrev_b64 v[16:17], v12, v[2:3]
	v_not_b32_e32 v9, v9
	v_and_b32_e32 v8, v2, v8
	v_add_u32_e32 v13, 19, v12
	v_lshrrev_b32_e32 v2, 23, v16
	v_and_b32_e32 v9, 0, v9
	v_lshlrev_b64 v[14:15], v13, 1
	v_add3_u32 v13, v12, v18, v2
	v_bfe_u32 v2, v16, 20, 1
	v_add_u32_e32 v2, -1, v2
	v_cmp_eq_u64_e32 vcc, v[8:9], v[14:15]
	v_cndmask_b32_e32 v2, 0, v2, vcc
	v_add_u32_e32 v2, v2, v16
	v_and_b32_e32 v2, 0xfffff, v2
	v_add_co_u32_e32 v8, vcc, v2, v16
	v_add_u32_e32 v12, 6, v13
	v_addc_co_u32_e32 v9, vcc, 0, v17, vcc
	v_cmp_ne_u32_e32 vcc, 0, v12
                                        ; implicit-def: $vgpr2
	s_and_saveexec_b64 s[0:1], vcc
	s_xor_b64 s[0:1], exec, s[0:1]
; %bb.30:                               ;   in Loop: Header=BB54_10 Depth=1
	v_add_u32_e32 v2, 7, v13
	v_cmp_lt_u64_e32 vcc, s[30:31], v[8:9]
	v_cndmask_b32_e32 v2, v12, v2, vcc
	v_cndmask_b32_e64 v12, 0, 1, vcc
	v_lshrrev_b64 v[8:9], v12, v[8:9]
; %bb.31:                               ;   in Loop: Header=BB54_10 Depth=1
	s_andn2_saveexec_b64 s[0:1], s[0:1]
; %bb.32:                               ;   in Loop: Header=BB54_10 Depth=1
	v_bfe_u32 v2, v8, 23, 1
; %bb.33:                               ;   in Loop: Header=BB54_10 Depth=1
	s_or_b64 exec, exec, s[0:1]
	v_lshrrev_b64 v[8:9], 20, v[8:9]
	v_cmp_gt_i32_e32 vcc, 16, v2
	v_cndmask_b32_e32 v9, 0, v9, vcc
	v_cndmask_b32_e32 v8, 7, v8, vcc
	v_cmp_ne_u32_e32 vcc, 0, v2
	v_cmp_ne_u64_e64 s[0:1], 0, v[8:9]
	s_or_b64 s[0:1], vcc, s[0:1]
                                        ; implicit-def: $vgpr9
	s_and_saveexec_b64 s[58:59], s[0:1]
	s_xor_b64 s[0:1], exec, s[58:59]
; %bb.34:                               ;   in Loop: Header=BB54_10 Depth=1
	v_min_i32_e32 v2, 15, v2
	v_lshl_or_b32 v2, v2, 3, v11
	v_and_or_b32 v9, v8, 7, v2
                                        ; implicit-def: $vgpr11
; %bb.35:                               ;   in Loop: Header=BB54_10 Depth=1
	s_andn2_saveexec_b64 s[0:1], s[0:1]
; %bb.36:                               ;   in Loop: Header=BB54_10 Depth=1
	v_mov_b32_e32 v9, v11
; %bb.37:                               ;   in Loop: Header=BB54_10 Depth=1
	s_or_b64 exec, exec, s[0:1]
.LBB54_38:                              ;   in Loop: Header=BB54_10 Depth=1
	s_or_b64 exec, exec, s[38:39]
.LBB54_39:                              ;   in Loop: Header=BB54_10 Depth=1
	s_andn2_saveexec_b64 s[0:1], s[36:37]
	s_or_b64 exec, exec, s[0:1]
                                        ; implicit-def: $vgpr8
.LBB54_40:                              ;   in Loop: Header=BB54_10 Depth=1
	s_andn2_saveexec_b64 s[0:1], s[34:35]
	s_cbranch_execz .LBB54_9
; %bb.41:                               ;   in Loop: Header=BB54_10 Depth=1
	v_or_b32_sdwa v8, v8, s57 dst_sel:DWORD dst_unused:UNUSED_PAD src0_sel:BYTE_3 src1_sel:DWORD
	v_cmp_eq_u64_e32 vcc, 0, v[2:3]
	v_cndmask_b32_e32 v9, v8, v9, vcc
	s_branch .LBB54_9
.LBB54_42:
	s_or_b64 exec, exec, s[26:27]
	v_cmp_gt_i32_e32 vcc, s10, v0
	s_and_saveexec_b64 s[0:1], vcc
	s_cbranch_execz .LBB54_61
; %bb.43:
	s_mul_i32 s0, s6, s15
	s_mul_hi_u32 s1, s6, s14
	s_add_i32 s1, s1, s0
	s_mul_i32 s0, s6, s14
	s_lshl_b64 s[0:1], s[0:1], 2
	s_add_u32 s18, s18, s0
	s_addc_u32 s0, s19, s1
	s_ashr_i32 s1, s8, 31
	s_mul_i32 s1, s22, s1
	s_add_i32 s1, s42, s1
	s_add_i32 s1, s1, s43
	s_add_u32 s2, s2, s44
	s_addc_u32 s1, s3, s1
	s_ashr_i32 s3, s9, 31
	s_load_dword s4, s[4:5], 0x8c
	s_mul_i32 s11, s11, s3
	s_waitcnt lgkmcnt(0)
	s_load_dword s20, s[24:25], 0x0
	s_add_i32 s3, s41, s11
	s_add_i32 s3, s3, s23
	s_add_u32 s11, s2, s40
	s_addc_u32 s19, s1, s3
	s_and_b32 s21, s4, 0xffff
	s_mov_b64 s[2:3], 0
	v_mov_b32_e32 v6, s0
	v_mov_b32_e32 v3, 0
	s_movk_i32 s22, 0x80
	s_mov_b64 s[4:5], 0x7f800000
	s_mov_b64 s[6:7], 0x43e00001
	s_movk_i32 s23, 0x7a
	s_mov_b64 s[8:9], 0xffffff
	s_movk_i32 s24, 0x7f
	v_mov_b32_e32 v7, 0xffffff82
	v_mov_b32_e32 v8, 0x78
	s_branch .LBB54_45
.LBB54_44:                              ;   in Loop: Header=BB54_45 Depth=1
	s_or_b64 exec, exec, s[0:1]
	v_mov_b32_e32 v2, s19
	v_add_co_u32_e32 v10, vcc, s11, v0
	v_addc_co_u32_e32 v11, vcc, v2, v1, vcc
	v_add_u32_e32 v0, s21, v0
	v_cmp_le_i32_e32 vcc, s10, v0
	s_or_b64 s[2:3], vcc, s[2:3]
	global_store_byte v[10:11], v5, off
	s_andn2_b64 exec, exec, s[2:3]
	s_cbranch_execz .LBB54_61
.LBB54_45:                              ; =>This Inner Loop Header: Depth=1
	v_ashrrev_i32_e32 v1, 31, v0
	v_lshlrev_b64 v[4:5], 2, v[0:1]
	v_add_co_u32_e32 v4, vcc, s18, v4
	v_addc_co_u32_e32 v5, vcc, v6, v5, vcc
	global_load_dword v2, v[4:5], off
	v_mov_b32_e32 v11, v3
	s_waitcnt vmcnt(0) lgkmcnt(0)
	v_div_scale_f32 v4, s[0:1], s20, s20, v2
	v_rcp_f32_e32 v5, v4
	v_div_scale_f32 v9, vcc, v2, s20, v2
	v_fma_f32 v10, -v4, v5, 1.0
	v_fmac_f32_e32 v5, v10, v5
	v_mul_f32_e32 v10, v9, v5
	v_fma_f32 v12, -v4, v10, v9
	v_fmac_f32_e32 v10, v12, v5
	v_fma_f32 v4, -v4, v10, v9
	v_div_fmas_f32 v4, v4, v5, v10
	v_div_fixup_f32 v4, v4, s20, v2
	v_and_b32_sdwa v9, v4, s22 dst_sel:DWORD dst_unused:UNUSED_PAD src0_sel:BYTE_3 src1_sel:DWORD
	v_and_b32_e32 v10, 0x7f800000, v4
	v_and_b32_e32 v2, 0x7fffff, v4
	v_or_b32_e32 v5, 0x7e, v9
	v_cmp_ne_u64_e32 vcc, s[4:5], v[10:11]
	s_and_saveexec_b64 s[0:1], vcc
	s_xor_b64 s[12:13], exec, s[0:1]
	s_cbranch_execz .LBB54_59
; %bb.46:                               ;   in Loop: Header=BB54_45 Depth=1
	v_and_b32_e32 v10, 0x7fffffff, v4
	v_mov_b32_e32 v11, v3
	v_cmp_gt_u64_e32 vcc, s[6:7], v[10:11]
	s_and_saveexec_b64 s[0:1], vcc
	s_xor_b64 s[14:15], exec, s[0:1]
	s_cbranch_execz .LBB54_58
; %bb.47:                               ;   in Loop: Header=BB54_45 Depth=1
	v_cmp_ne_u32_e32 vcc, 0, v4
	v_mov_b32_e32 v5, 0
	s_and_saveexec_b64 s[16:17], vcc
	s_cbranch_execz .LBB54_57
; %bb.48:                               ;   in Loop: Header=BB54_45 Depth=1
	v_bfe_u32 v4, v4, 23, 8
	v_sub_u32_e32 v10, 0x79, v4
	v_cmp_gt_u32_e32 vcc, s23, v4
	v_cndmask_b32_e32 v10, 0, v10, vcc
	v_cmp_eq_u32_e32 vcc, 0, v4
	v_cndmask_b32_e32 v10, v10, v8, vcc
	v_add_u32_e32 v5, 0xffffff81, v4
	v_or_b32_e32 v11, 0x800000, v2
	v_add_u32_e32 v4, 20, v10
	v_cndmask_b32_e32 v16, v5, v7, vcc
	v_cndmask_b32_e32 v2, v11, v2, vcc
	v_lshlrev_b64 v[4:5], v4, -1
	v_not_b32_e32 v4, v4
	v_lshrrev_b64 v[14:15], v10, v[2:3]
	v_not_b32_e32 v5, v5
	v_and_b32_e32 v4, v2, v4
	v_add_u32_e32 v11, 19, v10
	v_lshrrev_b32_e32 v2, 23, v14
	v_and_b32_e32 v5, 0, v5
	v_lshlrev_b64 v[12:13], v11, 1
	v_add3_u32 v11, v10, v16, v2
	v_bfe_u32 v2, v14, 20, 1
	v_add_u32_e32 v2, -1, v2
	v_cmp_eq_u64_e32 vcc, v[4:5], v[12:13]
	v_cndmask_b32_e32 v2, 0, v2, vcc
	v_add_u32_e32 v2, v2, v14
	v_and_b32_e32 v2, 0xfffff, v2
	v_add_co_u32_e32 v4, vcc, v2, v14
	v_add_u32_e32 v10, 6, v11
	v_addc_co_u32_e32 v5, vcc, 0, v15, vcc
	v_cmp_ne_u32_e32 vcc, 0, v10
                                        ; implicit-def: $vgpr2
	s_and_saveexec_b64 s[0:1], vcc
	s_xor_b64 s[0:1], exec, s[0:1]
; %bb.49:                               ;   in Loop: Header=BB54_45 Depth=1
	v_add_u32_e32 v2, 7, v11
	v_cmp_lt_u64_e32 vcc, s[8:9], v[4:5]
	v_cndmask_b32_e32 v2, v10, v2, vcc
	v_cndmask_b32_e64 v10, 0, 1, vcc
	v_lshrrev_b64 v[4:5], v10, v[4:5]
; %bb.50:                               ;   in Loop: Header=BB54_45 Depth=1
	s_andn2_saveexec_b64 s[0:1], s[0:1]
; %bb.51:                               ;   in Loop: Header=BB54_45 Depth=1
	v_bfe_u32 v2, v4, 23, 1
; %bb.52:                               ;   in Loop: Header=BB54_45 Depth=1
	s_or_b64 exec, exec, s[0:1]
	v_lshrrev_b64 v[4:5], 20, v[4:5]
	v_cmp_gt_i32_e32 vcc, 16, v2
	v_cndmask_b32_e32 v5, 0, v5, vcc
	v_cndmask_b32_e32 v4, 7, v4, vcc
	v_cmp_ne_u32_e32 vcc, 0, v2
	v_cmp_ne_u64_e64 s[0:1], 0, v[4:5]
	s_or_b64 s[0:1], vcc, s[0:1]
                                        ; implicit-def: $vgpr5
	s_and_saveexec_b64 s[26:27], s[0:1]
	s_xor_b64 s[0:1], exec, s[26:27]
; %bb.53:                               ;   in Loop: Header=BB54_45 Depth=1
	v_min_i32_e32 v2, 15, v2
	v_lshl_or_b32 v2, v2, 3, v9
	v_and_or_b32 v5, v4, 7, v2
                                        ; implicit-def: $vgpr9
; %bb.54:                               ;   in Loop: Header=BB54_45 Depth=1
	s_andn2_saveexec_b64 s[0:1], s[0:1]
; %bb.55:                               ;   in Loop: Header=BB54_45 Depth=1
	v_mov_b32_e32 v5, v9
; %bb.56:                               ;   in Loop: Header=BB54_45 Depth=1
	s_or_b64 exec, exec, s[0:1]
.LBB54_57:                              ;   in Loop: Header=BB54_45 Depth=1
	s_or_b64 exec, exec, s[16:17]
.LBB54_58:                              ;   in Loop: Header=BB54_45 Depth=1
	s_andn2_saveexec_b64 s[0:1], s[14:15]
	s_or_b64 exec, exec, s[0:1]
                                        ; implicit-def: $vgpr4
.LBB54_59:                              ;   in Loop: Header=BB54_45 Depth=1
	s_andn2_saveexec_b64 s[0:1], s[12:13]
	s_cbranch_execz .LBB54_44
; %bb.60:                               ;   in Loop: Header=BB54_45 Depth=1
	v_or_b32_sdwa v4, v4, s24 dst_sel:DWORD dst_unused:UNUSED_PAD src0_sel:BYTE_3 src1_sel:DWORD
	v_cmp_eq_u64_e32 vcc, 0, v[2:3]
	v_cndmask_b32_e32 v5, v4, v5, vcc
	s_branch .LBB54_44
.LBB54_61:
	s_endpgm
.LBB54_62:
                                        ; implicit-def: $sgpr22_sgpr23
	s_branch .LBB54_6
	.section	.rodata,"a",@progbits
	.p2align	6, 0x0
	.amdhsa_kernel _ZN4vllm38concat_and_cache_mla_rope_fused_kernelIffLb1EfhLNS_18Fp8KVCacheDataTypeE1EEEvPKlPT_S5_PKS4_PKT0_illlliPT3_S3_iiiiPKf
		.amdhsa_group_segment_fixed_size 0
		.amdhsa_private_segment_fixed_size 0
		.amdhsa_kernarg_size 384
		.amdhsa_user_sgpr_count 6
		.amdhsa_user_sgpr_private_segment_buffer 1
		.amdhsa_user_sgpr_dispatch_ptr 0
		.amdhsa_user_sgpr_queue_ptr 0
		.amdhsa_user_sgpr_kernarg_segment_ptr 1
		.amdhsa_user_sgpr_dispatch_id 0
		.amdhsa_user_sgpr_flat_scratch_init 0
		.amdhsa_user_sgpr_kernarg_preload_length 0
		.amdhsa_user_sgpr_kernarg_preload_offset 0
		.amdhsa_user_sgpr_private_segment_size 0
		.amdhsa_uses_dynamic_stack 0
		.amdhsa_system_sgpr_private_segment_wavefront_offset 0
		.amdhsa_system_sgpr_workgroup_id_x 1
		.amdhsa_system_sgpr_workgroup_id_y 0
		.amdhsa_system_sgpr_workgroup_id_z 0
		.amdhsa_system_sgpr_workgroup_info 0
		.amdhsa_system_vgpr_workitem_id 0
		.amdhsa_next_free_vgpr 20
		.amdhsa_next_free_sgpr 60
		.amdhsa_accum_offset 20
		.amdhsa_reserve_vcc 1
		.amdhsa_reserve_flat_scratch 0
		.amdhsa_float_round_mode_32 0
		.amdhsa_float_round_mode_16_64 0
		.amdhsa_float_denorm_mode_32 3
		.amdhsa_float_denorm_mode_16_64 3
		.amdhsa_dx10_clamp 1
		.amdhsa_ieee_mode 1
		.amdhsa_fp16_overflow 0
		.amdhsa_tg_split 0
		.amdhsa_exception_fp_ieee_invalid_op 0
		.amdhsa_exception_fp_denorm_src 0
		.amdhsa_exception_fp_ieee_div_zero 0
		.amdhsa_exception_fp_ieee_overflow 0
		.amdhsa_exception_fp_ieee_underflow 0
		.amdhsa_exception_fp_ieee_inexact 0
		.amdhsa_exception_int_div_zero 0
	.end_amdhsa_kernel
	.section	.text._ZN4vllm38concat_and_cache_mla_rope_fused_kernelIffLb1EfhLNS_18Fp8KVCacheDataTypeE1EEEvPKlPT_S5_PKS4_PKT0_illlliPT3_S3_iiiiPKf,"axG",@progbits,_ZN4vllm38concat_and_cache_mla_rope_fused_kernelIffLb1EfhLNS_18Fp8KVCacheDataTypeE1EEEvPKlPT_S5_PKS4_PKT0_illlliPT3_S3_iiiiPKf,comdat
.Lfunc_end54:
	.size	_ZN4vllm38concat_and_cache_mla_rope_fused_kernelIffLb1EfhLNS_18Fp8KVCacheDataTypeE1EEEvPKlPT_S5_PKS4_PKT0_illlliPT3_S3_iiiiPKf, .Lfunc_end54-_ZN4vllm38concat_and_cache_mla_rope_fused_kernelIffLb1EfhLNS_18Fp8KVCacheDataTypeE1EEEvPKlPT_S5_PKS4_PKT0_illlliPT3_S3_iiiiPKf
                                        ; -- End function
	.section	.AMDGPU.csdata,"",@progbits
; Kernel info:
; codeLenInByte = 3608
; NumSgprs: 64
; NumVgprs: 20
; NumAgprs: 0
; TotalNumVgprs: 20
; ScratchSize: 0
; MemoryBound: 0
; FloatMode: 240
; IeeeMode: 1
; LDSByteSize: 0 bytes/workgroup (compile time only)
; SGPRBlocks: 7
; VGPRBlocks: 2
; NumSGPRsForWavesPerEU: 64
; NumVGPRsForWavesPerEU: 20
; AccumOffset: 20
; Occupancy: 8
; WaveLimiterHint : 1
; COMPUTE_PGM_RSRC2:SCRATCH_EN: 0
; COMPUTE_PGM_RSRC2:USER_SGPR: 6
; COMPUTE_PGM_RSRC2:TRAP_HANDLER: 0
; COMPUTE_PGM_RSRC2:TGID_X_EN: 1
; COMPUTE_PGM_RSRC2:TGID_Y_EN: 0
; COMPUTE_PGM_RSRC2:TGID_Z_EN: 0
; COMPUTE_PGM_RSRC2:TIDIG_COMP_CNT: 0
; COMPUTE_PGM_RSRC3_GFX90A:ACCUM_OFFSET: 4
; COMPUTE_PGM_RSRC3_GFX90A:TG_SPLIT: 0
	.section	.text._ZN4vllm38concat_and_cache_mla_rope_fused_kernelIffLb0EfhLNS_18Fp8KVCacheDataTypeE1EEEvPKlPT_S5_PKS4_PKT0_illlliPT3_S3_iiiiPKf,"axG",@progbits,_ZN4vllm38concat_and_cache_mla_rope_fused_kernelIffLb0EfhLNS_18Fp8KVCacheDataTypeE1EEEvPKlPT_S5_PKS4_PKT0_illlliPT3_S3_iiiiPKf,comdat
	.protected	_ZN4vllm38concat_and_cache_mla_rope_fused_kernelIffLb0EfhLNS_18Fp8KVCacheDataTypeE1EEEvPKlPT_S5_PKS4_PKT0_illlliPT3_S3_iiiiPKf ; -- Begin function _ZN4vllm38concat_and_cache_mla_rope_fused_kernelIffLb0EfhLNS_18Fp8KVCacheDataTypeE1EEEvPKlPT_S5_PKS4_PKT0_illlliPT3_S3_iiiiPKf
	.globl	_ZN4vllm38concat_and_cache_mla_rope_fused_kernelIffLb0EfhLNS_18Fp8KVCacheDataTypeE1EEEvPKlPT_S5_PKS4_PKT0_illlliPT3_S3_iiiiPKf
	.p2align	8
	.type	_ZN4vllm38concat_and_cache_mla_rope_fused_kernelIffLb0EfhLNS_18Fp8KVCacheDataTypeE1EEEvPKlPT_S5_PKS4_PKT0_illlliPT3_S3_iiiiPKf,@function
_ZN4vllm38concat_and_cache_mla_rope_fused_kernelIffLb0EfhLNS_18Fp8KVCacheDataTypeE1EEEvPKlPT_S5_PKS4_PKT0_illlliPT3_S3_iiiiPKf: ; @_ZN4vllm38concat_and_cache_mla_rope_fused_kernelIffLb0EfhLNS_18Fp8KVCacheDataTypeE1EEEvPKlPT_S5_PKS4_PKT0_illlliPT3_S3_iiiiPKf
; %bb.0:
	s_load_dwordx2 s[2:3], s[4:5], 0x60
	s_mov_b32 s7, 0
	s_lshl_b64 s[0:1], s[6:7], 3
	s_waitcnt lgkmcnt(0)
	s_add_u32 s2, s2, s0
	s_addc_u32 s3, s3, s1
	s_load_dwordx2 s[26:27], s[2:3], 0x0
	s_waitcnt lgkmcnt(0)
	v_cmp_lt_i64_e64 s[2:3], s[26:27], 0
	s_and_b64 vcc, exec, s[2:3]
	s_cbranch_vccnz .LBB55_61
; %bb.1:
	s_load_dword s7, s[4:5], 0x28
	s_load_dwordx2 s[2:3], s[4:5], 0x0
	s_load_dwordx4 s[16:19], s[4:5], 0x10
	v_lshlrev_b32_e32 v1, 1, v0
	s_waitcnt lgkmcnt(0)
	s_ashr_i32 s22, s7, 31
	s_add_u32 s0, s2, s0
	s_addc_u32 s1, s3, s1
	s_load_dwordx2 s[20:21], s[0:1], 0x0
	s_load_dwordx2 s[28:29], s[4:5], 0x20
	s_load_dwordx8 s[8:15], s[4:5], 0x30
	s_load_dwordx2 s[2:3], s[4:5], 0x58
	s_load_dword s23, s[4:5], 0x50
	s_waitcnt lgkmcnt(0)
	s_mul_i32 s0, s20, s22
	s_mul_hi_u32 s1, s20, s7
	s_mul_i32 s21, s21, s7
	s_add_i32 s0, s1, s0
	s_add_i32 s31, s0, s21
	s_lshr_b32 s0, s7, 31
	s_mul_i32 s30, s20, s7
	s_add_i32 s7, s7, s0
	s_ashr_i32 s20, s7, 1
	s_mul_i32 s7, s20, s23
	v_cmp_gt_i32_e32 vcc, s7, v0
	s_and_saveexec_b64 s[0:1], vcc
	s_cbranch_execz .LBB55_4
; %bb.2:
	s_lshl_b64 s[22:23], s[30:31], 2
	s_add_u32 s24, s28, s22
	s_addc_u32 s38, s29, s23
	s_load_dwordx2 s[22:23], s[4:5], 0x8
	s_load_dword s34, s[4:5], 0x8c
	s_mul_i32 s9, s6, s9
	s_mul_hi_u32 s25, s6, s8
	s_add_i32 s9, s25, s9
	s_mul_i32 s8, s6, s8
	s_ashr_i32 s21, s20, 31
	s_lshl_b64 s[8:9], s[8:9], 2
	s_waitcnt lgkmcnt(0)
	s_add_u32 s25, s22, s8
	s_addc_u32 s39, s23, s9
	s_abs_i32 s33, s20
	v_cvt_f32_u32_e32 v2, s33
	s_sub_i32 s8, 0, s33
	s_and_b32 s34, s34, 0xffff
	s_lshl_b64 s[22:23], s[20:21], 2
	v_rcp_iflag_f32_e32 v2, v2
	s_sub_i32 s35, 0, s20
	s_lshl_b32 s37, s34, 1
	v_mov_b32_e32 v5, s38
	v_mul_f32_e32 v2, 0x4f7ffffe, v2
	v_cvt_u32_f32_e32 v2, v2
	v_mov_b32_e32 v6, s23
	v_mov_b32_e32 v7, s39
	;; [unrolled: 1-line block ×3, first 2 shown]
	v_mul_lo_u32 v3, s8, v2
	v_mul_hi_u32 v3, v2, v3
	s_lshl_b32 s8, s20, 1
	v_add_u32_e32 v3, v2, v3
	s_sub_i32 s36, 0, s8
	s_mov_b64 s[8:9], 0
	v_mov_b32_e32 v2, v1
.LBB55_3:                               ; =>This Inner Loop Header: Depth=1
	v_sub_u32_e32 v9, 0, v4
	v_max_i32_e32 v9, v4, v9
	v_mul_hi_u32 v10, v9, v3
	v_mul_lo_u32 v11, v10, s33
	v_sub_u32_e32 v9, v9, v11
	v_add_u32_e32 v12, 1, v10
	v_cmp_le_u32_e32 vcc, s33, v9
	v_subrev_u32_e32 v11, s33, v9
	v_cndmask_b32_e32 v10, v10, v12, vcc
	v_cndmask_b32_e32 v9, v9, v11, vcc
	v_ashrrev_i32_e32 v8, 31, v4
	v_add_u32_e32 v11, 1, v10
	v_cmp_le_u32_e32 vcc, s33, v9
	v_xor_b32_e32 v8, s21, v8
	v_cndmask_b32_e32 v9, v10, v11, vcc
	v_xor_b32_e32 v9, v9, v8
	v_sub_u32_e32 v12, v9, v8
	v_mad_u64_u32 v[8:9], s[38:39], s35, v12, v[4:5]
	v_ashrrev_i32_e32 v9, 31, v8
	v_lshlrev_b64 v[8:9], 2, v[8:9]
	v_ashrrev_i32_e32 v14, 31, v12
	v_add_co_u32_e32 v8, vcc, s24, v8
	v_mul_lo_u32 v15, v12, s11
	v_mad_u64_u32 v[10:11], s[38:39], v12, s10, 0
	v_mul_lo_u32 v14, v14, s10
	v_addc_co_u32_e32 v9, vcc, v5, v9, vcc
	v_add3_u32 v11, v11, v15, v14
	v_add_co_u32_e32 v14, vcc, s22, v8
	v_mad_u64_u32 v[12:13], s[38:39], s36, v12, v[2:3]
	v_lshlrev_b64 v[10:11], 2, v[10:11]
	v_addc_co_u32_e32 v15, vcc, v9, v6, vcc
	v_ashrrev_i32_e32 v13, 31, v12
	v_add_co_u32_e32 v10, vcc, s25, v10
	v_lshlrev_b64 v[12:13], 2, v[12:13]
	v_addc_co_u32_e32 v11, vcc, v7, v11, vcc
	global_load_dword v16, v[8:9], off
	global_load_dword v17, v[14:15], off
	v_add_co_u32_e32 v8, vcc, v10, v12
	v_addc_co_u32_e32 v9, vcc, v11, v13, vcc
	global_load_dwordx2 v[10:11], v[8:9], off
	v_add_u32_e32 v4, s34, v4
	v_cmp_le_i32_e32 vcc, s7, v4
	v_add_u32_e32 v2, s37, v2
	s_or_b64 s[8:9], vcc, s[8:9]
	s_waitcnt vmcnt(0)
	v_mul_f32_e32 v12, v17, v11
	v_mul_f32_e32 v13, v16, v11
	v_fma_f32 v12, v16, v10, -v12
	v_fmac_f32_e32 v13, v17, v10
	global_store_dwordx2 v[8:9], v[12:13], off
	s_andn2_b64 exec, exec, s[8:9]
	s_cbranch_execnz .LBB55_3
.LBB55_4:
	s_or_b64 exec, exec, s[0:1]
	s_load_dwordx4 s[8:11], s[4:5], 0x68
	s_waitcnt lgkmcnt(0)
	s_ashr_i32 s35, s11, 31
	s_mov_b32 s34, s11
	s_or_b64 s[0:1], s[26:27], s[34:35]
	s_mov_b32 s0, 0
	s_cmp_lg_u64 s[0:1], 0
	s_cbranch_scc0 .LBB55_62
; %bb.5:
	s_add_u32 s0, s34, s35
	s_mov_b32 s22, s35
	s_mov_b32 s23, s35
	s_addc_u32 s1, s35, s35
	s_xor_b64 s[36:37], s[0:1], s[22:23]
	v_cvt_f32_u32_e32 v2, s36
	v_cvt_f32_u32_e32 v3, s37
	s_sub_u32 s0, 0, s36
	s_subb_u32 s1, 0, s37
	v_madmk_f32 v2, v3, 0x4f800000, v2
	v_rcp_f32_e32 v2, v2
	v_mul_f32_e32 v2, 0x5f7ffffc, v2
	v_mul_f32_e32 v3, 0x2f800000, v2
	v_trunc_f32_e32 v3, v3
	v_madmk_f32 v2, v3, 0xcf800000, v2
	v_cvt_u32_f32_e32 v3, v3
	v_cvt_u32_f32_e32 v2, v2
	v_readfirstlane_b32 s7, v3
	v_readfirstlane_b32 s11, v2
	s_mul_i32 s21, s0, s7
	s_mul_hi_u32 s38, s0, s11
	s_mul_i32 s33, s1, s11
	s_add_i32 s21, s38, s21
	s_add_i32 s21, s21, s33
	s_mul_i32 s39, s0, s11
	s_mul_hi_u32 s33, s11, s21
	s_mul_i32 s38, s11, s21
	s_mul_hi_u32 s11, s11, s39
	s_add_u32 s11, s11, s38
	s_addc_u32 s33, 0, s33
	s_mul_hi_u32 s40, s7, s39
	s_mul_i32 s39, s7, s39
	s_add_u32 s11, s11, s39
	s_mul_hi_u32 s38, s7, s21
	s_addc_u32 s11, s33, s40
	s_addc_u32 s33, s38, 0
	s_mul_i32 s21, s7, s21
	s_add_u32 s11, s11, s21
	s_addc_u32 s21, 0, s33
	v_add_co_u32_e32 v2, vcc, s11, v2
	s_cmp_lg_u64 vcc, 0
	s_addc_u32 s7, s7, s21
	v_readfirstlane_b32 s21, v2
	s_mul_i32 s11, s0, s7
	s_mul_hi_u32 s33, s0, s21
	s_add_i32 s11, s33, s11
	s_mul_i32 s1, s1, s21
	s_add_i32 s11, s11, s1
	s_mul_i32 s0, s0, s21
	s_mul_hi_u32 s33, s7, s0
	s_mul_i32 s38, s7, s0
	s_mul_i32 s40, s21, s11
	s_mul_hi_u32 s0, s21, s0
	s_mul_hi_u32 s39, s21, s11
	s_add_u32 s0, s0, s40
	s_addc_u32 s21, 0, s39
	s_add_u32 s0, s0, s38
	s_mul_hi_u32 s1, s7, s11
	s_addc_u32 s0, s21, s33
	s_addc_u32 s1, s1, 0
	s_mul_i32 s11, s7, s11
	s_add_u32 s0, s0, s11
	s_addc_u32 s1, 0, s1
	v_add_co_u32_e32 v2, vcc, s0, v2
	s_cmp_lg_u64 vcc, 0
	s_addc_u32 s7, s7, s1
	s_ashr_i32 s38, s27, 31
	s_add_u32 s0, s26, s38
	s_mov_b32 s39, s38
	s_addc_u32 s1, s27, s38
	s_xor_b64 s[40:41], s[0:1], s[38:39]
	v_readfirstlane_b32 s11, v2
	s_mul_i32 s1, s40, s7
	s_mul_hi_u32 s21, s40, s11
	s_mul_hi_u32 s0, s40, s7
	s_add_u32 s1, s21, s1
	s_addc_u32 s0, 0, s0
	s_mul_hi_u32 s33, s41, s11
	s_mul_i32 s11, s41, s11
	s_add_u32 s1, s1, s11
	s_mul_hi_u32 s21, s41, s7
	s_addc_u32 s0, s0, s33
	s_addc_u32 s1, s21, 0
	s_mul_i32 s7, s41, s7
	s_add_u32 s7, s0, s7
	s_addc_u32 s11, 0, s1
	s_mul_i32 s0, s36, s11
	s_mul_hi_u32 s1, s36, s7
	s_add_i32 s0, s1, s0
	s_mul_i32 s1, s37, s7
	s_add_i32 s21, s0, s1
	s_mul_i32 s1, s36, s7
	v_mov_b32_e32 v2, s1
	s_sub_i32 s0, s41, s21
	v_sub_co_u32_e32 v2, vcc, s40, v2
	s_cmp_lg_u64 vcc, 0
	s_subb_u32 s33, s0, s37
	v_subrev_co_u32_e64 v3, s[0:1], s36, v2
	s_cmp_lg_u64 s[0:1], 0
	s_subb_u32 s0, s33, 0
	s_cmp_ge_u32 s0, s37
	v_readfirstlane_b32 s33, v3
	s_cselect_b32 s1, -1, 0
	s_cmp_ge_u32 s33, s36
	s_cselect_b32 s33, -1, 0
	s_cmp_eq_u32 s0, s37
	s_cselect_b32 s0, s33, s1
	s_add_u32 s1, s7, 1
	s_addc_u32 s33, s11, 0
	s_add_u32 s40, s7, 2
	s_addc_u32 s42, s11, 0
	s_cmp_lg_u32 s0, 0
	s_cselect_b32 s0, s40, s1
	s_cselect_b32 s1, s42, s33
	s_cmp_lg_u64 vcc, 0
	s_subb_u32 s21, s41, s21
	s_cmp_ge_u32 s21, s37
	v_readfirstlane_b32 s40, v2
	s_cselect_b32 s33, -1, 0
	s_cmp_ge_u32 s40, s36
	s_cselect_b32 s36, -1, 0
	s_cmp_eq_u32 s21, s37
	s_cselect_b32 s21, s36, s33
	s_cmp_lg_u32 s21, 0
	s_cselect_b32 s1, s1, s11
	s_cselect_b32 s0, s0, s7
	s_xor_b64 s[22:23], s[38:39], s[22:23]
	s_xor_b64 s[0:1], s[0:1], s[22:23]
	s_sub_u32 s22, s0, s22
	s_subb_u32 s23, s1, s23
	s_cbranch_execnz .LBB55_7
.LBB55_6:
	v_cvt_f32_u32_e32 v2, s34
	s_sub_i32 s0, 0, s34
	s_mov_b32 s23, 0
	v_rcp_iflag_f32_e32 v2, v2
	v_mul_f32_e32 v2, 0x4f7ffffe, v2
	v_cvt_u32_f32_e32 v2, v2
	v_readfirstlane_b32 s1, v2
	s_mul_i32 s0, s0, s1
	s_mul_hi_u32 s0, s1, s0
	s_add_i32 s1, s1, s0
	s_mul_hi_u32 s0, s26, s1
	s_mul_i32 s7, s0, s34
	s_sub_i32 s7, s26, s7
	s_add_i32 s1, s0, 1
	s_sub_i32 s11, s7, s34
	s_cmp_ge_u32 s7, s34
	s_cselect_b32 s0, s1, s0
	s_cselect_b32 s7, s11, s7
	s_add_i32 s1, s0, 1
	s_cmp_ge_u32 s7, s34
	s_cselect_b32 s22, s1, s0
.LBB55_7:
	s_mul_i32 s0, s22, s35
	s_mul_hi_u32 s1, s22, s34
	s_load_dwordx2 s[24:25], s[4:5], 0x78
	s_add_i32 s0, s1, s0
	s_mul_i32 s1, s23, s34
	s_add_i32 s0, s0, s1
	s_mul_i32 s1, s22, s34
	s_sub_u32 s7, s26, s1
	s_subb_u32 s11, s27, s0
	v_cmp_gt_i32_e32 vcc, s20, v0
	s_mul_hi_u32 s42, s22, s8
	s_mul_i32 s43, s23, s8
	s_mul_i32 s44, s22, s8
	s_mul_hi_u32 s33, s7, s9
	s_mul_i32 s11, s11, s9
	s_mul_i32 s23, s7, s9
	s_and_saveexec_b64 s[26:27], vcc
	s_cbranch_execz .LBB55_42
; %bb.8:
	s_ashr_i32 s0, s8, 31
	s_mul_i32 s0, s22, s0
	s_load_dword s1, s[4:5], 0x8c
	s_add_i32 s0, s42, s0
	s_add_i32 s34, s0, s43
	s_ashr_i32 s0, s9, 31
	s_mul_i32 s0, s7, s0
	s_add_i32 s0, s33, s0
	s_ashr_i32 s21, s20, 31
	s_add_i32 s35, s0, s11
	s_ashr_i32 s36, s10, 31
	s_waitcnt lgkmcnt(0)
	s_and_b32 s46, s1, 0xffff
	s_lshl_b64 s[0:1], s[30:31], 2
	s_add_u32 s0, s28, s0
	v_lshlrev_b32_e32 v2, 2, v0
	s_addc_u32 s1, s29, s1
	s_lshl_b32 s48, s46, 2
	s_lshl_b64 s[28:29], s[20:21], 2
	v_add_co_u32_e32 v2, vcc, s0, v2
	s_add_u32 s0, s44, s23
	v_mov_b32_e32 v3, s1
	s_addc_u32 s1, s34, s35
	s_add_u32 s21, s2, s10
	s_addc_u32 s30, s3, s36
	s_add_u32 s0, s21, s0
	v_addc_co_u32_e32 v3, vcc, 0, v3, vcc
	s_addc_u32 s1, s30, s1
	v_mov_b32_e32 v4, s1
	v_add_co_u32_e32 v1, vcc, s0, v1
	s_mul_i32 s0, s13, s6
	s_mul_hi_u32 s1, s12, s6
	s_add_i32 s1, s1, s0
	s_mul_i32 s0, s12, s6
	v_addc_co_u32_e32 v5, vcc, 0, v4, vcc
	s_lshl_b32 s21, s46, 1
	s_lshl_b64 s[0:1], s[0:1], 2
	v_add_co_u32_e32 v4, vcc, 1, v1
	s_add_u32 s0, s16, s0
	s_load_dword s45, s[24:25], 0x0
	v_addc_co_u32_e32 v5, vcc, 0, v5, vcc
	v_lshlrev_b32_e32 v1, 3, v0
	s_addc_u32 s1, s17, s1
	v_mov_b32_e32 v6, s1
	v_add_co_u32_e32 v1, vcc, s0, v1
	v_addc_co_u32_e32 v7, vcc, 0, v6, vcc
	s_mov_b32 s47, 0
	v_add_co_u32_e32 v6, vcc, 4, v1
	s_mov_b32 s49, s47
	v_addc_co_u32_e32 v7, vcc, 0, v7, vcc
	s_lshl_b32 s50, s46, 3
	s_mov_b32 s51, s47
	s_mov_b64 s[12:13], 0
	v_mov_b32_e32 v1, s29
	v_mov_b32_e32 v9, 0
	s_movk_i32 s29, 0x80
	s_mov_b64 s[16:17], 0x7f800000
	s_mov_b64 s[30:31], 0x43e00001
	s_movk_i32 s52, 0x7a
	s_mov_b64 s[34:35], 0xffffff
	s_movk_i32 s53, 0x7f
	v_mov_b32_e32 v14, 0xffffff82
	v_mov_b32_e32 v15, 0x78
	;; [unrolled: 1-line block ×3, first 2 shown]
	s_branch .LBB55_10
.LBB55_9:                               ;   in Loop: Header=BB55_10 Depth=1
	s_or_b64 exec, exec, s[0:1]
	v_mov_b32_e32 v8, s47
	v_add_co_u32_e32 v2, vcc, s48, v2
	v_addc_co_u32_e32 v3, vcc, v3, v8, vcc
	global_store_byte v[4:5], v11, off
	v_mov_b32_e32 v8, s49
	v_add_co_u32_e32 v4, vcc, s21, v4
	v_add_u32_e32 v16, s46, v16
	v_addc_co_u32_e32 v5, vcc, v5, v8, vcc
	v_cmp_le_i32_e32 vcc, s20, v16
	v_mov_b32_e32 v8, s51
	s_or_b64 s[12:13], vcc, s[12:13]
	v_add_co_u32_e32 v6, vcc, s50, v6
	v_addc_co_u32_e32 v7, vcc, v7, v8, vcc
	s_andn2_b64 exec, exec, s[12:13]
	s_cbranch_execz .LBB55_42
.LBB55_10:                              ; =>This Inner Loop Header: Depth=1
	v_add_co_u32_e32 v10, vcc, s28, v2
	global_load_dword v8, v[2:3], off
	v_addc_co_u32_e32 v11, vcc, v3, v1, vcc
	global_load_dwordx2 v[12:13], v[6:7], off offset:-4
	s_nop 0
	global_load_dword v10, v[10:11], off
	v_mov_b32_e32 v19, v9
	s_waitcnt vmcnt(1)
	v_mul_f32_e32 v11, v8, v13
	s_waitcnt vmcnt(0)
	v_mul_f32_e32 v13, v10, v13
	v_fmac_f32_e32 v11, v10, v12
	v_fma_f32 v10, v8, v12, -v13
	s_waitcnt lgkmcnt(0)
	v_div_scale_f32 v8, s[0:1], s45, s45, v10
	v_rcp_f32_e32 v12, v8
	v_div_scale_f32 v13, vcc, v10, s45, v10
	global_store_dwordx2 v[6:7], v[10:11], off offset:-4
	v_fma_f32 v17, -v8, v12, 1.0
	v_fmac_f32_e32 v12, v17, v12
	v_mul_f32_e32 v17, v13, v12
	v_fma_f32 v18, -v8, v17, v13
	v_fmac_f32_e32 v17, v18, v12
	v_fma_f32 v8, -v8, v17, v13
	v_div_fmas_f32 v8, v8, v12, v17
	v_div_fixup_f32 v12, v8, s45, v10
	v_and_b32_sdwa v10, v12, s29 dst_sel:DWORD dst_unused:UNUSED_PAD src0_sel:BYTE_3 src1_sel:DWORD
	v_and_b32_e32 v18, 0x7f800000, v12
	v_and_b32_e32 v8, 0x7fffff, v12
	v_or_b32_e32 v13, 0x7e, v10
	v_cmp_ne_u64_e32 vcc, s[16:17], v[18:19]
	s_and_saveexec_b64 s[0:1], vcc
	s_xor_b64 s[36:37], exec, s[0:1]
	s_cbranch_execz .LBB55_24
; %bb.11:                               ;   in Loop: Header=BB55_10 Depth=1
	v_and_b32_e32 v18, 0x7fffffff, v12
	v_mov_b32_e32 v19, v9
	v_cmp_gt_u64_e32 vcc, s[30:31], v[18:19]
	s_and_saveexec_b64 s[0:1], vcc
	s_xor_b64 s[38:39], exec, s[0:1]
	s_cbranch_execz .LBB55_23
; %bb.12:                               ;   in Loop: Header=BB55_10 Depth=1
	v_cmp_ne_u32_e32 vcc, 0, v12
	v_mov_b32_e32 v13, 0
	s_and_saveexec_b64 s[40:41], vcc
	s_cbranch_execz .LBB55_22
; %bb.13:                               ;   in Loop: Header=BB55_10 Depth=1
	v_bfe_u32 v12, v12, 23, 8
	v_sub_u32_e32 v17, 0x79, v12
	v_cmp_gt_u32_e32 vcc, s52, v12
	v_cndmask_b32_e32 v17, 0, v17, vcc
	v_cmp_eq_u32_e32 vcc, 0, v12
	v_cndmask_b32_e32 v17, v17, v15, vcc
	v_add_u32_e32 v13, 0xffffff81, v12
	v_or_b32_e32 v18, 0x800000, v8
	v_add_u32_e32 v12, 20, v17
	v_cndmask_b32_e32 v19, v13, v14, vcc
	v_cndmask_b32_e32 v8, v18, v8, vcc
	v_lshlrev_b64 v[12:13], v12, -1
	v_not_b32_e32 v12, v12
	v_lshrrev_b64 v[22:23], v17, v[8:9]
	v_not_b32_e32 v13, v13
	v_and_b32_e32 v12, v8, v12
	v_add_u32_e32 v18, 19, v17
	v_lshrrev_b32_e32 v8, 23, v22
	v_and_b32_e32 v13, 0, v13
	v_lshlrev_b64 v[20:21], v18, 1
	v_add3_u32 v18, v17, v19, v8
	v_bfe_u32 v8, v22, 20, 1
	v_add_u32_e32 v8, -1, v8
	v_cmp_eq_u64_e32 vcc, v[12:13], v[20:21]
	v_cndmask_b32_e32 v8, 0, v8, vcc
	v_add_u32_e32 v8, v8, v22
	v_and_b32_e32 v8, 0xfffff, v8
	v_add_co_u32_e32 v12, vcc, v8, v22
	v_add_u32_e32 v17, 6, v18
	v_addc_co_u32_e32 v13, vcc, 0, v23, vcc
	v_cmp_ne_u32_e32 vcc, 0, v17
                                        ; implicit-def: $vgpr8
	s_and_saveexec_b64 s[0:1], vcc
	s_xor_b64 s[0:1], exec, s[0:1]
; %bb.14:                               ;   in Loop: Header=BB55_10 Depth=1
	v_add_u32_e32 v8, 7, v18
	v_cmp_lt_u64_e32 vcc, s[34:35], v[12:13]
	v_cndmask_b32_e32 v8, v17, v8, vcc
	v_cndmask_b32_e64 v17, 0, 1, vcc
	v_lshrrev_b64 v[12:13], v17, v[12:13]
; %bb.15:                               ;   in Loop: Header=BB55_10 Depth=1
	s_andn2_saveexec_b64 s[0:1], s[0:1]
; %bb.16:                               ;   in Loop: Header=BB55_10 Depth=1
	v_bfe_u32 v8, v12, 23, 1
; %bb.17:                               ;   in Loop: Header=BB55_10 Depth=1
	s_or_b64 exec, exec, s[0:1]
	v_lshrrev_b64 v[12:13], 20, v[12:13]
	v_cmp_gt_i32_e32 vcc, 16, v8
	v_cndmask_b32_e32 v13, 0, v13, vcc
	v_cndmask_b32_e32 v12, 7, v12, vcc
	v_cmp_ne_u32_e32 vcc, 0, v8
	v_cmp_ne_u64_e64 s[0:1], 0, v[12:13]
	s_or_b64 s[0:1], vcc, s[0:1]
                                        ; implicit-def: $vgpr13
	s_and_saveexec_b64 s[54:55], s[0:1]
	s_xor_b64 s[0:1], exec, s[54:55]
; %bb.18:                               ;   in Loop: Header=BB55_10 Depth=1
	v_min_i32_e32 v8, 15, v8
	v_lshl_or_b32 v8, v8, 3, v10
	v_and_or_b32 v13, v12, 7, v8
                                        ; implicit-def: $vgpr10
; %bb.19:                               ;   in Loop: Header=BB55_10 Depth=1
	s_andn2_saveexec_b64 s[0:1], s[0:1]
; %bb.20:                               ;   in Loop: Header=BB55_10 Depth=1
	v_mov_b32_e32 v13, v10
; %bb.21:                               ;   in Loop: Header=BB55_10 Depth=1
	s_or_b64 exec, exec, s[0:1]
.LBB55_22:                              ;   in Loop: Header=BB55_10 Depth=1
	s_or_b64 exec, exec, s[40:41]
.LBB55_23:                              ;   in Loop: Header=BB55_10 Depth=1
	s_andn2_saveexec_b64 s[0:1], s[38:39]
	s_or_b64 exec, exec, s[0:1]
                                        ; implicit-def: $vgpr12
.LBB55_24:                              ;   in Loop: Header=BB55_10 Depth=1
	s_andn2_saveexec_b64 s[0:1], s[36:37]
; %bb.25:                               ;   in Loop: Header=BB55_10 Depth=1
	v_or_b32_sdwa v10, v12, s53 dst_sel:DWORD dst_unused:UNUSED_PAD src0_sel:BYTE_3 src1_sel:DWORD
	v_cmp_eq_u64_e32 vcc, 0, v[8:9]
	v_cndmask_b32_e32 v13, v10, v13, vcc
; %bb.26:                               ;   in Loop: Header=BB55_10 Depth=1
	s_or_b64 exec, exec, s[0:1]
	v_div_scale_f32 v8, s[0:1], s45, s45, v11
	v_rcp_f32_e32 v10, v8
	global_store_byte v[4:5], v13, off offset:-1
	v_mov_b32_e32 v19, v9
	v_fma_f32 v12, -v8, v10, 1.0
	v_fmac_f32_e32 v10, v12, v10
	v_div_scale_f32 v12, vcc, v11, s45, v11
	v_mul_f32_e32 v13, v12, v10
	v_fma_f32 v17, -v8, v13, v12
	v_fmac_f32_e32 v13, v17, v10
	v_fma_f32 v8, -v8, v13, v12
	v_div_fmas_f32 v8, v8, v10, v13
	v_div_fixup_f32 v10, v8, s45, v11
	v_and_b32_sdwa v12, v10, s29 dst_sel:DWORD dst_unused:UNUSED_PAD src0_sel:BYTE_3 src1_sel:DWORD
	v_and_b32_e32 v18, 0x7f800000, v10
	v_and_b32_e32 v8, 0x7fffff, v10
	v_or_b32_e32 v11, 0x7e, v12
	v_cmp_ne_u64_e32 vcc, s[16:17], v[18:19]
	s_and_saveexec_b64 s[0:1], vcc
	s_xor_b64 s[36:37], exec, s[0:1]
	s_cbranch_execz .LBB55_40
; %bb.27:                               ;   in Loop: Header=BB55_10 Depth=1
	v_and_b32_e32 v18, 0x7fffffff, v10
	v_mov_b32_e32 v19, v9
	v_cmp_gt_u64_e32 vcc, s[30:31], v[18:19]
	s_and_saveexec_b64 s[0:1], vcc
	s_xor_b64 s[38:39], exec, s[0:1]
	s_cbranch_execz .LBB55_39
; %bb.28:                               ;   in Loop: Header=BB55_10 Depth=1
	v_cmp_ne_u32_e32 vcc, 0, v10
	v_mov_b32_e32 v11, 0
	s_and_saveexec_b64 s[40:41], vcc
	s_cbranch_execz .LBB55_38
; %bb.29:                               ;   in Loop: Header=BB55_10 Depth=1
	v_bfe_u32 v10, v10, 23, 8
	v_sub_u32_e32 v13, 0x79, v10
	v_cmp_gt_u32_e32 vcc, s52, v10
	v_cndmask_b32_e32 v13, 0, v13, vcc
	v_cmp_eq_u32_e32 vcc, 0, v10
	v_cndmask_b32_e32 v13, v13, v15, vcc
	v_add_u32_e32 v11, 0xffffff81, v10
	v_or_b32_e32 v17, 0x800000, v8
	v_add_u32_e32 v10, 20, v13
	v_cndmask_b32_e32 v22, v11, v14, vcc
	v_cndmask_b32_e32 v8, v17, v8, vcc
	v_lshlrev_b64 v[10:11], v10, -1
	v_not_b32_e32 v10, v10
	v_lshrrev_b64 v[20:21], v13, v[8:9]
	v_not_b32_e32 v11, v11
	v_and_b32_e32 v10, v8, v10
	v_add_u32_e32 v17, 19, v13
	v_lshrrev_b32_e32 v8, 23, v20
	v_and_b32_e32 v11, 0, v11
	v_lshlrev_b64 v[18:19], v17, 1
	v_add3_u32 v17, v13, v22, v8
	v_bfe_u32 v8, v20, 20, 1
	v_add_u32_e32 v8, -1, v8
	v_cmp_eq_u64_e32 vcc, v[10:11], v[18:19]
	v_cndmask_b32_e32 v8, 0, v8, vcc
	v_add_u32_e32 v8, v8, v20
	v_and_b32_e32 v8, 0xfffff, v8
	v_add_co_u32_e32 v10, vcc, v8, v20
	v_add_u32_e32 v13, 6, v17
	v_addc_co_u32_e32 v11, vcc, 0, v21, vcc
	v_cmp_ne_u32_e32 vcc, 0, v13
                                        ; implicit-def: $vgpr8
	s_and_saveexec_b64 s[0:1], vcc
	s_xor_b64 s[0:1], exec, s[0:1]
; %bb.30:                               ;   in Loop: Header=BB55_10 Depth=1
	v_add_u32_e32 v8, 7, v17
	v_cmp_lt_u64_e32 vcc, s[34:35], v[10:11]
	v_cndmask_b32_e32 v8, v13, v8, vcc
	v_cndmask_b32_e64 v13, 0, 1, vcc
	v_lshrrev_b64 v[10:11], v13, v[10:11]
; %bb.31:                               ;   in Loop: Header=BB55_10 Depth=1
	s_andn2_saveexec_b64 s[0:1], s[0:1]
; %bb.32:                               ;   in Loop: Header=BB55_10 Depth=1
	v_bfe_u32 v8, v10, 23, 1
; %bb.33:                               ;   in Loop: Header=BB55_10 Depth=1
	s_or_b64 exec, exec, s[0:1]
	v_lshrrev_b64 v[10:11], 20, v[10:11]
	v_cmp_gt_i32_e32 vcc, 16, v8
	v_cndmask_b32_e32 v11, 0, v11, vcc
	v_cndmask_b32_e32 v10, 7, v10, vcc
	v_cmp_ne_u32_e32 vcc, 0, v8
	v_cmp_ne_u64_e64 s[0:1], 0, v[10:11]
	s_or_b64 s[0:1], vcc, s[0:1]
                                        ; implicit-def: $vgpr11
	s_and_saveexec_b64 s[54:55], s[0:1]
	s_xor_b64 s[0:1], exec, s[54:55]
; %bb.34:                               ;   in Loop: Header=BB55_10 Depth=1
	v_min_i32_e32 v8, 15, v8
	v_lshl_or_b32 v8, v8, 3, v12
	v_and_or_b32 v11, v10, 7, v8
                                        ; implicit-def: $vgpr12
; %bb.35:                               ;   in Loop: Header=BB55_10 Depth=1
	s_andn2_saveexec_b64 s[0:1], s[0:1]
; %bb.36:                               ;   in Loop: Header=BB55_10 Depth=1
	v_mov_b32_e32 v11, v12
; %bb.37:                               ;   in Loop: Header=BB55_10 Depth=1
	s_or_b64 exec, exec, s[0:1]
.LBB55_38:                              ;   in Loop: Header=BB55_10 Depth=1
	s_or_b64 exec, exec, s[40:41]
.LBB55_39:                              ;   in Loop: Header=BB55_10 Depth=1
	s_andn2_saveexec_b64 s[0:1], s[38:39]
	s_or_b64 exec, exec, s[0:1]
                                        ; implicit-def: $vgpr10
.LBB55_40:                              ;   in Loop: Header=BB55_10 Depth=1
	s_andn2_saveexec_b64 s[0:1], s[36:37]
	s_cbranch_execz .LBB55_9
; %bb.41:                               ;   in Loop: Header=BB55_10 Depth=1
	v_or_b32_sdwa v10, v10, s53 dst_sel:DWORD dst_unused:UNUSED_PAD src0_sel:BYTE_3 src1_sel:DWORD
	v_cmp_eq_u64_e32 vcc, 0, v[8:9]
	v_cndmask_b32_e32 v11, v10, v11, vcc
	s_branch .LBB55_9
.LBB55_42:
	s_or_b64 exec, exec, s[26:27]
	v_cmp_gt_i32_e32 vcc, s10, v0
	s_and_saveexec_b64 s[0:1], vcc
	s_cbranch_execz .LBB55_61
; %bb.43:
	s_mul_i32 s0, s6, s15
	s_mul_hi_u32 s1, s6, s14
	s_add_i32 s1, s1, s0
	s_mul_i32 s0, s6, s14
	s_lshl_b64 s[0:1], s[0:1], 2
	s_add_u32 s18, s18, s0
	s_addc_u32 s0, s19, s1
	s_ashr_i32 s1, s8, 31
	s_mul_i32 s1, s22, s1
	s_add_i32 s1, s42, s1
	s_add_i32 s1, s1, s43
	s_add_u32 s2, s2, s44
	s_addc_u32 s1, s3, s1
	s_ashr_i32 s3, s9, 31
	s_load_dword s4, s[4:5], 0x8c
	s_mul_i32 s7, s7, s3
	s_waitcnt lgkmcnt(0)
	s_load_dword s20, s[24:25], 0x0
	s_add_i32 s3, s33, s7
	s_add_i32 s3, s3, s11
	s_add_u32 s11, s2, s23
	s_addc_u32 s19, s1, s3
	s_and_b32 s21, s4, 0xffff
	s_mov_b64 s[2:3], 0
	v_mov_b32_e32 v6, s0
	v_mov_b32_e32 v3, 0
	s_movk_i32 s22, 0x80
	s_mov_b64 s[4:5], 0x7f800000
	s_mov_b64 s[6:7], 0x43e00001
	s_movk_i32 s23, 0x7a
	s_mov_b64 s[8:9], 0xffffff
	s_movk_i32 s24, 0x7f
	v_mov_b32_e32 v7, 0xffffff82
	v_mov_b32_e32 v8, 0x78
	s_branch .LBB55_45
.LBB55_44:                              ;   in Loop: Header=BB55_45 Depth=1
	s_or_b64 exec, exec, s[0:1]
	v_mov_b32_e32 v2, s19
	v_add_co_u32_e32 v10, vcc, s11, v0
	v_addc_co_u32_e32 v11, vcc, v2, v1, vcc
	v_add_u32_e32 v0, s21, v0
	v_cmp_le_i32_e32 vcc, s10, v0
	s_or_b64 s[2:3], vcc, s[2:3]
	global_store_byte v[10:11], v5, off
	s_andn2_b64 exec, exec, s[2:3]
	s_cbranch_execz .LBB55_61
.LBB55_45:                              ; =>This Inner Loop Header: Depth=1
	v_ashrrev_i32_e32 v1, 31, v0
	v_lshlrev_b64 v[4:5], 2, v[0:1]
	v_add_co_u32_e32 v4, vcc, s18, v4
	v_addc_co_u32_e32 v5, vcc, v6, v5, vcc
	global_load_dword v2, v[4:5], off
	v_mov_b32_e32 v11, v3
	s_waitcnt vmcnt(0) lgkmcnt(0)
	v_div_scale_f32 v4, s[0:1], s20, s20, v2
	v_rcp_f32_e32 v5, v4
	v_div_scale_f32 v9, vcc, v2, s20, v2
	v_fma_f32 v10, -v4, v5, 1.0
	v_fmac_f32_e32 v5, v10, v5
	v_mul_f32_e32 v10, v9, v5
	v_fma_f32 v12, -v4, v10, v9
	v_fmac_f32_e32 v10, v12, v5
	v_fma_f32 v4, -v4, v10, v9
	v_div_fmas_f32 v4, v4, v5, v10
	v_div_fixup_f32 v4, v4, s20, v2
	v_and_b32_sdwa v9, v4, s22 dst_sel:DWORD dst_unused:UNUSED_PAD src0_sel:BYTE_3 src1_sel:DWORD
	v_and_b32_e32 v10, 0x7f800000, v4
	v_and_b32_e32 v2, 0x7fffff, v4
	v_or_b32_e32 v5, 0x7e, v9
	v_cmp_ne_u64_e32 vcc, s[4:5], v[10:11]
	s_and_saveexec_b64 s[0:1], vcc
	s_xor_b64 s[12:13], exec, s[0:1]
	s_cbranch_execz .LBB55_59
; %bb.46:                               ;   in Loop: Header=BB55_45 Depth=1
	v_and_b32_e32 v10, 0x7fffffff, v4
	v_mov_b32_e32 v11, v3
	v_cmp_gt_u64_e32 vcc, s[6:7], v[10:11]
	s_and_saveexec_b64 s[0:1], vcc
	s_xor_b64 s[14:15], exec, s[0:1]
	s_cbranch_execz .LBB55_58
; %bb.47:                               ;   in Loop: Header=BB55_45 Depth=1
	v_cmp_ne_u32_e32 vcc, 0, v4
	v_mov_b32_e32 v5, 0
	s_and_saveexec_b64 s[16:17], vcc
	s_cbranch_execz .LBB55_57
; %bb.48:                               ;   in Loop: Header=BB55_45 Depth=1
	v_bfe_u32 v4, v4, 23, 8
	v_sub_u32_e32 v10, 0x79, v4
	v_cmp_gt_u32_e32 vcc, s23, v4
	v_cndmask_b32_e32 v10, 0, v10, vcc
	v_cmp_eq_u32_e32 vcc, 0, v4
	v_cndmask_b32_e32 v10, v10, v8, vcc
	v_add_u32_e32 v5, 0xffffff81, v4
	v_or_b32_e32 v11, 0x800000, v2
	v_add_u32_e32 v4, 20, v10
	v_cndmask_b32_e32 v16, v5, v7, vcc
	v_cndmask_b32_e32 v2, v11, v2, vcc
	v_lshlrev_b64 v[4:5], v4, -1
	v_not_b32_e32 v4, v4
	v_lshrrev_b64 v[14:15], v10, v[2:3]
	v_not_b32_e32 v5, v5
	v_and_b32_e32 v4, v2, v4
	v_add_u32_e32 v11, 19, v10
	v_lshrrev_b32_e32 v2, 23, v14
	v_and_b32_e32 v5, 0, v5
	v_lshlrev_b64 v[12:13], v11, 1
	v_add3_u32 v11, v10, v16, v2
	v_bfe_u32 v2, v14, 20, 1
	v_add_u32_e32 v2, -1, v2
	v_cmp_eq_u64_e32 vcc, v[4:5], v[12:13]
	v_cndmask_b32_e32 v2, 0, v2, vcc
	v_add_u32_e32 v2, v2, v14
	v_and_b32_e32 v2, 0xfffff, v2
	v_add_co_u32_e32 v4, vcc, v2, v14
	v_add_u32_e32 v10, 6, v11
	v_addc_co_u32_e32 v5, vcc, 0, v15, vcc
	v_cmp_ne_u32_e32 vcc, 0, v10
                                        ; implicit-def: $vgpr2
	s_and_saveexec_b64 s[0:1], vcc
	s_xor_b64 s[0:1], exec, s[0:1]
; %bb.49:                               ;   in Loop: Header=BB55_45 Depth=1
	v_add_u32_e32 v2, 7, v11
	v_cmp_lt_u64_e32 vcc, s[8:9], v[4:5]
	v_cndmask_b32_e32 v2, v10, v2, vcc
	v_cndmask_b32_e64 v10, 0, 1, vcc
	v_lshrrev_b64 v[4:5], v10, v[4:5]
; %bb.50:                               ;   in Loop: Header=BB55_45 Depth=1
	s_andn2_saveexec_b64 s[0:1], s[0:1]
; %bb.51:                               ;   in Loop: Header=BB55_45 Depth=1
	v_bfe_u32 v2, v4, 23, 1
; %bb.52:                               ;   in Loop: Header=BB55_45 Depth=1
	s_or_b64 exec, exec, s[0:1]
	v_lshrrev_b64 v[4:5], 20, v[4:5]
	v_cmp_gt_i32_e32 vcc, 16, v2
	v_cndmask_b32_e32 v5, 0, v5, vcc
	v_cndmask_b32_e32 v4, 7, v4, vcc
	v_cmp_ne_u32_e32 vcc, 0, v2
	v_cmp_ne_u64_e64 s[0:1], 0, v[4:5]
	s_or_b64 s[0:1], vcc, s[0:1]
                                        ; implicit-def: $vgpr5
	s_and_saveexec_b64 s[26:27], s[0:1]
	s_xor_b64 s[0:1], exec, s[26:27]
; %bb.53:                               ;   in Loop: Header=BB55_45 Depth=1
	v_min_i32_e32 v2, 15, v2
	v_lshl_or_b32 v2, v2, 3, v9
	v_and_or_b32 v5, v4, 7, v2
                                        ; implicit-def: $vgpr9
; %bb.54:                               ;   in Loop: Header=BB55_45 Depth=1
	s_andn2_saveexec_b64 s[0:1], s[0:1]
; %bb.55:                               ;   in Loop: Header=BB55_45 Depth=1
	v_mov_b32_e32 v5, v9
; %bb.56:                               ;   in Loop: Header=BB55_45 Depth=1
	s_or_b64 exec, exec, s[0:1]
.LBB55_57:                              ;   in Loop: Header=BB55_45 Depth=1
	s_or_b64 exec, exec, s[16:17]
.LBB55_58:                              ;   in Loop: Header=BB55_45 Depth=1
	s_andn2_saveexec_b64 s[0:1], s[14:15]
	s_or_b64 exec, exec, s[0:1]
                                        ; implicit-def: $vgpr4
.LBB55_59:                              ;   in Loop: Header=BB55_45 Depth=1
	s_andn2_saveexec_b64 s[0:1], s[12:13]
	s_cbranch_execz .LBB55_44
; %bb.60:                               ;   in Loop: Header=BB55_45 Depth=1
	v_or_b32_sdwa v4, v4, s24 dst_sel:DWORD dst_unused:UNUSED_PAD src0_sel:BYTE_3 src1_sel:DWORD
	v_cmp_eq_u64_e32 vcc, 0, v[2:3]
	v_cndmask_b32_e32 v5, v4, v5, vcc
	s_branch .LBB55_44
.LBB55_61:
	s_endpgm
.LBB55_62:
                                        ; implicit-def: $sgpr22_sgpr23
	s_branch .LBB55_6
	.section	.rodata,"a",@progbits
	.p2align	6, 0x0
	.amdhsa_kernel _ZN4vllm38concat_and_cache_mla_rope_fused_kernelIffLb0EfhLNS_18Fp8KVCacheDataTypeE1EEEvPKlPT_S5_PKS4_PKT0_illlliPT3_S3_iiiiPKf
		.amdhsa_group_segment_fixed_size 0
		.amdhsa_private_segment_fixed_size 0
		.amdhsa_kernarg_size 384
		.amdhsa_user_sgpr_count 6
		.amdhsa_user_sgpr_private_segment_buffer 1
		.amdhsa_user_sgpr_dispatch_ptr 0
		.amdhsa_user_sgpr_queue_ptr 0
		.amdhsa_user_sgpr_kernarg_segment_ptr 1
		.amdhsa_user_sgpr_dispatch_id 0
		.amdhsa_user_sgpr_flat_scratch_init 0
		.amdhsa_user_sgpr_kernarg_preload_length 0
		.amdhsa_user_sgpr_kernarg_preload_offset 0
		.amdhsa_user_sgpr_private_segment_size 0
		.amdhsa_uses_dynamic_stack 0
		.amdhsa_system_sgpr_private_segment_wavefront_offset 0
		.amdhsa_system_sgpr_workgroup_id_x 1
		.amdhsa_system_sgpr_workgroup_id_y 0
		.amdhsa_system_sgpr_workgroup_id_z 0
		.amdhsa_system_sgpr_workgroup_info 0
		.amdhsa_system_vgpr_workitem_id 0
		.amdhsa_next_free_vgpr 24
		.amdhsa_next_free_sgpr 56
		.amdhsa_accum_offset 24
		.amdhsa_reserve_vcc 1
		.amdhsa_reserve_flat_scratch 0
		.amdhsa_float_round_mode_32 0
		.amdhsa_float_round_mode_16_64 0
		.amdhsa_float_denorm_mode_32 3
		.amdhsa_float_denorm_mode_16_64 3
		.amdhsa_dx10_clamp 1
		.amdhsa_ieee_mode 1
		.amdhsa_fp16_overflow 0
		.amdhsa_tg_split 0
		.amdhsa_exception_fp_ieee_invalid_op 0
		.amdhsa_exception_fp_denorm_src 0
		.amdhsa_exception_fp_ieee_div_zero 0
		.amdhsa_exception_fp_ieee_overflow 0
		.amdhsa_exception_fp_ieee_underflow 0
		.amdhsa_exception_fp_ieee_inexact 0
		.amdhsa_exception_int_div_zero 0
	.end_amdhsa_kernel
	.section	.text._ZN4vllm38concat_and_cache_mla_rope_fused_kernelIffLb0EfhLNS_18Fp8KVCacheDataTypeE1EEEvPKlPT_S5_PKS4_PKT0_illlliPT3_S3_iiiiPKf,"axG",@progbits,_ZN4vllm38concat_and_cache_mla_rope_fused_kernelIffLb0EfhLNS_18Fp8KVCacheDataTypeE1EEEvPKlPT_S5_PKS4_PKT0_illlliPT3_S3_iiiiPKf,comdat
.Lfunc_end55:
	.size	_ZN4vllm38concat_and_cache_mla_rope_fused_kernelIffLb0EfhLNS_18Fp8KVCacheDataTypeE1EEEvPKlPT_S5_PKS4_PKT0_illlliPT3_S3_iiiiPKf, .Lfunc_end55-_ZN4vllm38concat_and_cache_mla_rope_fused_kernelIffLb0EfhLNS_18Fp8KVCacheDataTypeE1EEEvPKlPT_S5_PKS4_PKT0_illlliPT3_S3_iiiiPKf
                                        ; -- End function
	.section	.AMDGPU.csdata,"",@progbits
; Kernel info:
; codeLenInByte = 3600
; NumSgprs: 60
; NumVgprs: 24
; NumAgprs: 0
; TotalNumVgprs: 24
; ScratchSize: 0
; MemoryBound: 0
; FloatMode: 240
; IeeeMode: 1
; LDSByteSize: 0 bytes/workgroup (compile time only)
; SGPRBlocks: 7
; VGPRBlocks: 2
; NumSGPRsForWavesPerEU: 60
; NumVGPRsForWavesPerEU: 24
; AccumOffset: 24
; Occupancy: 8
; WaveLimiterHint : 1
; COMPUTE_PGM_RSRC2:SCRATCH_EN: 0
; COMPUTE_PGM_RSRC2:USER_SGPR: 6
; COMPUTE_PGM_RSRC2:TRAP_HANDLER: 0
; COMPUTE_PGM_RSRC2:TGID_X_EN: 1
; COMPUTE_PGM_RSRC2:TGID_Y_EN: 0
; COMPUTE_PGM_RSRC2:TGID_Z_EN: 0
; COMPUTE_PGM_RSRC2:TIDIG_COMP_CNT: 0
; COMPUTE_PGM_RSRC3_GFX90A:ACCUM_OFFSET: 5
; COMPUTE_PGM_RSRC3_GFX90A:TG_SPLIT: 0
	.section	.text._ZN4vllm38concat_and_cache_mla_rope_fused_kernelIfN3c104HalfELb1EfhLNS_18Fp8KVCacheDataTypeE1EEEvPKlPT_S7_PKS6_PKT0_illlliPT3_S5_iiiiPKf,"axG",@progbits,_ZN4vllm38concat_and_cache_mla_rope_fused_kernelIfN3c104HalfELb1EfhLNS_18Fp8KVCacheDataTypeE1EEEvPKlPT_S7_PKS6_PKT0_illlliPT3_S5_iiiiPKf,comdat
	.protected	_ZN4vllm38concat_and_cache_mla_rope_fused_kernelIfN3c104HalfELb1EfhLNS_18Fp8KVCacheDataTypeE1EEEvPKlPT_S7_PKS6_PKT0_illlliPT3_S5_iiiiPKf ; -- Begin function _ZN4vllm38concat_and_cache_mla_rope_fused_kernelIfN3c104HalfELb1EfhLNS_18Fp8KVCacheDataTypeE1EEEvPKlPT_S7_PKS6_PKT0_illlliPT3_S5_iiiiPKf
	.globl	_ZN4vllm38concat_and_cache_mla_rope_fused_kernelIfN3c104HalfELb1EfhLNS_18Fp8KVCacheDataTypeE1EEEvPKlPT_S7_PKS6_PKT0_illlliPT3_S5_iiiiPKf
	.p2align	8
	.type	_ZN4vllm38concat_and_cache_mla_rope_fused_kernelIfN3c104HalfELb1EfhLNS_18Fp8KVCacheDataTypeE1EEEvPKlPT_S7_PKS6_PKT0_illlliPT3_S5_iiiiPKf,@function
_ZN4vllm38concat_and_cache_mla_rope_fused_kernelIfN3c104HalfELb1EfhLNS_18Fp8KVCacheDataTypeE1EEEvPKlPT_S7_PKS6_PKT0_illlliPT3_S5_iiiiPKf: ; @_ZN4vllm38concat_and_cache_mla_rope_fused_kernelIfN3c104HalfELb1EfhLNS_18Fp8KVCacheDataTypeE1EEEvPKlPT_S7_PKS6_PKT0_illlliPT3_S5_iiiiPKf
; %bb.0:
	s_load_dwordx2 s[2:3], s[4:5], 0x60
	s_mov_b32 s7, 0
	s_lshl_b64 s[0:1], s[6:7], 3
	s_waitcnt lgkmcnt(0)
	s_add_u32 s2, s2, s0
	s_addc_u32 s3, s3, s1
	s_load_dwordx2 s[26:27], s[2:3], 0x0
	s_waitcnt lgkmcnt(0)
	v_cmp_lt_i64_e64 s[2:3], s[26:27], 0
	s_and_b64 vcc, exec, s[2:3]
	s_cbranch_vccnz .LBB56_61
; %bb.1:
	s_load_dword s7, s[4:5], 0x28
	s_load_dwordx2 s[2:3], s[4:5], 0x0
	s_load_dwordx4 s[16:19], s[4:5], 0x10
	s_waitcnt lgkmcnt(0)
	s_ashr_i32 s22, s7, 31
	s_add_u32 s0, s2, s0
	s_addc_u32 s1, s3, s1
	s_load_dwordx2 s[20:21], s[0:1], 0x0
	s_load_dwordx2 s[28:29], s[4:5], 0x20
	s_load_dwordx8 s[8:15], s[4:5], 0x30
	s_load_dwordx2 s[2:3], s[4:5], 0x58
	s_load_dword s23, s[4:5], 0x50
	s_waitcnt lgkmcnt(0)
	s_mul_i32 s0, s20, s22
	s_mul_hi_u32 s1, s20, s7
	s_mul_i32 s21, s21, s7
	s_add_i32 s0, s1, s0
	s_add_i32 s31, s0, s21
	s_lshr_b32 s0, s7, 31
	s_mul_i32 s30, s20, s7
	s_add_i32 s7, s7, s0
	s_ashr_i32 s20, s7, 1
	s_mul_i32 s7, s20, s23
	v_cmp_gt_i32_e32 vcc, s7, v0
	s_and_saveexec_b64 s[0:1], vcc
	s_cbranch_execz .LBB56_4
; %bb.2:
	s_lshl_b64 s[22:23], s[30:31], 1
	s_add_u32 s33, s28, s22
	s_addc_u32 s24, s29, s23
	s_load_dwordx2 s[22:23], s[4:5], 0x8
	s_mul_i32 s9, s6, s9
	s_mul_hi_u32 s25, s6, s8
	s_add_i32 s9, s25, s9
	s_load_dword s25, s[4:5], 0x8c
	s_mul_i32 s8, s6, s8
	s_ashr_i32 s21, s20, 31
	s_lshl_b64 s[8:9], s[8:9], 2
	s_waitcnt lgkmcnt(0)
	s_add_u32 s34, s22, s8
	s_addc_u32 s38, s23, s9
	s_abs_i32 s35, s20
	v_cvt_f32_u32_e32 v1, s35
	s_sub_i32 s8, 0, s35
	s_and_b32 s36, s25, 0xffff
	v_mov_b32_e32 v3, s24
	v_rcp_iflag_f32_e32 v1, v1
	s_lshl_b64 s[22:23], s[20:21], 1
	s_lshl_b64 s[24:25], s[20:21], 2
	s_sub_i32 s37, 0, s20
	v_mul_f32_e32 v1, 0x4f7ffffe, v1
	v_cvt_u32_f32_e32 v1, v1
	v_mov_b32_e32 v4, s23
	v_mov_b32_e32 v5, s38
	;; [unrolled: 1-line block ×3, first 2 shown]
	v_mul_lo_u32 v2, s8, v1
	v_mul_hi_u32 v2, v1, v2
	v_add_u32_e32 v1, v1, v2
	s_mov_b64 s[8:9], 0
	v_mov_b32_e32 v2, v0
.LBB56_3:                               ; =>This Inner Loop Header: Depth=1
	v_sub_u32_e32 v8, 0, v2
	v_max_i32_e32 v8, v2, v8
	v_mul_hi_u32 v9, v8, v1
	v_mul_lo_u32 v10, v9, s35
	v_sub_u32_e32 v8, v8, v10
	v_add_u32_e32 v11, 1, v9
	v_cmp_le_u32_e32 vcc, s35, v8
	v_subrev_u32_e32 v10, s35, v8
	v_cndmask_b32_e32 v9, v9, v11, vcc
	v_cndmask_b32_e32 v8, v8, v10, vcc
	v_ashrrev_i32_e32 v7, 31, v2
	v_add_u32_e32 v10, 1, v9
	v_cmp_le_u32_e32 vcc, s35, v8
	v_xor_b32_e32 v7, s21, v7
	v_cndmask_b32_e32 v8, v9, v10, vcc
	v_xor_b32_e32 v8, v8, v7
	v_sub_u32_e32 v7, v8, v7
	v_mad_u64_u32 v[8:9], s[38:39], s37, v7, v[2:3]
	v_ashrrev_i32_e32 v12, 31, v7
	v_ashrrev_i32_e32 v9, 31, v8
	v_mul_lo_u32 v14, v7, s11
	v_mad_u64_u32 v[10:11], s[38:39], v7, s10, 0
	v_mul_lo_u32 v7, v12, s10
	v_lshlrev_b64 v[12:13], 1, v[8:9]
	v_add_co_u32_e32 v12, vcc, s33, v12
	v_addc_co_u32_e32 v13, vcc, v3, v13, vcc
	v_add3_u32 v11, v11, v14, v7
	v_add_co_u32_e32 v14, vcc, s22, v12
	v_lshlrev_b64 v[10:11], 2, v[10:11]
	v_addc_co_u32_e32 v15, vcc, v13, v4, vcc
	v_add_co_u32_e32 v7, vcc, s34, v10
	v_lshlrev_b64 v[8:9], 2, v[8:9]
	v_addc_co_u32_e32 v10, vcc, v5, v11, vcc
	global_load_ushort v16, v[12:13], off
	global_load_ushort v17, v[14:15], off
	v_add_co_u32_e32 v8, vcc, v7, v8
	v_addc_co_u32_e32 v9, vcc, v10, v9, vcc
	v_add_co_u32_e32 v10, vcc, s24, v8
	v_addc_co_u32_e32 v11, vcc, v9, v6, vcc
	global_load_dword v7, v[8:9], off
	global_load_dword v12, v[10:11], off
	v_add_u32_e32 v2, s36, v2
	v_cmp_le_i32_e32 vcc, s7, v2
	s_or_b64 s[8:9], vcc, s[8:9]
	s_waitcnt vmcnt(3)
	v_cvt_f32_f16_e32 v13, v16
	s_waitcnt vmcnt(2)
	v_cvt_f32_f16_e32 v14, v17
	s_waitcnt vmcnt(0)
	v_mul_f32_e32 v13, v12, v13
	v_mul_f32_e32 v12, v12, v14
	v_fma_mix_f32 v13, v7, v17, v13 op_sel_hi:[0,1,0]
	v_fma_mix_f32 v7, v7, v16, -v12 op_sel_hi:[0,1,0]
	global_store_dword v[8:9], v7, off
	global_store_dword v[10:11], v13, off
	s_andn2_b64 exec, exec, s[8:9]
	s_cbranch_execnz .LBB56_3
.LBB56_4:
	s_or_b64 exec, exec, s[0:1]
	s_load_dwordx4 s[8:11], s[4:5], 0x68
	s_waitcnt lgkmcnt(0)
	s_ashr_i32 s35, s11, 31
	s_mov_b32 s34, s11
	s_or_b64 s[0:1], s[26:27], s[34:35]
	s_mov_b32 s0, 0
	s_cmp_lg_u64 s[0:1], 0
	s_cbranch_scc0 .LBB56_62
; %bb.5:
	s_add_u32 s0, s34, s35
	s_mov_b32 s22, s35
	s_mov_b32 s23, s35
	s_addc_u32 s1, s35, s35
	s_xor_b64 s[36:37], s[0:1], s[22:23]
	v_cvt_f32_u32_e32 v1, s36
	v_cvt_f32_u32_e32 v2, s37
	s_sub_u32 s0, 0, s36
	s_subb_u32 s1, 0, s37
	v_madmk_f32 v1, v2, 0x4f800000, v1
	v_rcp_f32_e32 v1, v1
	v_mul_f32_e32 v1, 0x5f7ffffc, v1
	v_mul_f32_e32 v2, 0x2f800000, v1
	v_trunc_f32_e32 v2, v2
	v_madmk_f32 v1, v2, 0xcf800000, v1
	v_cvt_u32_f32_e32 v2, v2
	v_cvt_u32_f32_e32 v1, v1
	v_readfirstlane_b32 s7, v2
	v_readfirstlane_b32 s11, v1
	s_mul_i32 s21, s0, s7
	s_mul_hi_u32 s38, s0, s11
	s_mul_i32 s33, s1, s11
	s_add_i32 s21, s38, s21
	s_add_i32 s21, s21, s33
	s_mul_i32 s39, s0, s11
	s_mul_hi_u32 s33, s11, s21
	s_mul_i32 s38, s11, s21
	s_mul_hi_u32 s11, s11, s39
	s_add_u32 s11, s11, s38
	s_addc_u32 s33, 0, s33
	s_mul_hi_u32 s40, s7, s39
	s_mul_i32 s39, s7, s39
	s_add_u32 s11, s11, s39
	s_mul_hi_u32 s38, s7, s21
	s_addc_u32 s11, s33, s40
	s_addc_u32 s33, s38, 0
	s_mul_i32 s21, s7, s21
	s_add_u32 s11, s11, s21
	s_addc_u32 s21, 0, s33
	v_add_co_u32_e32 v1, vcc, s11, v1
	s_cmp_lg_u64 vcc, 0
	s_addc_u32 s7, s7, s21
	v_readfirstlane_b32 s21, v1
	s_mul_i32 s11, s0, s7
	s_mul_hi_u32 s33, s0, s21
	s_add_i32 s11, s33, s11
	s_mul_i32 s1, s1, s21
	s_add_i32 s11, s11, s1
	s_mul_i32 s0, s0, s21
	s_mul_hi_u32 s33, s7, s0
	s_mul_i32 s38, s7, s0
	s_mul_i32 s40, s21, s11
	s_mul_hi_u32 s0, s21, s0
	s_mul_hi_u32 s39, s21, s11
	s_add_u32 s0, s0, s40
	s_addc_u32 s21, 0, s39
	s_add_u32 s0, s0, s38
	s_mul_hi_u32 s1, s7, s11
	s_addc_u32 s0, s21, s33
	s_addc_u32 s1, s1, 0
	s_mul_i32 s11, s7, s11
	s_add_u32 s0, s0, s11
	s_addc_u32 s1, 0, s1
	v_add_co_u32_e32 v1, vcc, s0, v1
	s_cmp_lg_u64 vcc, 0
	s_addc_u32 s7, s7, s1
	s_ashr_i32 s38, s27, 31
	s_add_u32 s0, s26, s38
	s_mov_b32 s39, s38
	s_addc_u32 s1, s27, s38
	s_xor_b64 s[40:41], s[0:1], s[38:39]
	v_readfirstlane_b32 s11, v1
	s_mul_i32 s1, s40, s7
	s_mul_hi_u32 s21, s40, s11
	s_mul_hi_u32 s0, s40, s7
	s_add_u32 s1, s21, s1
	s_addc_u32 s0, 0, s0
	s_mul_hi_u32 s33, s41, s11
	s_mul_i32 s11, s41, s11
	s_add_u32 s1, s1, s11
	s_mul_hi_u32 s21, s41, s7
	s_addc_u32 s0, s0, s33
	s_addc_u32 s1, s21, 0
	s_mul_i32 s7, s41, s7
	s_add_u32 s7, s0, s7
	s_addc_u32 s11, 0, s1
	s_mul_i32 s0, s36, s11
	s_mul_hi_u32 s1, s36, s7
	s_add_i32 s0, s1, s0
	s_mul_i32 s1, s37, s7
	s_add_i32 s21, s0, s1
	s_mul_i32 s1, s36, s7
	v_mov_b32_e32 v1, s1
	s_sub_i32 s0, s41, s21
	v_sub_co_u32_e32 v1, vcc, s40, v1
	s_cmp_lg_u64 vcc, 0
	s_subb_u32 s33, s0, s37
	v_subrev_co_u32_e64 v2, s[0:1], s36, v1
	s_cmp_lg_u64 s[0:1], 0
	s_subb_u32 s0, s33, 0
	s_cmp_ge_u32 s0, s37
	v_readfirstlane_b32 s33, v2
	s_cselect_b32 s1, -1, 0
	s_cmp_ge_u32 s33, s36
	s_cselect_b32 s33, -1, 0
	s_cmp_eq_u32 s0, s37
	s_cselect_b32 s0, s33, s1
	s_add_u32 s1, s7, 1
	s_addc_u32 s33, s11, 0
	s_add_u32 s40, s7, 2
	s_addc_u32 s42, s11, 0
	s_cmp_lg_u32 s0, 0
	s_cselect_b32 s0, s40, s1
	s_cselect_b32 s1, s42, s33
	s_cmp_lg_u64 vcc, 0
	s_subb_u32 s21, s41, s21
	s_cmp_ge_u32 s21, s37
	v_readfirstlane_b32 s40, v1
	s_cselect_b32 s33, -1, 0
	s_cmp_ge_u32 s40, s36
	s_cselect_b32 s36, -1, 0
	s_cmp_eq_u32 s21, s37
	s_cselect_b32 s21, s36, s33
	s_cmp_lg_u32 s21, 0
	s_cselect_b32 s1, s1, s11
	s_cselect_b32 s0, s0, s7
	s_xor_b64 s[22:23], s[38:39], s[22:23]
	s_xor_b64 s[0:1], s[0:1], s[22:23]
	s_sub_u32 s22, s0, s22
	s_subb_u32 s23, s1, s23
	s_cbranch_execnz .LBB56_7
.LBB56_6:
	v_cvt_f32_u32_e32 v1, s34
	s_sub_i32 s0, 0, s34
	s_mov_b32 s23, 0
	v_rcp_iflag_f32_e32 v1, v1
	v_mul_f32_e32 v1, 0x4f7ffffe, v1
	v_cvt_u32_f32_e32 v1, v1
	v_readfirstlane_b32 s1, v1
	s_mul_i32 s0, s0, s1
	s_mul_hi_u32 s0, s1, s0
	s_add_i32 s1, s1, s0
	s_mul_hi_u32 s0, s26, s1
	s_mul_i32 s7, s0, s34
	s_sub_i32 s7, s26, s7
	s_add_i32 s1, s0, 1
	s_sub_i32 s11, s7, s34
	s_cmp_ge_u32 s7, s34
	s_cselect_b32 s0, s1, s0
	s_cselect_b32 s7, s11, s7
	s_add_i32 s1, s0, 1
	s_cmp_ge_u32 s7, s34
	s_cselect_b32 s22, s1, s0
.LBB56_7:
	s_mul_i32 s0, s22, s35
	s_mul_hi_u32 s1, s22, s34
	s_load_dwordx2 s[24:25], s[4:5], 0x78
	s_add_i32 s0, s1, s0
	s_mul_i32 s1, s23, s34
	s_add_i32 s0, s0, s1
	s_mul_i32 s1, s22, s34
	s_sub_u32 s7, s26, s1
	s_subb_u32 s11, s27, s0
	v_cmp_gt_i32_e32 vcc, s20, v0
	s_mul_hi_u32 s46, s22, s8
	s_mul_i32 s47, s23, s8
	s_mul_i32 s48, s22, s8
	s_mul_hi_u32 s33, s7, s9
	s_mul_i32 s11, s11, s9
	s_mul_i32 s23, s7, s9
	s_and_saveexec_b64 s[26:27], vcc
	s_cbranch_execz .LBB56_42
; %bb.8:
	s_ashr_i32 s0, s8, 31
	s_ashr_i32 s1, s9, 31
	s_mul_i32 s0, s22, s0
	s_mul_i32 s1, s7, s1
	s_add_i32 s0, s46, s0
	s_add_i32 s1, s33, s1
	s_ashr_i32 s21, s20, 31
	s_add_i32 s0, s0, s47
	s_add_i32 s1, s1, s11
	s_add_u32 s34, s48, s23
	s_load_dword s36, s[4:5], 0x8c
	s_addc_u32 s35, s0, s1
	s_add_u32 s0, s34, s2
	s_addc_u32 s1, s35, s3
	s_ashr_i32 s37, s10, 31
	s_add_u32 s49, s0, s10
	s_addc_u32 s50, s1, s37
	s_waitcnt lgkmcnt(0)
	s_and_b32 s52, s36, 0xffff
	s_lshl_b64 s[0:1], s[30:31], 1
	s_add_u32 s0, s28, s0
	v_lshlrev_b32_e32 v1, 1, v0
	s_addc_u32 s1, s29, s1
	v_mov_b32_e32 v2, s1
	v_add_co_u32_e32 v4, vcc, s0, v1
	s_mul_i32 s0, s13, s6
	s_mul_hi_u32 s1, s12, s6
	s_add_i32 s1, s1, s0
	s_mul_i32 s0, s12, s6
	s_lshl_b32 s54, s52, 1
	s_lshl_b64 s[28:29], s[20:21], 1
	s_lshl_b64 s[30:31], s[20:21], 2
	;; [unrolled: 1-line block ×3, first 2 shown]
	s_add_u32 s0, s16, s0
	v_addc_co_u32_e32 v5, vcc, 0, v2, vcc
	v_lshlrev_b32_e32 v1, 2, v0
	s_addc_u32 s1, s17, s1
	s_lshl_b32 s55, s52, 2
	v_add_co_u32_e32 v6, vcc, s0, v1
	s_add_u32 s0, s34, s20
	s_load_dword s51, s[24:25], 0x0
	v_mov_b32_e32 v2, s1
	s_addc_u32 s1, s35, s21
	s_add_u32 s0, s0, s10
	s_addc_u32 s1, s1, s37
	s_mov_b32 s53, 0
	s_add_u32 s21, s2, s0
	v_mov_b32_e32 v3, 0
	v_addc_co_u32_e32 v7, vcc, 0, v2, vcc
	s_mov_b32 s56, s53
	s_addc_u32 s57, s3, s1
	s_mov_b64 s[12:13], 0
	v_mov_b32_e32 v1, s29
	v_mov_b32_e32 v10, s31
	s_movk_i32 s29, 0x80
	s_mov_b64 s[16:17], 0x7f800000
	s_mov_b64 s[34:35], 0x43e00001
	s_movk_i32 s31, 0x7a
	s_mov_b64 s[36:37], 0xffffff
	s_movk_i32 s58, 0x7f
	v_mov_b32_e32 v11, 0xffffff82
	v_mov_b32_e32 v12, 0x78
	s_mov_b64 s[38:39], 0
	s_branch .LBB56_10
.LBB56_9:                               ;   in Loop: Header=BB56_10 Depth=1
	s_or_b64 exec, exec, s[0:1]
	s_add_u32 s38, s38, s52
	v_mov_b32_e32 v2, s57
	v_add_co_u32_e32 v14, vcc, s21, v0
	s_addc_u32 s39, s39, 0
	v_addc_co_u32_e32 v15, vcc, 0, v2, vcc
	s_add_u32 s21, s21, s52
	v_mov_b32_e32 v8, s53
	v_add_co_u32_e32 v4, vcc, s54, v4
	s_addc_u32 s57, s57, 0
	v_add_u32_e32 v2, s38, v0
	v_addc_co_u32_e32 v5, vcc, v5, v8, vcc
	s_add_u32 s49, s49, s52
	s_addc_u32 s50, s50, 0
	v_cmp_le_i32_e32 vcc, s20, v2
	v_mov_b32_e32 v8, s56
	s_or_b64 s[12:13], vcc, s[12:13]
	v_add_co_u32_e32 v6, vcc, s55, v6
	v_addc_co_u32_e32 v7, vcc, v7, v8, vcc
	global_store_byte v[14:15], v9, off
	s_andn2_b64 exec, exec, s[12:13]
	s_cbranch_execz .LBB56_42
.LBB56_10:                              ; =>This Inner Loop Header: Depth=1
	v_add_co_u32_e32 v8, vcc, s28, v4
	v_addc_co_u32_e32 v9, vcc, v5, v1, vcc
	global_load_ushort v2, v[4:5], off
	global_load_ushort v13, v[8:9], off
	v_add_co_u32_e32 v8, vcc, s30, v6
	v_addc_co_u32_e32 v9, vcc, v7, v10, vcc
	global_load_dword v14, v[8:9], off
	global_load_dword v15, v[6:7], off
	v_mov_b32_e32 v17, v3
	s_waitcnt vmcnt(3)
	v_cvt_f32_f16_e32 v16, v2
	s_waitcnt vmcnt(2)
	v_cvt_f32_f16_e32 v18, v13
	s_waitcnt vmcnt(1)
	v_mul_f32_e32 v16, v14, v16
	v_mul_f32_e32 v14, v14, v18
	s_waitcnt vmcnt(0)
	v_fma_mix_f32 v2, v15, v2, -v14 op_sel_hi:[0,1,0]
	s_waitcnt lgkmcnt(0)
	v_div_scale_f32 v14, s[0:1], s51, s51, v2
	v_fma_mix_f32 v13, v15, v13, v16 op_sel_hi:[0,1,0]
	v_rcp_f32_e32 v15, v14
	global_store_dword v[6:7], v2, off
	global_store_dword v[8:9], v13, off
	v_div_scale_f32 v8, vcc, v2, s51, v2
	v_fma_f32 v9, -v14, v15, 1.0
	v_fmac_f32_e32 v15, v9, v15
	v_mul_f32_e32 v9, v8, v15
	v_fma_f32 v16, -v14, v9, v8
	v_fmac_f32_e32 v9, v16, v15
	v_fma_f32 v8, -v14, v9, v8
	v_div_fmas_f32 v8, v8, v15, v9
	v_div_fixup_f32 v8, v8, s51, v2
	v_and_b32_sdwa v14, v8, s29 dst_sel:DWORD dst_unused:UNUSED_PAD src0_sel:BYTE_3 src1_sel:DWORD
	v_and_b32_e32 v16, 0x7f800000, v8
	v_and_b32_e32 v2, 0x7fffff, v8
	v_or_b32_e32 v9, 0x7e, v14
	v_cmp_ne_u64_e32 vcc, s[16:17], v[16:17]
	s_and_saveexec_b64 s[0:1], vcc
	s_xor_b64 s[40:41], exec, s[0:1]
	s_cbranch_execz .LBB56_24
; %bb.11:                               ;   in Loop: Header=BB56_10 Depth=1
	v_and_b32_e32 v16, 0x7fffffff, v8
	v_mov_b32_e32 v17, v3
	v_cmp_gt_u64_e32 vcc, s[34:35], v[16:17]
	s_and_saveexec_b64 s[0:1], vcc
	s_xor_b64 s[42:43], exec, s[0:1]
	s_cbranch_execz .LBB56_23
; %bb.12:                               ;   in Loop: Header=BB56_10 Depth=1
	v_cmp_ne_u32_e32 vcc, 0, v8
	v_mov_b32_e32 v9, 0
	s_and_saveexec_b64 s[44:45], vcc
	s_cbranch_execz .LBB56_22
; %bb.13:                               ;   in Loop: Header=BB56_10 Depth=1
	v_bfe_u32 v8, v8, 23, 8
	v_sub_u32_e32 v15, 0x79, v8
	v_cmp_gt_u32_e32 vcc, s31, v8
	v_cndmask_b32_e32 v15, 0, v15, vcc
	v_cmp_eq_u32_e32 vcc, 0, v8
	v_cndmask_b32_e32 v15, v15, v12, vcc
	v_add_u32_e32 v9, 0xffffff81, v8
	v_or_b32_e32 v16, 0x800000, v2
	v_add_u32_e32 v8, 20, v15
	v_cndmask_b32_e32 v17, v9, v11, vcc
	v_cndmask_b32_e32 v2, v16, v2, vcc
	v_lshlrev_b64 v[8:9], v8, -1
	v_not_b32_e32 v8, v8
	v_lshrrev_b64 v[20:21], v15, v[2:3]
	v_not_b32_e32 v9, v9
	v_and_b32_e32 v8, v2, v8
	v_add_u32_e32 v16, 19, v15
	v_lshrrev_b32_e32 v2, 23, v20
	v_and_b32_e32 v9, 0, v9
	v_lshlrev_b64 v[18:19], v16, 1
	v_add3_u32 v16, v15, v17, v2
	v_bfe_u32 v2, v20, 20, 1
	v_add_u32_e32 v2, -1, v2
	v_cmp_eq_u64_e32 vcc, v[8:9], v[18:19]
	v_cndmask_b32_e32 v2, 0, v2, vcc
	v_add_u32_e32 v2, v2, v20
	v_and_b32_e32 v2, 0xfffff, v2
	v_add_co_u32_e32 v8, vcc, v2, v20
	v_add_u32_e32 v15, 6, v16
	v_addc_co_u32_e32 v9, vcc, 0, v21, vcc
	v_cmp_ne_u32_e32 vcc, 0, v15
                                        ; implicit-def: $vgpr2
	s_and_saveexec_b64 s[0:1], vcc
	s_xor_b64 s[0:1], exec, s[0:1]
; %bb.14:                               ;   in Loop: Header=BB56_10 Depth=1
	v_add_u32_e32 v2, 7, v16
	v_cmp_lt_u64_e32 vcc, s[36:37], v[8:9]
	v_cndmask_b32_e32 v2, v15, v2, vcc
	v_cndmask_b32_e64 v15, 0, 1, vcc
	v_lshrrev_b64 v[8:9], v15, v[8:9]
; %bb.15:                               ;   in Loop: Header=BB56_10 Depth=1
	s_andn2_saveexec_b64 s[0:1], s[0:1]
; %bb.16:                               ;   in Loop: Header=BB56_10 Depth=1
	v_bfe_u32 v2, v8, 23, 1
; %bb.17:                               ;   in Loop: Header=BB56_10 Depth=1
	s_or_b64 exec, exec, s[0:1]
	v_lshrrev_b64 v[8:9], 20, v[8:9]
	v_cmp_gt_i32_e32 vcc, 16, v2
	v_cndmask_b32_e32 v9, 0, v9, vcc
	v_cndmask_b32_e32 v8, 7, v8, vcc
	v_cmp_ne_u32_e32 vcc, 0, v2
	v_cmp_ne_u64_e64 s[0:1], 0, v[8:9]
	s_or_b64 s[0:1], vcc, s[0:1]
                                        ; implicit-def: $vgpr9
	s_and_saveexec_b64 s[60:61], s[0:1]
	s_xor_b64 s[0:1], exec, s[60:61]
; %bb.18:                               ;   in Loop: Header=BB56_10 Depth=1
	v_min_i32_e32 v2, 15, v2
	v_lshl_or_b32 v2, v2, 3, v14
	v_and_or_b32 v9, v8, 7, v2
                                        ; implicit-def: $vgpr14
; %bb.19:                               ;   in Loop: Header=BB56_10 Depth=1
	s_andn2_saveexec_b64 s[0:1], s[0:1]
; %bb.20:                               ;   in Loop: Header=BB56_10 Depth=1
	v_mov_b32_e32 v9, v14
; %bb.21:                               ;   in Loop: Header=BB56_10 Depth=1
	s_or_b64 exec, exec, s[0:1]
.LBB56_22:                              ;   in Loop: Header=BB56_10 Depth=1
	s_or_b64 exec, exec, s[44:45]
.LBB56_23:                              ;   in Loop: Header=BB56_10 Depth=1
	s_andn2_saveexec_b64 s[0:1], s[42:43]
	s_or_b64 exec, exec, s[0:1]
                                        ; implicit-def: $vgpr8
.LBB56_24:                              ;   in Loop: Header=BB56_10 Depth=1
	s_andn2_saveexec_b64 s[0:1], s[40:41]
; %bb.25:                               ;   in Loop: Header=BB56_10 Depth=1
	v_or_b32_sdwa v8, v8, s58 dst_sel:DWORD dst_unused:UNUSED_PAD src0_sel:BYTE_3 src1_sel:DWORD
	v_cmp_eq_u64_e32 vcc, 0, v[2:3]
	v_cndmask_b32_e32 v9, v8, v9, vcc
; %bb.26:                               ;   in Loop: Header=BB56_10 Depth=1
	s_or_b64 exec, exec, s[0:1]
	v_div_scale_f32 v8, s[0:1], s51, s51, v13
	v_rcp_f32_e32 v16, v8
	v_mov_b32_e32 v2, s50
	v_add_co_u32_e32 v14, vcc, s49, v0
	v_addc_co_u32_e32 v15, vcc, 0, v2, vcc
	v_fma_f32 v2, -v8, v16, 1.0
	v_fmac_f32_e32 v16, v2, v16
	v_div_scale_f32 v2, vcc, v13, s51, v13
	global_store_byte v[14:15], v9, off
	v_mul_f32_e32 v9, v2, v16
	v_fma_f32 v14, -v8, v9, v2
	v_fmac_f32_e32 v9, v14, v16
	v_fma_f32 v2, -v8, v9, v2
	v_div_fmas_f32 v2, v2, v16, v9
	v_div_fixup_f32 v8, v2, s51, v13
	v_and_b32_sdwa v13, v8, s29 dst_sel:DWORD dst_unused:UNUSED_PAD src0_sel:BYTE_3 src1_sel:DWORD
	v_and_b32_e32 v14, 0x7f800000, v8
	v_mov_b32_e32 v15, v3
	v_and_b32_e32 v2, 0x7fffff, v8
	v_or_b32_e32 v9, 0x7e, v13
	v_cmp_ne_u64_e32 vcc, s[16:17], v[14:15]
	s_and_saveexec_b64 s[0:1], vcc
	s_xor_b64 s[40:41], exec, s[0:1]
	s_cbranch_execz .LBB56_40
; %bb.27:                               ;   in Loop: Header=BB56_10 Depth=1
	v_and_b32_e32 v14, 0x7fffffff, v8
	v_mov_b32_e32 v15, v3
	v_cmp_gt_u64_e32 vcc, s[34:35], v[14:15]
	s_and_saveexec_b64 s[0:1], vcc
	s_xor_b64 s[42:43], exec, s[0:1]
	s_cbranch_execz .LBB56_39
; %bb.28:                               ;   in Loop: Header=BB56_10 Depth=1
	v_cmp_ne_u32_e32 vcc, 0, v8
	v_mov_b32_e32 v9, 0
	s_and_saveexec_b64 s[44:45], vcc
	s_cbranch_execz .LBB56_38
; %bb.29:                               ;   in Loop: Header=BB56_10 Depth=1
	v_bfe_u32 v8, v8, 23, 8
	v_sub_u32_e32 v14, 0x79, v8
	v_cmp_gt_u32_e32 vcc, s31, v8
	v_cndmask_b32_e32 v14, 0, v14, vcc
	v_cmp_eq_u32_e32 vcc, 0, v8
	v_cndmask_b32_e32 v14, v14, v12, vcc
	v_add_u32_e32 v9, 0xffffff81, v8
	v_or_b32_e32 v15, 0x800000, v2
	v_add_u32_e32 v8, 20, v14
	v_cndmask_b32_e32 v20, v9, v11, vcc
	v_cndmask_b32_e32 v2, v15, v2, vcc
	v_lshlrev_b64 v[8:9], v8, -1
	v_not_b32_e32 v8, v8
	v_lshrrev_b64 v[18:19], v14, v[2:3]
	v_not_b32_e32 v9, v9
	v_and_b32_e32 v8, v2, v8
	v_add_u32_e32 v15, 19, v14
	v_lshrrev_b32_e32 v2, 23, v18
	v_and_b32_e32 v9, 0, v9
	v_lshlrev_b64 v[16:17], v15, 1
	v_add3_u32 v15, v14, v20, v2
	v_bfe_u32 v2, v18, 20, 1
	v_add_u32_e32 v2, -1, v2
	v_cmp_eq_u64_e32 vcc, v[8:9], v[16:17]
	v_cndmask_b32_e32 v2, 0, v2, vcc
	v_add_u32_e32 v2, v2, v18
	v_and_b32_e32 v2, 0xfffff, v2
	v_add_co_u32_e32 v8, vcc, v2, v18
	v_add_u32_e32 v14, 6, v15
	v_addc_co_u32_e32 v9, vcc, 0, v19, vcc
	v_cmp_ne_u32_e32 vcc, 0, v14
                                        ; implicit-def: $vgpr2
	s_and_saveexec_b64 s[0:1], vcc
	s_xor_b64 s[0:1], exec, s[0:1]
; %bb.30:                               ;   in Loop: Header=BB56_10 Depth=1
	v_add_u32_e32 v2, 7, v15
	v_cmp_lt_u64_e32 vcc, s[36:37], v[8:9]
	v_cndmask_b32_e32 v2, v14, v2, vcc
	v_cndmask_b32_e64 v14, 0, 1, vcc
	v_lshrrev_b64 v[8:9], v14, v[8:9]
; %bb.31:                               ;   in Loop: Header=BB56_10 Depth=1
	s_andn2_saveexec_b64 s[0:1], s[0:1]
; %bb.32:                               ;   in Loop: Header=BB56_10 Depth=1
	v_bfe_u32 v2, v8, 23, 1
; %bb.33:                               ;   in Loop: Header=BB56_10 Depth=1
	s_or_b64 exec, exec, s[0:1]
	v_lshrrev_b64 v[8:9], 20, v[8:9]
	v_cmp_gt_i32_e32 vcc, 16, v2
	v_cndmask_b32_e32 v9, 0, v9, vcc
	v_cndmask_b32_e32 v8, 7, v8, vcc
	v_cmp_ne_u32_e32 vcc, 0, v2
	v_cmp_ne_u64_e64 s[0:1], 0, v[8:9]
	s_or_b64 s[0:1], vcc, s[0:1]
                                        ; implicit-def: $vgpr9
	s_and_saveexec_b64 s[60:61], s[0:1]
	s_xor_b64 s[0:1], exec, s[60:61]
; %bb.34:                               ;   in Loop: Header=BB56_10 Depth=1
	v_min_i32_e32 v2, 15, v2
	v_lshl_or_b32 v2, v2, 3, v13
	v_and_or_b32 v9, v8, 7, v2
                                        ; implicit-def: $vgpr13
; %bb.35:                               ;   in Loop: Header=BB56_10 Depth=1
	s_andn2_saveexec_b64 s[0:1], s[0:1]
; %bb.36:                               ;   in Loop: Header=BB56_10 Depth=1
	v_mov_b32_e32 v9, v13
; %bb.37:                               ;   in Loop: Header=BB56_10 Depth=1
	s_or_b64 exec, exec, s[0:1]
.LBB56_38:                              ;   in Loop: Header=BB56_10 Depth=1
	s_or_b64 exec, exec, s[44:45]
.LBB56_39:                              ;   in Loop: Header=BB56_10 Depth=1
	s_andn2_saveexec_b64 s[0:1], s[42:43]
	s_or_b64 exec, exec, s[0:1]
                                        ; implicit-def: $vgpr8
.LBB56_40:                              ;   in Loop: Header=BB56_10 Depth=1
	s_andn2_saveexec_b64 s[0:1], s[40:41]
	s_cbranch_execz .LBB56_9
; %bb.41:                               ;   in Loop: Header=BB56_10 Depth=1
	v_or_b32_sdwa v8, v8, s58 dst_sel:DWORD dst_unused:UNUSED_PAD src0_sel:BYTE_3 src1_sel:DWORD
	v_cmp_eq_u64_e32 vcc, 0, v[2:3]
	v_cndmask_b32_e32 v9, v8, v9, vcc
	s_branch .LBB56_9
.LBB56_42:
	s_or_b64 exec, exec, s[26:27]
	v_cmp_gt_i32_e32 vcc, s10, v0
	s_and_saveexec_b64 s[0:1], vcc
	s_cbranch_execz .LBB56_61
; %bb.43:
	s_mul_i32 s0, s6, s15
	s_mul_hi_u32 s1, s6, s14
	s_add_i32 s1, s1, s0
	s_mul_i32 s0, s6, s14
	s_lshl_b64 s[0:1], s[0:1], 2
	s_add_u32 s18, s18, s0
	s_addc_u32 s0, s19, s1
	s_ashr_i32 s1, s8, 31
	s_mul_i32 s1, s22, s1
	s_add_i32 s1, s46, s1
	s_add_i32 s1, s1, s47
	s_add_u32 s2, s2, s48
	s_addc_u32 s1, s3, s1
	s_ashr_i32 s3, s9, 31
	s_load_dword s4, s[4:5], 0x8c
	s_mul_i32 s7, s7, s3
	s_waitcnt lgkmcnt(0)
	s_load_dword s20, s[24:25], 0x0
	s_add_i32 s3, s33, s7
	s_add_i32 s3, s3, s11
	s_add_u32 s11, s2, s23
	s_addc_u32 s19, s1, s3
	s_and_b32 s21, s4, 0xffff
	s_mov_b64 s[2:3], 0
	v_mov_b32_e32 v6, s0
	v_mov_b32_e32 v3, 0
	s_movk_i32 s22, 0x80
	s_mov_b64 s[4:5], 0x7f800000
	s_mov_b64 s[6:7], 0x43e00001
	s_movk_i32 s23, 0x7a
	s_mov_b64 s[8:9], 0xffffff
	s_movk_i32 s24, 0x7f
	v_mov_b32_e32 v7, 0xffffff82
	v_mov_b32_e32 v8, 0x78
	s_branch .LBB56_45
.LBB56_44:                              ;   in Loop: Header=BB56_45 Depth=1
	s_or_b64 exec, exec, s[0:1]
	v_mov_b32_e32 v2, s19
	v_add_co_u32_e32 v10, vcc, s11, v0
	v_addc_co_u32_e32 v11, vcc, v2, v1, vcc
	v_add_u32_e32 v0, s21, v0
	v_cmp_le_i32_e32 vcc, s10, v0
	s_or_b64 s[2:3], vcc, s[2:3]
	global_store_byte v[10:11], v5, off
	s_andn2_b64 exec, exec, s[2:3]
	s_cbranch_execz .LBB56_61
.LBB56_45:                              ; =>This Inner Loop Header: Depth=1
	v_ashrrev_i32_e32 v1, 31, v0
	v_lshlrev_b64 v[4:5], 2, v[0:1]
	v_add_co_u32_e32 v4, vcc, s18, v4
	v_addc_co_u32_e32 v5, vcc, v6, v5, vcc
	global_load_dword v2, v[4:5], off
	v_mov_b32_e32 v11, v3
	s_waitcnt vmcnt(0) lgkmcnt(0)
	v_div_scale_f32 v4, s[0:1], s20, s20, v2
	v_rcp_f32_e32 v5, v4
	v_div_scale_f32 v9, vcc, v2, s20, v2
	v_fma_f32 v10, -v4, v5, 1.0
	v_fmac_f32_e32 v5, v10, v5
	v_mul_f32_e32 v10, v9, v5
	v_fma_f32 v12, -v4, v10, v9
	v_fmac_f32_e32 v10, v12, v5
	v_fma_f32 v4, -v4, v10, v9
	v_div_fmas_f32 v4, v4, v5, v10
	v_div_fixup_f32 v4, v4, s20, v2
	v_and_b32_sdwa v9, v4, s22 dst_sel:DWORD dst_unused:UNUSED_PAD src0_sel:BYTE_3 src1_sel:DWORD
	v_and_b32_e32 v10, 0x7f800000, v4
	v_and_b32_e32 v2, 0x7fffff, v4
	v_or_b32_e32 v5, 0x7e, v9
	v_cmp_ne_u64_e32 vcc, s[4:5], v[10:11]
	s_and_saveexec_b64 s[0:1], vcc
	s_xor_b64 s[12:13], exec, s[0:1]
	s_cbranch_execz .LBB56_59
; %bb.46:                               ;   in Loop: Header=BB56_45 Depth=1
	v_and_b32_e32 v10, 0x7fffffff, v4
	v_mov_b32_e32 v11, v3
	v_cmp_gt_u64_e32 vcc, s[6:7], v[10:11]
	s_and_saveexec_b64 s[0:1], vcc
	s_xor_b64 s[14:15], exec, s[0:1]
	s_cbranch_execz .LBB56_58
; %bb.47:                               ;   in Loop: Header=BB56_45 Depth=1
	v_cmp_ne_u32_e32 vcc, 0, v4
	v_mov_b32_e32 v5, 0
	s_and_saveexec_b64 s[16:17], vcc
	s_cbranch_execz .LBB56_57
; %bb.48:                               ;   in Loop: Header=BB56_45 Depth=1
	v_bfe_u32 v4, v4, 23, 8
	v_sub_u32_e32 v10, 0x79, v4
	v_cmp_gt_u32_e32 vcc, s23, v4
	v_cndmask_b32_e32 v10, 0, v10, vcc
	v_cmp_eq_u32_e32 vcc, 0, v4
	v_cndmask_b32_e32 v10, v10, v8, vcc
	v_add_u32_e32 v5, 0xffffff81, v4
	v_or_b32_e32 v11, 0x800000, v2
	v_add_u32_e32 v4, 20, v10
	v_cndmask_b32_e32 v16, v5, v7, vcc
	v_cndmask_b32_e32 v2, v11, v2, vcc
	v_lshlrev_b64 v[4:5], v4, -1
	v_not_b32_e32 v4, v4
	v_lshrrev_b64 v[14:15], v10, v[2:3]
	v_not_b32_e32 v5, v5
	v_and_b32_e32 v4, v2, v4
	v_add_u32_e32 v11, 19, v10
	v_lshrrev_b32_e32 v2, 23, v14
	v_and_b32_e32 v5, 0, v5
	v_lshlrev_b64 v[12:13], v11, 1
	v_add3_u32 v11, v10, v16, v2
	v_bfe_u32 v2, v14, 20, 1
	v_add_u32_e32 v2, -1, v2
	v_cmp_eq_u64_e32 vcc, v[4:5], v[12:13]
	v_cndmask_b32_e32 v2, 0, v2, vcc
	v_add_u32_e32 v2, v2, v14
	v_and_b32_e32 v2, 0xfffff, v2
	v_add_co_u32_e32 v4, vcc, v2, v14
	v_add_u32_e32 v10, 6, v11
	v_addc_co_u32_e32 v5, vcc, 0, v15, vcc
	v_cmp_ne_u32_e32 vcc, 0, v10
                                        ; implicit-def: $vgpr2
	s_and_saveexec_b64 s[0:1], vcc
	s_xor_b64 s[0:1], exec, s[0:1]
; %bb.49:                               ;   in Loop: Header=BB56_45 Depth=1
	v_add_u32_e32 v2, 7, v11
	v_cmp_lt_u64_e32 vcc, s[8:9], v[4:5]
	v_cndmask_b32_e32 v2, v10, v2, vcc
	v_cndmask_b32_e64 v10, 0, 1, vcc
	v_lshrrev_b64 v[4:5], v10, v[4:5]
; %bb.50:                               ;   in Loop: Header=BB56_45 Depth=1
	s_andn2_saveexec_b64 s[0:1], s[0:1]
; %bb.51:                               ;   in Loop: Header=BB56_45 Depth=1
	v_bfe_u32 v2, v4, 23, 1
; %bb.52:                               ;   in Loop: Header=BB56_45 Depth=1
	s_or_b64 exec, exec, s[0:1]
	v_lshrrev_b64 v[4:5], 20, v[4:5]
	v_cmp_gt_i32_e32 vcc, 16, v2
	v_cndmask_b32_e32 v5, 0, v5, vcc
	v_cndmask_b32_e32 v4, 7, v4, vcc
	v_cmp_ne_u32_e32 vcc, 0, v2
	v_cmp_ne_u64_e64 s[0:1], 0, v[4:5]
	s_or_b64 s[0:1], vcc, s[0:1]
                                        ; implicit-def: $vgpr5
	s_and_saveexec_b64 s[26:27], s[0:1]
	s_xor_b64 s[0:1], exec, s[26:27]
; %bb.53:                               ;   in Loop: Header=BB56_45 Depth=1
	v_min_i32_e32 v2, 15, v2
	v_lshl_or_b32 v2, v2, 3, v9
	v_and_or_b32 v5, v4, 7, v2
                                        ; implicit-def: $vgpr9
; %bb.54:                               ;   in Loop: Header=BB56_45 Depth=1
	s_andn2_saveexec_b64 s[0:1], s[0:1]
; %bb.55:                               ;   in Loop: Header=BB56_45 Depth=1
	v_mov_b32_e32 v5, v9
; %bb.56:                               ;   in Loop: Header=BB56_45 Depth=1
	s_or_b64 exec, exec, s[0:1]
.LBB56_57:                              ;   in Loop: Header=BB56_45 Depth=1
	s_or_b64 exec, exec, s[16:17]
.LBB56_58:                              ;   in Loop: Header=BB56_45 Depth=1
	s_andn2_saveexec_b64 s[0:1], s[14:15]
	s_or_b64 exec, exec, s[0:1]
                                        ; implicit-def: $vgpr4
.LBB56_59:                              ;   in Loop: Header=BB56_45 Depth=1
	s_andn2_saveexec_b64 s[0:1], s[12:13]
	s_cbranch_execz .LBB56_44
; %bb.60:                               ;   in Loop: Header=BB56_45 Depth=1
	v_or_b32_sdwa v4, v4, s24 dst_sel:DWORD dst_unused:UNUSED_PAD src0_sel:BYTE_3 src1_sel:DWORD
	v_cmp_eq_u64_e32 vcc, 0, v[2:3]
	v_cndmask_b32_e32 v5, v4, v5, vcc
	s_branch .LBB56_44
.LBB56_61:
	s_endpgm
.LBB56_62:
                                        ; implicit-def: $sgpr22_sgpr23
	s_branch .LBB56_6
	.section	.rodata,"a",@progbits
	.p2align	6, 0x0
	.amdhsa_kernel _ZN4vllm38concat_and_cache_mla_rope_fused_kernelIfN3c104HalfELb1EfhLNS_18Fp8KVCacheDataTypeE1EEEvPKlPT_S7_PKS6_PKT0_illlliPT3_S5_iiiiPKf
		.amdhsa_group_segment_fixed_size 0
		.amdhsa_private_segment_fixed_size 0
		.amdhsa_kernarg_size 384
		.amdhsa_user_sgpr_count 6
		.amdhsa_user_sgpr_private_segment_buffer 1
		.amdhsa_user_sgpr_dispatch_ptr 0
		.amdhsa_user_sgpr_queue_ptr 0
		.amdhsa_user_sgpr_kernarg_segment_ptr 1
		.amdhsa_user_sgpr_dispatch_id 0
		.amdhsa_user_sgpr_flat_scratch_init 0
		.amdhsa_user_sgpr_kernarg_preload_length 0
		.amdhsa_user_sgpr_kernarg_preload_offset 0
		.amdhsa_user_sgpr_private_segment_size 0
		.amdhsa_uses_dynamic_stack 0
		.amdhsa_system_sgpr_private_segment_wavefront_offset 0
		.amdhsa_system_sgpr_workgroup_id_x 1
		.amdhsa_system_sgpr_workgroup_id_y 0
		.amdhsa_system_sgpr_workgroup_id_z 0
		.amdhsa_system_sgpr_workgroup_info 0
		.amdhsa_system_vgpr_workitem_id 0
		.amdhsa_next_free_vgpr 22
		.amdhsa_next_free_sgpr 62
		.amdhsa_accum_offset 24
		.amdhsa_reserve_vcc 1
		.amdhsa_reserve_flat_scratch 0
		.amdhsa_float_round_mode_32 0
		.amdhsa_float_round_mode_16_64 0
		.amdhsa_float_denorm_mode_32 3
		.amdhsa_float_denorm_mode_16_64 3
		.amdhsa_dx10_clamp 1
		.amdhsa_ieee_mode 1
		.amdhsa_fp16_overflow 0
		.amdhsa_tg_split 0
		.amdhsa_exception_fp_ieee_invalid_op 0
		.amdhsa_exception_fp_denorm_src 0
		.amdhsa_exception_fp_ieee_div_zero 0
		.amdhsa_exception_fp_ieee_overflow 0
		.amdhsa_exception_fp_ieee_underflow 0
		.amdhsa_exception_fp_ieee_inexact 0
		.amdhsa_exception_int_div_zero 0
	.end_amdhsa_kernel
	.section	.text._ZN4vllm38concat_and_cache_mla_rope_fused_kernelIfN3c104HalfELb1EfhLNS_18Fp8KVCacheDataTypeE1EEEvPKlPT_S7_PKS6_PKT0_illlliPT3_S5_iiiiPKf,"axG",@progbits,_ZN4vllm38concat_and_cache_mla_rope_fused_kernelIfN3c104HalfELb1EfhLNS_18Fp8KVCacheDataTypeE1EEEvPKlPT_S7_PKS6_PKT0_illlliPT3_S5_iiiiPKf,comdat
.Lfunc_end56:
	.size	_ZN4vllm38concat_and_cache_mla_rope_fused_kernelIfN3c104HalfELb1EfhLNS_18Fp8KVCacheDataTypeE1EEEvPKlPT_S7_PKS6_PKT0_illlliPT3_S5_iiiiPKf, .Lfunc_end56-_ZN4vllm38concat_and_cache_mla_rope_fused_kernelIfN3c104HalfELb1EfhLNS_18Fp8KVCacheDataTypeE1EEEvPKlPT_S7_PKS6_PKT0_illlliPT3_S5_iiiiPKf
                                        ; -- End function
	.section	.AMDGPU.csdata,"",@progbits
; Kernel info:
; codeLenInByte = 3688
; NumSgprs: 66
; NumVgprs: 22
; NumAgprs: 0
; TotalNumVgprs: 22
; ScratchSize: 0
; MemoryBound: 0
; FloatMode: 240
; IeeeMode: 1
; LDSByteSize: 0 bytes/workgroup (compile time only)
; SGPRBlocks: 8
; VGPRBlocks: 2
; NumSGPRsForWavesPerEU: 66
; NumVGPRsForWavesPerEU: 22
; AccumOffset: 24
; Occupancy: 8
; WaveLimiterHint : 1
; COMPUTE_PGM_RSRC2:SCRATCH_EN: 0
; COMPUTE_PGM_RSRC2:USER_SGPR: 6
; COMPUTE_PGM_RSRC2:TRAP_HANDLER: 0
; COMPUTE_PGM_RSRC2:TGID_X_EN: 1
; COMPUTE_PGM_RSRC2:TGID_Y_EN: 0
; COMPUTE_PGM_RSRC2:TGID_Z_EN: 0
; COMPUTE_PGM_RSRC2:TIDIG_COMP_CNT: 0
; COMPUTE_PGM_RSRC3_GFX90A:ACCUM_OFFSET: 5
; COMPUTE_PGM_RSRC3_GFX90A:TG_SPLIT: 0
	.section	.text._ZN4vllm38concat_and_cache_mla_rope_fused_kernelIfN3c104HalfELb0EfhLNS_18Fp8KVCacheDataTypeE1EEEvPKlPT_S7_PKS6_PKT0_illlliPT3_S5_iiiiPKf,"axG",@progbits,_ZN4vllm38concat_and_cache_mla_rope_fused_kernelIfN3c104HalfELb0EfhLNS_18Fp8KVCacheDataTypeE1EEEvPKlPT_S7_PKS6_PKT0_illlliPT3_S5_iiiiPKf,comdat
	.protected	_ZN4vllm38concat_and_cache_mla_rope_fused_kernelIfN3c104HalfELb0EfhLNS_18Fp8KVCacheDataTypeE1EEEvPKlPT_S7_PKS6_PKT0_illlliPT3_S5_iiiiPKf ; -- Begin function _ZN4vllm38concat_and_cache_mla_rope_fused_kernelIfN3c104HalfELb0EfhLNS_18Fp8KVCacheDataTypeE1EEEvPKlPT_S7_PKS6_PKT0_illlliPT3_S5_iiiiPKf
	.globl	_ZN4vllm38concat_and_cache_mla_rope_fused_kernelIfN3c104HalfELb0EfhLNS_18Fp8KVCacheDataTypeE1EEEvPKlPT_S7_PKS6_PKT0_illlliPT3_S5_iiiiPKf
	.p2align	8
	.type	_ZN4vllm38concat_and_cache_mla_rope_fused_kernelIfN3c104HalfELb0EfhLNS_18Fp8KVCacheDataTypeE1EEEvPKlPT_S7_PKS6_PKT0_illlliPT3_S5_iiiiPKf,@function
_ZN4vllm38concat_and_cache_mla_rope_fused_kernelIfN3c104HalfELb0EfhLNS_18Fp8KVCacheDataTypeE1EEEvPKlPT_S7_PKS6_PKT0_illlliPT3_S5_iiiiPKf: ; @_ZN4vllm38concat_and_cache_mla_rope_fused_kernelIfN3c104HalfELb0EfhLNS_18Fp8KVCacheDataTypeE1EEEvPKlPT_S7_PKS6_PKT0_illlliPT3_S5_iiiiPKf
; %bb.0:
	s_load_dwordx2 s[2:3], s[4:5], 0x60
	s_mov_b32 s7, 0
	s_lshl_b64 s[0:1], s[6:7], 3
	s_waitcnt lgkmcnt(0)
	s_add_u32 s2, s2, s0
	s_addc_u32 s3, s3, s1
	s_load_dwordx2 s[26:27], s[2:3], 0x0
	s_waitcnt lgkmcnt(0)
	v_cmp_lt_i64_e64 s[2:3], s[26:27], 0
	s_and_b64 vcc, exec, s[2:3]
	s_cbranch_vccnz .LBB57_61
; %bb.1:
	s_load_dword s7, s[4:5], 0x28
	s_load_dwordx2 s[2:3], s[4:5], 0x0
	s_load_dwordx4 s[16:19], s[4:5], 0x10
	v_lshlrev_b32_e32 v3, 1, v0
	s_waitcnt lgkmcnt(0)
	s_ashr_i32 s22, s7, 31
	s_add_u32 s0, s2, s0
	s_addc_u32 s1, s3, s1
	s_load_dwordx2 s[20:21], s[0:1], 0x0
	s_load_dwordx2 s[28:29], s[4:5], 0x20
	s_load_dwordx8 s[8:15], s[4:5], 0x30
	s_load_dwordx2 s[2:3], s[4:5], 0x58
	s_load_dword s23, s[4:5], 0x50
	s_waitcnt lgkmcnt(0)
	s_mul_i32 s0, s20, s22
	s_mul_hi_u32 s1, s20, s7
	s_mul_i32 s21, s21, s7
	s_add_i32 s0, s1, s0
	s_add_i32 s31, s0, s21
	s_lshr_b32 s0, s7, 31
	s_mul_i32 s30, s20, s7
	s_add_i32 s7, s7, s0
	s_ashr_i32 s20, s7, 1
	s_mul_i32 s7, s20, s23
	v_cmp_gt_i32_e32 vcc, s7, v0
	s_and_saveexec_b64 s[0:1], vcc
	s_cbranch_execz .LBB57_4
; %bb.2:
	s_lshl_b64 s[22:23], s[30:31], 1
	s_add_u32 s24, s28, s22
	s_addc_u32 s38, s29, s23
	s_load_dwordx2 s[22:23], s[4:5], 0x8
	s_load_dword s34, s[4:5], 0x8c
	s_mul_i32 s9, s6, s9
	s_mul_hi_u32 s25, s6, s8
	s_add_i32 s9, s25, s9
	s_mul_i32 s8, s6, s8
	s_ashr_i32 s21, s20, 31
	s_lshl_b64 s[8:9], s[8:9], 2
	s_waitcnt lgkmcnt(0)
	s_add_u32 s25, s22, s8
	s_addc_u32 s39, s23, s9
	s_abs_i32 s33, s20
	v_cvt_f32_u32_e32 v1, s33
	s_sub_i32 s8, 0, s33
	s_and_b32 s34, s34, 0xffff
	s_lshl_b64 s[22:23], s[20:21], 1
	v_rcp_iflag_f32_e32 v1, v1
	s_sub_i32 s35, 0, s20
	s_lshl_b32 s37, s34, 1
	v_mov_b32_e32 v5, s38
	v_mul_f32_e32 v1, 0x4f7ffffe, v1
	v_cvt_u32_f32_e32 v1, v1
	v_mov_b32_e32 v6, s23
	v_mov_b32_e32 v7, s39
	;; [unrolled: 1-line block ×3, first 2 shown]
	v_mul_lo_u32 v2, s8, v1
	v_mul_hi_u32 v2, v1, v2
	s_lshl_b32 s8, s20, 1
	v_add_u32_e32 v1, v1, v2
	s_sub_i32 s36, 0, s8
	s_mov_b64 s[8:9], 0
	v_mov_b32_e32 v2, v3
.LBB57_3:                               ; =>This Inner Loop Header: Depth=1
	v_sub_u32_e32 v9, 0, v4
	v_max_i32_e32 v9, v4, v9
	v_mul_hi_u32 v10, v9, v1
	v_mul_lo_u32 v11, v10, s33
	v_sub_u32_e32 v9, v9, v11
	v_add_u32_e32 v12, 1, v10
	v_cmp_le_u32_e32 vcc, s33, v9
	v_subrev_u32_e32 v11, s33, v9
	v_cndmask_b32_e32 v10, v10, v12, vcc
	v_cndmask_b32_e32 v9, v9, v11, vcc
	v_ashrrev_i32_e32 v8, 31, v4
	v_add_u32_e32 v11, 1, v10
	v_cmp_le_u32_e32 vcc, s33, v9
	v_xor_b32_e32 v8, s21, v8
	v_cndmask_b32_e32 v9, v10, v11, vcc
	v_xor_b32_e32 v9, v9, v8
	v_sub_u32_e32 v12, v9, v8
	v_mad_u64_u32 v[8:9], s[38:39], s35, v12, v[4:5]
	v_ashrrev_i32_e32 v9, 31, v8
	v_lshlrev_b64 v[8:9], 1, v[8:9]
	v_ashrrev_i32_e32 v14, 31, v12
	v_add_co_u32_e32 v8, vcc, s24, v8
	v_mul_lo_u32 v15, v12, s11
	v_mad_u64_u32 v[10:11], s[38:39], v12, s10, 0
	v_mul_lo_u32 v14, v14, s10
	v_addc_co_u32_e32 v9, vcc, v5, v9, vcc
	v_add3_u32 v11, v11, v15, v14
	v_add_co_u32_e32 v14, vcc, s22, v8
	v_mad_u64_u32 v[12:13], s[38:39], s36, v12, v[2:3]
	v_lshlrev_b64 v[10:11], 2, v[10:11]
	v_addc_co_u32_e32 v15, vcc, v9, v6, vcc
	v_ashrrev_i32_e32 v13, 31, v12
	v_add_co_u32_e32 v10, vcc, s25, v10
	global_load_ushort v16, v[8:9], off
	global_load_ushort v17, v[14:15], off
	v_lshlrev_b64 v[12:13], 2, v[12:13]
	v_addc_co_u32_e32 v11, vcc, v7, v11, vcc
	v_add_co_u32_e32 v8, vcc, v10, v12
	v_addc_co_u32_e32 v9, vcc, v11, v13, vcc
	global_load_dwordx2 v[10:11], v[8:9], off
	v_add_u32_e32 v4, s34, v4
	v_cmp_le_i32_e32 vcc, s7, v4
	v_add_u32_e32 v2, s37, v2
	s_or_b64 s[8:9], vcc, s[8:9]
	s_waitcnt vmcnt(2)
	v_cvt_f32_f16_e32 v12, v16
	s_waitcnt vmcnt(1)
	v_cvt_f32_f16_e32 v13, v17
	s_waitcnt vmcnt(0)
	v_mul_f32_e32 v12, v11, v12
	v_mul_f32_e32 v13, v11, v13
	v_fma_mix_f32 v11, v10, v17, v12 op_sel_hi:[0,1,0]
	v_fma_mix_f32 v10, v10, v16, -v13 op_sel_hi:[0,1,0]
	global_store_dwordx2 v[8:9], v[10:11], off
	s_andn2_b64 exec, exec, s[8:9]
	s_cbranch_execnz .LBB57_3
.LBB57_4:
	s_or_b64 exec, exec, s[0:1]
	s_load_dwordx4 s[8:11], s[4:5], 0x68
	s_waitcnt lgkmcnt(0)
	s_ashr_i32 s35, s11, 31
	s_mov_b32 s34, s11
	s_or_b64 s[0:1], s[26:27], s[34:35]
	s_mov_b32 s0, 0
	s_cmp_lg_u64 s[0:1], 0
	s_cbranch_scc0 .LBB57_62
; %bb.5:
	s_add_u32 s0, s34, s35
	s_mov_b32 s22, s35
	s_mov_b32 s23, s35
	s_addc_u32 s1, s35, s35
	s_xor_b64 s[36:37], s[0:1], s[22:23]
	v_cvt_f32_u32_e32 v1, s36
	v_cvt_f32_u32_e32 v2, s37
	s_sub_u32 s0, 0, s36
	s_subb_u32 s1, 0, s37
	v_madmk_f32 v1, v2, 0x4f800000, v1
	v_rcp_f32_e32 v1, v1
	v_mul_f32_e32 v1, 0x5f7ffffc, v1
	v_mul_f32_e32 v2, 0x2f800000, v1
	v_trunc_f32_e32 v2, v2
	v_madmk_f32 v1, v2, 0xcf800000, v1
	v_cvt_u32_f32_e32 v2, v2
	v_cvt_u32_f32_e32 v1, v1
	v_readfirstlane_b32 s7, v2
	v_readfirstlane_b32 s11, v1
	s_mul_i32 s21, s0, s7
	s_mul_hi_u32 s38, s0, s11
	s_mul_i32 s33, s1, s11
	s_add_i32 s21, s38, s21
	s_add_i32 s21, s21, s33
	s_mul_i32 s39, s0, s11
	s_mul_hi_u32 s33, s11, s21
	s_mul_i32 s38, s11, s21
	s_mul_hi_u32 s11, s11, s39
	s_add_u32 s11, s11, s38
	s_addc_u32 s33, 0, s33
	s_mul_hi_u32 s40, s7, s39
	s_mul_i32 s39, s7, s39
	s_add_u32 s11, s11, s39
	s_mul_hi_u32 s38, s7, s21
	s_addc_u32 s11, s33, s40
	s_addc_u32 s33, s38, 0
	s_mul_i32 s21, s7, s21
	s_add_u32 s11, s11, s21
	s_addc_u32 s21, 0, s33
	v_add_co_u32_e32 v1, vcc, s11, v1
	s_cmp_lg_u64 vcc, 0
	s_addc_u32 s7, s7, s21
	v_readfirstlane_b32 s21, v1
	s_mul_i32 s11, s0, s7
	s_mul_hi_u32 s33, s0, s21
	s_add_i32 s11, s33, s11
	s_mul_i32 s1, s1, s21
	s_add_i32 s11, s11, s1
	s_mul_i32 s0, s0, s21
	s_mul_hi_u32 s33, s7, s0
	s_mul_i32 s38, s7, s0
	s_mul_i32 s40, s21, s11
	s_mul_hi_u32 s0, s21, s0
	s_mul_hi_u32 s39, s21, s11
	s_add_u32 s0, s0, s40
	s_addc_u32 s21, 0, s39
	s_add_u32 s0, s0, s38
	s_mul_hi_u32 s1, s7, s11
	s_addc_u32 s0, s21, s33
	s_addc_u32 s1, s1, 0
	s_mul_i32 s11, s7, s11
	s_add_u32 s0, s0, s11
	s_addc_u32 s1, 0, s1
	v_add_co_u32_e32 v1, vcc, s0, v1
	s_cmp_lg_u64 vcc, 0
	s_addc_u32 s7, s7, s1
	s_ashr_i32 s38, s27, 31
	s_add_u32 s0, s26, s38
	s_mov_b32 s39, s38
	s_addc_u32 s1, s27, s38
	s_xor_b64 s[40:41], s[0:1], s[38:39]
	v_readfirstlane_b32 s11, v1
	s_mul_i32 s1, s40, s7
	s_mul_hi_u32 s21, s40, s11
	s_mul_hi_u32 s0, s40, s7
	s_add_u32 s1, s21, s1
	s_addc_u32 s0, 0, s0
	s_mul_hi_u32 s33, s41, s11
	s_mul_i32 s11, s41, s11
	s_add_u32 s1, s1, s11
	s_mul_hi_u32 s21, s41, s7
	s_addc_u32 s0, s0, s33
	s_addc_u32 s1, s21, 0
	s_mul_i32 s7, s41, s7
	s_add_u32 s7, s0, s7
	s_addc_u32 s11, 0, s1
	s_mul_i32 s0, s36, s11
	s_mul_hi_u32 s1, s36, s7
	s_add_i32 s0, s1, s0
	s_mul_i32 s1, s37, s7
	s_add_i32 s21, s0, s1
	s_mul_i32 s1, s36, s7
	v_mov_b32_e32 v1, s1
	s_sub_i32 s0, s41, s21
	v_sub_co_u32_e32 v1, vcc, s40, v1
	s_cmp_lg_u64 vcc, 0
	s_subb_u32 s33, s0, s37
	v_subrev_co_u32_e64 v2, s[0:1], s36, v1
	s_cmp_lg_u64 s[0:1], 0
	s_subb_u32 s0, s33, 0
	s_cmp_ge_u32 s0, s37
	v_readfirstlane_b32 s33, v2
	s_cselect_b32 s1, -1, 0
	s_cmp_ge_u32 s33, s36
	s_cselect_b32 s33, -1, 0
	s_cmp_eq_u32 s0, s37
	s_cselect_b32 s0, s33, s1
	s_add_u32 s1, s7, 1
	s_addc_u32 s33, s11, 0
	s_add_u32 s40, s7, 2
	s_addc_u32 s42, s11, 0
	s_cmp_lg_u32 s0, 0
	s_cselect_b32 s0, s40, s1
	s_cselect_b32 s1, s42, s33
	s_cmp_lg_u64 vcc, 0
	s_subb_u32 s21, s41, s21
	s_cmp_ge_u32 s21, s37
	v_readfirstlane_b32 s40, v1
	s_cselect_b32 s33, -1, 0
	s_cmp_ge_u32 s40, s36
	s_cselect_b32 s36, -1, 0
	s_cmp_eq_u32 s21, s37
	s_cselect_b32 s21, s36, s33
	s_cmp_lg_u32 s21, 0
	s_cselect_b32 s1, s1, s11
	s_cselect_b32 s0, s0, s7
	s_xor_b64 s[22:23], s[38:39], s[22:23]
	s_xor_b64 s[0:1], s[0:1], s[22:23]
	s_sub_u32 s22, s0, s22
	s_subb_u32 s23, s1, s23
	s_cbranch_execnz .LBB57_7
.LBB57_6:
	v_cvt_f32_u32_e32 v1, s34
	s_sub_i32 s0, 0, s34
	s_mov_b32 s23, 0
	v_rcp_iflag_f32_e32 v1, v1
	v_mul_f32_e32 v1, 0x4f7ffffe, v1
	v_cvt_u32_f32_e32 v1, v1
	v_readfirstlane_b32 s1, v1
	s_mul_i32 s0, s0, s1
	s_mul_hi_u32 s0, s1, s0
	s_add_i32 s1, s1, s0
	s_mul_hi_u32 s0, s26, s1
	s_mul_i32 s7, s0, s34
	s_sub_i32 s7, s26, s7
	s_add_i32 s1, s0, 1
	s_sub_i32 s11, s7, s34
	s_cmp_ge_u32 s7, s34
	s_cselect_b32 s0, s1, s0
	s_cselect_b32 s7, s11, s7
	s_add_i32 s1, s0, 1
	s_cmp_ge_u32 s7, s34
	s_cselect_b32 s22, s1, s0
.LBB57_7:
	s_mul_i32 s0, s22, s35
	s_mul_hi_u32 s1, s22, s34
	s_load_dwordx2 s[24:25], s[4:5], 0x78
	s_add_i32 s0, s1, s0
	s_mul_i32 s1, s23, s34
	s_add_i32 s0, s0, s1
	s_mul_i32 s1, s22, s34
	s_sub_u32 s7, s26, s1
	s_subb_u32 s11, s27, s0
	v_cmp_gt_i32_e32 vcc, s20, v0
	s_mul_hi_u32 s42, s22, s8
	s_mul_i32 s43, s23, s8
	s_mul_i32 s44, s22, s8
	s_mul_hi_u32 s33, s7, s9
	s_mul_i32 s11, s11, s9
	s_mul_i32 s23, s7, s9
	s_and_saveexec_b64 s[26:27], vcc
	s_cbranch_execz .LBB57_42
; %bb.8:
	s_ashr_i32 s0, s8, 31
	s_mul_i32 s0, s22, s0
	s_load_dword s1, s[4:5], 0x8c
	s_add_i32 s0, s42, s0
	s_add_i32 s34, s0, s43
	s_ashr_i32 s0, s9, 31
	s_mul_i32 s0, s7, s0
	s_add_i32 s0, s33, s0
	s_ashr_i32 s21, s20, 31
	s_add_i32 s35, s0, s11
	s_ashr_i32 s36, s10, 31
	s_waitcnt lgkmcnt(0)
	s_and_b32 s46, s1, 0xffff
	s_lshl_b64 s[0:1], s[30:31], 1
	s_add_u32 s0, s28, s0
	s_addc_u32 s1, s29, s1
	v_mov_b32_e32 v2, s1
	v_add_co_u32_e32 v1, vcc, s0, v3
	v_addc_co_u32_e32 v10, vcc, 0, v2, vcc
	s_lshl_b32 s48, s46, 1
	s_lshl_b64 s[0:1], s[20:21], 1
	v_add_co_u32_e32 v11, vcc, s0, v1
	s_add_u32 s0, s44, s23
	v_mov_b32_e32 v2, s1
	s_addc_u32 s1, s34, s35
	s_add_u32 s21, s2, s10
	s_addc_u32 s28, s3, s36
	s_add_u32 s0, s21, s0
	v_addc_co_u32_e32 v12, vcc, v10, v2, vcc
	s_addc_u32 s1, s28, s1
	v_mov_b32_e32 v2, s1
	v_add_co_u32_e32 v3, vcc, s0, v3
	s_mul_i32 s0, s13, s6
	s_mul_hi_u32 s1, s12, s6
	s_add_i32 s1, s1, s0
	s_mul_i32 s0, s12, s6
	v_addc_co_u32_e32 v2, vcc, 0, v2, vcc
	s_lshl_b64 s[0:1], s[0:1], 2
	v_add_co_u32_e32 v13, vcc, 1, v3
	s_add_u32 s0, s16, s0
	s_load_dword s45, s[24:25], 0x0
	v_addc_co_u32_e32 v14, vcc, 0, v2, vcc
	v_lshlrev_b32_e32 v2, 3, v0
	s_addc_u32 s1, s17, s1
	v_mov_b32_e32 v3, s1
	v_add_co_u32_e32 v2, vcc, s0, v2
	v_addc_co_u32_e32 v3, vcc, 0, v3, vcc
	v_add_co_u32_e32 v2, vcc, 4, v2
	s_mov_b32 s47, 0
	v_addc_co_u32_e32 v3, vcc, 0, v3, vcc
	s_lshl_b32 s21, s46, 3
	s_mov_b64 s[12:13], 0
	v_mov_b32_e32 v5, 0
	s_movk_i32 s49, 0x80
	s_mov_b64 s[16:17], 0x7f800000
	s_mov_b64 s[28:29], 0x43e00001
	s_movk_i32 s50, 0x7a
	s_mov_b64 s[30:31], 0xffffff
	s_movk_i32 s51, 0x7f
	v_mov_b32_e32 v15, 0xffffff82
	v_mov_b32_e32 v16, 0x78
	s_mov_b64 s[34:35], 0
	v_mov_b32_e32 v17, v0
	s_branch .LBB57_10
.LBB57_9:                               ;   in Loop: Header=BB57_10 Depth=1
	s_or_b64 exec, exec, s[0:1]
	v_add_u32_e32 v17, s46, v17
	s_add_u32 s34, s34, s48
	s_addc_u32 s35, s35, 0
	v_cmp_le_i32_e32 vcc, s20, v17
	v_mov_b32_e32 v4, s47
	s_or_b64 s[12:13], vcc, s[12:13]
	v_add_co_u32_e32 v2, vcc, s21, v2
	v_addc_co_u32_e32 v3, vcc, v3, v4, vcc
	global_store_byte v[8:9], v7, off
	s_andn2_b64 exec, exec, s[12:13]
	s_cbranch_execz .LBB57_42
.LBB57_10:                              ; =>This Inner Loop Header: Depth=1
	v_mov_b32_e32 v4, s35
	v_add_co_u32_e32 v6, vcc, s34, v1
	v_addc_co_u32_e32 v7, vcc, v10, v4, vcc
	v_add_co_u32_e32 v8, vcc, s34, v11
	v_addc_co_u32_e32 v9, vcc, v12, v4, vcc
	global_load_ushort v4, v[8:9], off
	global_load_ushort v20, v[6:7], off
	global_load_dwordx2 v[18:19], v[2:3], off offset:-4
	v_mov_b32_e32 v21, v5
	s_waitcnt vmcnt(2)
	v_cvt_f32_f16_e32 v6, v4
	s_waitcnt vmcnt(1)
	v_cvt_f32_f16_e32 v7, v20
	s_waitcnt vmcnt(0)
	v_mul_f32_e32 v6, v19, v6
	v_mul_f32_e32 v7, v19, v7
	v_fma_mix_f32 v6, v18, v20, -v6 op_sel_hi:[0,1,0]
	v_fma_mix_f32 v7, v18, v4, v7 op_sel_hi:[0,1,0]
	s_waitcnt lgkmcnt(0)
	v_div_scale_f32 v4, s[0:1], s45, s45, v6
	v_rcp_f32_e32 v8, v4
	v_div_scale_f32 v9, vcc, v6, s45, v6
	global_store_dwordx2 v[2:3], v[6:7], off offset:-4
	v_fma_f32 v18, -v4, v8, 1.0
	v_fmac_f32_e32 v8, v18, v8
	v_mul_f32_e32 v18, v9, v8
	v_fma_f32 v19, -v4, v18, v9
	v_fmac_f32_e32 v18, v19, v8
	v_fma_f32 v4, -v4, v18, v9
	v_div_fmas_f32 v4, v4, v8, v18
	v_div_fixup_f32 v8, v4, s45, v6
	v_and_b32_sdwa v6, v8, s49 dst_sel:DWORD dst_unused:UNUSED_PAD src0_sel:BYTE_3 src1_sel:DWORD
	v_and_b32_e32 v20, 0x7f800000, v8
	v_and_b32_e32 v4, 0x7fffff, v8
	v_or_b32_e32 v18, 0x7e, v6
	v_cmp_ne_u64_e32 vcc, s[16:17], v[20:21]
	s_and_saveexec_b64 s[0:1], vcc
	s_xor_b64 s[36:37], exec, s[0:1]
	s_cbranch_execz .LBB57_24
; %bb.11:                               ;   in Loop: Header=BB57_10 Depth=1
	v_and_b32_e32 v20, 0x7fffffff, v8
	v_mov_b32_e32 v21, v5
	v_cmp_gt_u64_e32 vcc, s[28:29], v[20:21]
	s_and_saveexec_b64 s[0:1], vcc
	s_xor_b64 s[38:39], exec, s[0:1]
	s_cbranch_execz .LBB57_23
; %bb.12:                               ;   in Loop: Header=BB57_10 Depth=1
	v_cmp_ne_u32_e32 vcc, 0, v8
	v_mov_b32_e32 v18, 0
	s_and_saveexec_b64 s[40:41], vcc
	s_cbranch_execz .LBB57_22
; %bb.13:                               ;   in Loop: Header=BB57_10 Depth=1
	v_bfe_u32 v8, v8, 23, 8
	v_sub_u32_e32 v18, 0x79, v8
	v_cmp_gt_u32_e32 vcc, s50, v8
	v_cndmask_b32_e32 v18, 0, v18, vcc
	v_cmp_eq_u32_e32 vcc, 0, v8
	v_cndmask_b32_e32 v18, v18, v16, vcc
	v_add_u32_e32 v9, 0xffffff81, v8
	v_or_b32_e32 v19, 0x800000, v4
	v_add_u32_e32 v8, 20, v18
	v_cndmask_b32_e32 v24, v9, v15, vcc
	v_cndmask_b32_e32 v4, v19, v4, vcc
	v_lshlrev_b64 v[8:9], v8, -1
	v_not_b32_e32 v8, v8
	v_lshrrev_b64 v[22:23], v18, v[4:5]
	v_not_b32_e32 v9, v9
	v_and_b32_e32 v8, v4, v8
	v_add_u32_e32 v19, 19, v18
	v_lshrrev_b32_e32 v4, 23, v22
	v_and_b32_e32 v9, 0, v9
	v_lshlrev_b64 v[20:21], v19, 1
	v_add3_u32 v19, v18, v24, v4
	v_bfe_u32 v4, v22, 20, 1
	v_add_u32_e32 v4, -1, v4
	v_cmp_eq_u64_e32 vcc, v[8:9], v[20:21]
	v_cndmask_b32_e32 v4, 0, v4, vcc
	v_add_u32_e32 v4, v4, v22
	v_and_b32_e32 v4, 0xfffff, v4
	v_add_co_u32_e32 v8, vcc, v4, v22
	v_add_u32_e32 v18, 6, v19
	v_addc_co_u32_e32 v9, vcc, 0, v23, vcc
	v_cmp_ne_u32_e32 vcc, 0, v18
                                        ; implicit-def: $vgpr4
	s_and_saveexec_b64 s[0:1], vcc
	s_xor_b64 s[0:1], exec, s[0:1]
; %bb.14:                               ;   in Loop: Header=BB57_10 Depth=1
	v_add_u32_e32 v4, 7, v19
	v_cmp_lt_u64_e32 vcc, s[30:31], v[8:9]
	v_cndmask_b32_e32 v4, v18, v4, vcc
	v_cndmask_b32_e64 v18, 0, 1, vcc
	v_lshrrev_b64 v[8:9], v18, v[8:9]
; %bb.15:                               ;   in Loop: Header=BB57_10 Depth=1
	s_andn2_saveexec_b64 s[0:1], s[0:1]
; %bb.16:                               ;   in Loop: Header=BB57_10 Depth=1
	v_bfe_u32 v4, v8, 23, 1
; %bb.17:                               ;   in Loop: Header=BB57_10 Depth=1
	s_or_b64 exec, exec, s[0:1]
	v_lshrrev_b64 v[8:9], 20, v[8:9]
	v_cmp_gt_i32_e32 vcc, 16, v4
	v_cndmask_b32_e32 v9, 0, v9, vcc
	v_cndmask_b32_e32 v8, 7, v8, vcc
	v_cmp_ne_u32_e32 vcc, 0, v4
	v_cmp_ne_u64_e64 s[0:1], 0, v[8:9]
	s_or_b64 s[0:1], vcc, s[0:1]
                                        ; implicit-def: $vgpr18
	s_and_saveexec_b64 s[52:53], s[0:1]
	s_xor_b64 s[0:1], exec, s[52:53]
; %bb.18:                               ;   in Loop: Header=BB57_10 Depth=1
	v_min_i32_e32 v4, 15, v4
	v_lshl_or_b32 v4, v4, 3, v6
	v_and_or_b32 v18, v8, 7, v4
                                        ; implicit-def: $vgpr6
; %bb.19:                               ;   in Loop: Header=BB57_10 Depth=1
	s_andn2_saveexec_b64 s[0:1], s[0:1]
; %bb.20:                               ;   in Loop: Header=BB57_10 Depth=1
	v_mov_b32_e32 v18, v6
; %bb.21:                               ;   in Loop: Header=BB57_10 Depth=1
	s_or_b64 exec, exec, s[0:1]
.LBB57_22:                              ;   in Loop: Header=BB57_10 Depth=1
	s_or_b64 exec, exec, s[40:41]
.LBB57_23:                              ;   in Loop: Header=BB57_10 Depth=1
	s_andn2_saveexec_b64 s[0:1], s[38:39]
	s_or_b64 exec, exec, s[0:1]
                                        ; implicit-def: $vgpr8
.LBB57_24:                              ;   in Loop: Header=BB57_10 Depth=1
	s_andn2_saveexec_b64 s[0:1], s[36:37]
; %bb.25:                               ;   in Loop: Header=BB57_10 Depth=1
	v_or_b32_sdwa v6, v8, s51 dst_sel:DWORD dst_unused:UNUSED_PAD src0_sel:BYTE_3 src1_sel:DWORD
	v_cmp_eq_u64_e32 vcc, 0, v[4:5]
	v_cndmask_b32_e32 v18, v6, v18, vcc
; %bb.26:                               ;   in Loop: Header=BB57_10 Depth=1
	s_or_b64 exec, exec, s[0:1]
	v_div_scale_f32 v6, s[0:1], s45, s45, v7
	v_rcp_f32_e32 v19, v6
	v_mov_b32_e32 v4, s35
	v_add_co_u32_e32 v8, vcc, s34, v13
	v_addc_co_u32_e32 v9, vcc, v14, v4, vcc
	v_fma_f32 v4, -v6, v19, 1.0
	v_fmac_f32_e32 v19, v4, v19
	v_div_scale_f32 v4, vcc, v7, s45, v7
	global_store_byte v[8:9], v18, off offset:-1
	v_mul_f32_e32 v18, v4, v19
	v_fma_f32 v20, -v6, v18, v4
	v_fmac_f32_e32 v18, v20, v19
	v_fma_f32 v4, -v6, v18, v4
	v_div_fmas_f32 v4, v4, v19, v18
	v_div_fixup_f32 v6, v4, s45, v7
	v_and_b32_sdwa v18, v6, s49 dst_sel:DWORD dst_unused:UNUSED_PAD src0_sel:BYTE_3 src1_sel:DWORD
	v_and_b32_e32 v20, 0x7f800000, v6
	v_mov_b32_e32 v21, v5
	v_and_b32_e32 v4, 0x7fffff, v6
	v_or_b32_e32 v7, 0x7e, v18
	v_cmp_ne_u64_e32 vcc, s[16:17], v[20:21]
	s_and_saveexec_b64 s[0:1], vcc
	s_xor_b64 s[36:37], exec, s[0:1]
	s_cbranch_execz .LBB57_40
; %bb.27:                               ;   in Loop: Header=BB57_10 Depth=1
	v_and_b32_e32 v20, 0x7fffffff, v6
	v_mov_b32_e32 v21, v5
	v_cmp_gt_u64_e32 vcc, s[28:29], v[20:21]
	s_and_saveexec_b64 s[0:1], vcc
	s_xor_b64 s[38:39], exec, s[0:1]
	s_cbranch_execz .LBB57_39
; %bb.28:                               ;   in Loop: Header=BB57_10 Depth=1
	v_cmp_ne_u32_e32 vcc, 0, v6
	v_mov_b32_e32 v7, 0
	s_and_saveexec_b64 s[40:41], vcc
	s_cbranch_execz .LBB57_38
; %bb.29:                               ;   in Loop: Header=BB57_10 Depth=1
	v_bfe_u32 v6, v6, 23, 8
	v_sub_u32_e32 v19, 0x79, v6
	v_cmp_gt_u32_e32 vcc, s50, v6
	v_cndmask_b32_e32 v19, 0, v19, vcc
	v_cmp_eq_u32_e32 vcc, 0, v6
	v_cndmask_b32_e32 v19, v19, v16, vcc
	v_add_u32_e32 v7, 0xffffff81, v6
	v_or_b32_e32 v20, 0x800000, v4
	v_add_u32_e32 v6, 20, v19
	v_cndmask_b32_e32 v21, v7, v15, vcc
	v_cndmask_b32_e32 v4, v20, v4, vcc
	v_lshlrev_b64 v[6:7], v6, -1
	v_not_b32_e32 v6, v6
	v_lshrrev_b64 v[24:25], v19, v[4:5]
	v_not_b32_e32 v7, v7
	v_and_b32_e32 v6, v4, v6
	v_add_u32_e32 v20, 19, v19
	v_lshrrev_b32_e32 v4, 23, v24
	v_and_b32_e32 v7, 0, v7
	v_lshlrev_b64 v[22:23], v20, 1
	v_add3_u32 v20, v19, v21, v4
	v_bfe_u32 v4, v24, 20, 1
	v_add_u32_e32 v4, -1, v4
	v_cmp_eq_u64_e32 vcc, v[6:7], v[22:23]
	v_cndmask_b32_e32 v4, 0, v4, vcc
	v_add_u32_e32 v4, v4, v24
	v_and_b32_e32 v4, 0xfffff, v4
	v_add_co_u32_e32 v6, vcc, v4, v24
	v_add_u32_e32 v19, 6, v20
	v_addc_co_u32_e32 v7, vcc, 0, v25, vcc
	v_cmp_ne_u32_e32 vcc, 0, v19
                                        ; implicit-def: $vgpr4
	s_and_saveexec_b64 s[0:1], vcc
	s_xor_b64 s[0:1], exec, s[0:1]
; %bb.30:                               ;   in Loop: Header=BB57_10 Depth=1
	v_add_u32_e32 v4, 7, v20
	v_cmp_lt_u64_e32 vcc, s[30:31], v[6:7]
	v_cndmask_b32_e32 v4, v19, v4, vcc
	v_cndmask_b32_e64 v19, 0, 1, vcc
	v_lshrrev_b64 v[6:7], v19, v[6:7]
; %bb.31:                               ;   in Loop: Header=BB57_10 Depth=1
	s_andn2_saveexec_b64 s[0:1], s[0:1]
; %bb.32:                               ;   in Loop: Header=BB57_10 Depth=1
	v_bfe_u32 v4, v6, 23, 1
; %bb.33:                               ;   in Loop: Header=BB57_10 Depth=1
	s_or_b64 exec, exec, s[0:1]
	v_lshrrev_b64 v[6:7], 20, v[6:7]
	v_cmp_gt_i32_e32 vcc, 16, v4
	v_cndmask_b32_e32 v7, 0, v7, vcc
	v_cndmask_b32_e32 v6, 7, v6, vcc
	v_cmp_ne_u32_e32 vcc, 0, v4
	v_cmp_ne_u64_e64 s[0:1], 0, v[6:7]
	s_or_b64 s[0:1], vcc, s[0:1]
                                        ; implicit-def: $vgpr7
	s_and_saveexec_b64 s[52:53], s[0:1]
	s_xor_b64 s[0:1], exec, s[52:53]
; %bb.34:                               ;   in Loop: Header=BB57_10 Depth=1
	v_min_i32_e32 v4, 15, v4
	v_lshl_or_b32 v4, v4, 3, v18
	v_and_or_b32 v7, v6, 7, v4
                                        ; implicit-def: $vgpr18
; %bb.35:                               ;   in Loop: Header=BB57_10 Depth=1
	s_andn2_saveexec_b64 s[0:1], s[0:1]
; %bb.36:                               ;   in Loop: Header=BB57_10 Depth=1
	v_mov_b32_e32 v7, v18
; %bb.37:                               ;   in Loop: Header=BB57_10 Depth=1
	s_or_b64 exec, exec, s[0:1]
.LBB57_38:                              ;   in Loop: Header=BB57_10 Depth=1
	s_or_b64 exec, exec, s[40:41]
.LBB57_39:                              ;   in Loop: Header=BB57_10 Depth=1
	s_andn2_saveexec_b64 s[0:1], s[38:39]
	s_or_b64 exec, exec, s[0:1]
                                        ; implicit-def: $vgpr6
.LBB57_40:                              ;   in Loop: Header=BB57_10 Depth=1
	s_andn2_saveexec_b64 s[0:1], s[36:37]
	s_cbranch_execz .LBB57_9
; %bb.41:                               ;   in Loop: Header=BB57_10 Depth=1
	v_or_b32_sdwa v6, v6, s51 dst_sel:DWORD dst_unused:UNUSED_PAD src0_sel:BYTE_3 src1_sel:DWORD
	v_cmp_eq_u64_e32 vcc, 0, v[4:5]
	v_cndmask_b32_e32 v7, v6, v7, vcc
	s_branch .LBB57_9
.LBB57_42:
	s_or_b64 exec, exec, s[26:27]
	v_cmp_gt_i32_e32 vcc, s10, v0
	s_and_saveexec_b64 s[0:1], vcc
	s_cbranch_execz .LBB57_61
; %bb.43:
	s_mul_i32 s0, s6, s15
	s_mul_hi_u32 s1, s6, s14
	s_add_i32 s1, s1, s0
	s_mul_i32 s0, s6, s14
	s_lshl_b64 s[0:1], s[0:1], 2
	s_add_u32 s18, s18, s0
	s_addc_u32 s0, s19, s1
	s_ashr_i32 s1, s8, 31
	s_mul_i32 s1, s22, s1
	s_add_i32 s1, s42, s1
	s_add_i32 s1, s1, s43
	s_add_u32 s2, s2, s44
	s_addc_u32 s1, s3, s1
	s_ashr_i32 s3, s9, 31
	s_load_dword s4, s[4:5], 0x8c
	s_mul_i32 s7, s7, s3
	s_waitcnt lgkmcnt(0)
	s_load_dword s20, s[24:25], 0x0
	s_add_i32 s3, s33, s7
	s_add_i32 s3, s3, s11
	s_add_u32 s11, s2, s23
	s_addc_u32 s19, s1, s3
	s_and_b32 s21, s4, 0xffff
	s_mov_b64 s[2:3], 0
	v_mov_b32_e32 v6, s0
	v_mov_b32_e32 v3, 0
	s_movk_i32 s22, 0x80
	s_mov_b64 s[4:5], 0x7f800000
	s_mov_b64 s[6:7], 0x43e00001
	s_movk_i32 s23, 0x7a
	s_mov_b64 s[8:9], 0xffffff
	s_movk_i32 s24, 0x7f
	v_mov_b32_e32 v7, 0xffffff82
	v_mov_b32_e32 v8, 0x78
	s_branch .LBB57_45
.LBB57_44:                              ;   in Loop: Header=BB57_45 Depth=1
	s_or_b64 exec, exec, s[0:1]
	v_mov_b32_e32 v2, s19
	v_add_co_u32_e32 v10, vcc, s11, v0
	v_addc_co_u32_e32 v11, vcc, v2, v1, vcc
	v_add_u32_e32 v0, s21, v0
	v_cmp_le_i32_e32 vcc, s10, v0
	s_or_b64 s[2:3], vcc, s[2:3]
	global_store_byte v[10:11], v5, off
	s_andn2_b64 exec, exec, s[2:3]
	s_cbranch_execz .LBB57_61
.LBB57_45:                              ; =>This Inner Loop Header: Depth=1
	v_ashrrev_i32_e32 v1, 31, v0
	v_lshlrev_b64 v[4:5], 2, v[0:1]
	v_add_co_u32_e32 v4, vcc, s18, v4
	v_addc_co_u32_e32 v5, vcc, v6, v5, vcc
	global_load_dword v2, v[4:5], off
	v_mov_b32_e32 v11, v3
	s_waitcnt vmcnt(0) lgkmcnt(0)
	v_div_scale_f32 v4, s[0:1], s20, s20, v2
	v_rcp_f32_e32 v5, v4
	v_div_scale_f32 v9, vcc, v2, s20, v2
	v_fma_f32 v10, -v4, v5, 1.0
	v_fmac_f32_e32 v5, v10, v5
	v_mul_f32_e32 v10, v9, v5
	v_fma_f32 v12, -v4, v10, v9
	v_fmac_f32_e32 v10, v12, v5
	v_fma_f32 v4, -v4, v10, v9
	v_div_fmas_f32 v4, v4, v5, v10
	v_div_fixup_f32 v4, v4, s20, v2
	v_and_b32_sdwa v9, v4, s22 dst_sel:DWORD dst_unused:UNUSED_PAD src0_sel:BYTE_3 src1_sel:DWORD
	v_and_b32_e32 v10, 0x7f800000, v4
	v_and_b32_e32 v2, 0x7fffff, v4
	v_or_b32_e32 v5, 0x7e, v9
	v_cmp_ne_u64_e32 vcc, s[4:5], v[10:11]
	s_and_saveexec_b64 s[0:1], vcc
	s_xor_b64 s[12:13], exec, s[0:1]
	s_cbranch_execz .LBB57_59
; %bb.46:                               ;   in Loop: Header=BB57_45 Depth=1
	v_and_b32_e32 v10, 0x7fffffff, v4
	v_mov_b32_e32 v11, v3
	v_cmp_gt_u64_e32 vcc, s[6:7], v[10:11]
	s_and_saveexec_b64 s[0:1], vcc
	s_xor_b64 s[14:15], exec, s[0:1]
	s_cbranch_execz .LBB57_58
; %bb.47:                               ;   in Loop: Header=BB57_45 Depth=1
	v_cmp_ne_u32_e32 vcc, 0, v4
	v_mov_b32_e32 v5, 0
	s_and_saveexec_b64 s[16:17], vcc
	s_cbranch_execz .LBB57_57
; %bb.48:                               ;   in Loop: Header=BB57_45 Depth=1
	v_bfe_u32 v4, v4, 23, 8
	v_sub_u32_e32 v10, 0x79, v4
	v_cmp_gt_u32_e32 vcc, s23, v4
	v_cndmask_b32_e32 v10, 0, v10, vcc
	v_cmp_eq_u32_e32 vcc, 0, v4
	v_cndmask_b32_e32 v10, v10, v8, vcc
	v_add_u32_e32 v5, 0xffffff81, v4
	v_or_b32_e32 v11, 0x800000, v2
	v_add_u32_e32 v4, 20, v10
	v_cndmask_b32_e32 v16, v5, v7, vcc
	v_cndmask_b32_e32 v2, v11, v2, vcc
	v_lshlrev_b64 v[4:5], v4, -1
	v_not_b32_e32 v4, v4
	v_lshrrev_b64 v[14:15], v10, v[2:3]
	v_not_b32_e32 v5, v5
	v_and_b32_e32 v4, v2, v4
	v_add_u32_e32 v11, 19, v10
	v_lshrrev_b32_e32 v2, 23, v14
	v_and_b32_e32 v5, 0, v5
	v_lshlrev_b64 v[12:13], v11, 1
	v_add3_u32 v11, v10, v16, v2
	v_bfe_u32 v2, v14, 20, 1
	v_add_u32_e32 v2, -1, v2
	v_cmp_eq_u64_e32 vcc, v[4:5], v[12:13]
	v_cndmask_b32_e32 v2, 0, v2, vcc
	v_add_u32_e32 v2, v2, v14
	v_and_b32_e32 v2, 0xfffff, v2
	v_add_co_u32_e32 v4, vcc, v2, v14
	v_add_u32_e32 v10, 6, v11
	v_addc_co_u32_e32 v5, vcc, 0, v15, vcc
	v_cmp_ne_u32_e32 vcc, 0, v10
                                        ; implicit-def: $vgpr2
	s_and_saveexec_b64 s[0:1], vcc
	s_xor_b64 s[0:1], exec, s[0:1]
; %bb.49:                               ;   in Loop: Header=BB57_45 Depth=1
	v_add_u32_e32 v2, 7, v11
	v_cmp_lt_u64_e32 vcc, s[8:9], v[4:5]
	v_cndmask_b32_e32 v2, v10, v2, vcc
	v_cndmask_b32_e64 v10, 0, 1, vcc
	v_lshrrev_b64 v[4:5], v10, v[4:5]
; %bb.50:                               ;   in Loop: Header=BB57_45 Depth=1
	s_andn2_saveexec_b64 s[0:1], s[0:1]
; %bb.51:                               ;   in Loop: Header=BB57_45 Depth=1
	v_bfe_u32 v2, v4, 23, 1
; %bb.52:                               ;   in Loop: Header=BB57_45 Depth=1
	s_or_b64 exec, exec, s[0:1]
	v_lshrrev_b64 v[4:5], 20, v[4:5]
	v_cmp_gt_i32_e32 vcc, 16, v2
	v_cndmask_b32_e32 v5, 0, v5, vcc
	v_cndmask_b32_e32 v4, 7, v4, vcc
	v_cmp_ne_u32_e32 vcc, 0, v2
	v_cmp_ne_u64_e64 s[0:1], 0, v[4:5]
	s_or_b64 s[0:1], vcc, s[0:1]
                                        ; implicit-def: $vgpr5
	s_and_saveexec_b64 s[26:27], s[0:1]
	s_xor_b64 s[0:1], exec, s[26:27]
; %bb.53:                               ;   in Loop: Header=BB57_45 Depth=1
	v_min_i32_e32 v2, 15, v2
	v_lshl_or_b32 v2, v2, 3, v9
	v_and_or_b32 v5, v4, 7, v2
                                        ; implicit-def: $vgpr9
; %bb.54:                               ;   in Loop: Header=BB57_45 Depth=1
	s_andn2_saveexec_b64 s[0:1], s[0:1]
; %bb.55:                               ;   in Loop: Header=BB57_45 Depth=1
	v_mov_b32_e32 v5, v9
; %bb.56:                               ;   in Loop: Header=BB57_45 Depth=1
	s_or_b64 exec, exec, s[0:1]
.LBB57_57:                              ;   in Loop: Header=BB57_45 Depth=1
	s_or_b64 exec, exec, s[16:17]
.LBB57_58:                              ;   in Loop: Header=BB57_45 Depth=1
	s_andn2_saveexec_b64 s[0:1], s[14:15]
	s_or_b64 exec, exec, s[0:1]
                                        ; implicit-def: $vgpr4
.LBB57_59:                              ;   in Loop: Header=BB57_45 Depth=1
	s_andn2_saveexec_b64 s[0:1], s[12:13]
	s_cbranch_execz .LBB57_44
; %bb.60:                               ;   in Loop: Header=BB57_45 Depth=1
	v_or_b32_sdwa v4, v4, s24 dst_sel:DWORD dst_unused:UNUSED_PAD src0_sel:BYTE_3 src1_sel:DWORD
	v_cmp_eq_u64_e32 vcc, 0, v[2:3]
	v_cndmask_b32_e32 v5, v4, v5, vcc
	s_branch .LBB57_44
.LBB57_61:
	s_endpgm
.LBB57_62:
                                        ; implicit-def: $sgpr22_sgpr23
	s_branch .LBB57_6
	.section	.rodata,"a",@progbits
	.p2align	6, 0x0
	.amdhsa_kernel _ZN4vllm38concat_and_cache_mla_rope_fused_kernelIfN3c104HalfELb0EfhLNS_18Fp8KVCacheDataTypeE1EEEvPKlPT_S7_PKS6_PKT0_illlliPT3_S5_iiiiPKf
		.amdhsa_group_segment_fixed_size 0
		.amdhsa_private_segment_fixed_size 0
		.amdhsa_kernarg_size 384
		.amdhsa_user_sgpr_count 6
		.amdhsa_user_sgpr_private_segment_buffer 1
		.amdhsa_user_sgpr_dispatch_ptr 0
		.amdhsa_user_sgpr_queue_ptr 0
		.amdhsa_user_sgpr_kernarg_segment_ptr 1
		.amdhsa_user_sgpr_dispatch_id 0
		.amdhsa_user_sgpr_flat_scratch_init 0
		.amdhsa_user_sgpr_kernarg_preload_length 0
		.amdhsa_user_sgpr_kernarg_preload_offset 0
		.amdhsa_user_sgpr_private_segment_size 0
		.amdhsa_uses_dynamic_stack 0
		.amdhsa_system_sgpr_private_segment_wavefront_offset 0
		.amdhsa_system_sgpr_workgroup_id_x 1
		.amdhsa_system_sgpr_workgroup_id_y 0
		.amdhsa_system_sgpr_workgroup_id_z 0
		.amdhsa_system_sgpr_workgroup_info 0
		.amdhsa_system_vgpr_workitem_id 0
		.amdhsa_next_free_vgpr 26
		.amdhsa_next_free_sgpr 54
		.amdhsa_accum_offset 28
		.amdhsa_reserve_vcc 1
		.amdhsa_reserve_flat_scratch 0
		.amdhsa_float_round_mode_32 0
		.amdhsa_float_round_mode_16_64 0
		.amdhsa_float_denorm_mode_32 3
		.amdhsa_float_denorm_mode_16_64 3
		.amdhsa_dx10_clamp 1
		.amdhsa_ieee_mode 1
		.amdhsa_fp16_overflow 0
		.amdhsa_tg_split 0
		.amdhsa_exception_fp_ieee_invalid_op 0
		.amdhsa_exception_fp_denorm_src 0
		.amdhsa_exception_fp_ieee_div_zero 0
		.amdhsa_exception_fp_ieee_overflow 0
		.amdhsa_exception_fp_ieee_underflow 0
		.amdhsa_exception_fp_ieee_inexact 0
		.amdhsa_exception_int_div_zero 0
	.end_amdhsa_kernel
	.section	.text._ZN4vllm38concat_and_cache_mla_rope_fused_kernelIfN3c104HalfELb0EfhLNS_18Fp8KVCacheDataTypeE1EEEvPKlPT_S7_PKS6_PKT0_illlliPT3_S5_iiiiPKf,"axG",@progbits,_ZN4vllm38concat_and_cache_mla_rope_fused_kernelIfN3c104HalfELb0EfhLNS_18Fp8KVCacheDataTypeE1EEEvPKlPT_S7_PKS6_PKT0_illlliPT3_S5_iiiiPKf,comdat
.Lfunc_end57:
	.size	_ZN4vllm38concat_and_cache_mla_rope_fused_kernelIfN3c104HalfELb0EfhLNS_18Fp8KVCacheDataTypeE1EEEvPKlPT_S7_PKS6_PKT0_illlliPT3_S5_iiiiPKf, .Lfunc_end57-_ZN4vllm38concat_and_cache_mla_rope_fused_kernelIfN3c104HalfELb0EfhLNS_18Fp8KVCacheDataTypeE1EEEvPKlPT_S7_PKS6_PKT0_illlliPT3_S5_iiiiPKf
                                        ; -- End function
	.section	.AMDGPU.csdata,"",@progbits
; Kernel info:
; codeLenInByte = 3636
; NumSgprs: 58
; NumVgprs: 26
; NumAgprs: 0
; TotalNumVgprs: 26
; ScratchSize: 0
; MemoryBound: 0
; FloatMode: 240
; IeeeMode: 1
; LDSByteSize: 0 bytes/workgroup (compile time only)
; SGPRBlocks: 7
; VGPRBlocks: 3
; NumSGPRsForWavesPerEU: 58
; NumVGPRsForWavesPerEU: 26
; AccumOffset: 28
; Occupancy: 8
; WaveLimiterHint : 1
; COMPUTE_PGM_RSRC2:SCRATCH_EN: 0
; COMPUTE_PGM_RSRC2:USER_SGPR: 6
; COMPUTE_PGM_RSRC2:TRAP_HANDLER: 0
; COMPUTE_PGM_RSRC2:TGID_X_EN: 1
; COMPUTE_PGM_RSRC2:TGID_Y_EN: 0
; COMPUTE_PGM_RSRC2:TGID_Z_EN: 0
; COMPUTE_PGM_RSRC2:TIDIG_COMP_CNT: 0
; COMPUTE_PGM_RSRC3_GFX90A:ACCUM_OFFSET: 6
; COMPUTE_PGM_RSRC3_GFX90A:TG_SPLIT: 0
	.section	.text._ZN4vllm38concat_and_cache_mla_rope_fused_kernelIfN3c108BFloat16ELb1EfhLNS_18Fp8KVCacheDataTypeE1EEEvPKlPT_S7_PKS6_PKT0_illlliPT3_S5_iiiiPKf,"axG",@progbits,_ZN4vllm38concat_and_cache_mla_rope_fused_kernelIfN3c108BFloat16ELb1EfhLNS_18Fp8KVCacheDataTypeE1EEEvPKlPT_S7_PKS6_PKT0_illlliPT3_S5_iiiiPKf,comdat
	.protected	_ZN4vllm38concat_and_cache_mla_rope_fused_kernelIfN3c108BFloat16ELb1EfhLNS_18Fp8KVCacheDataTypeE1EEEvPKlPT_S7_PKS6_PKT0_illlliPT3_S5_iiiiPKf ; -- Begin function _ZN4vllm38concat_and_cache_mla_rope_fused_kernelIfN3c108BFloat16ELb1EfhLNS_18Fp8KVCacheDataTypeE1EEEvPKlPT_S7_PKS6_PKT0_illlliPT3_S5_iiiiPKf
	.globl	_ZN4vllm38concat_and_cache_mla_rope_fused_kernelIfN3c108BFloat16ELb1EfhLNS_18Fp8KVCacheDataTypeE1EEEvPKlPT_S7_PKS6_PKT0_illlliPT3_S5_iiiiPKf
	.p2align	8
	.type	_ZN4vllm38concat_and_cache_mla_rope_fused_kernelIfN3c108BFloat16ELb1EfhLNS_18Fp8KVCacheDataTypeE1EEEvPKlPT_S7_PKS6_PKT0_illlliPT3_S5_iiiiPKf,@function
_ZN4vllm38concat_and_cache_mla_rope_fused_kernelIfN3c108BFloat16ELb1EfhLNS_18Fp8KVCacheDataTypeE1EEEvPKlPT_S7_PKS6_PKT0_illlliPT3_S5_iiiiPKf: ; @_ZN4vllm38concat_and_cache_mla_rope_fused_kernelIfN3c108BFloat16ELb1EfhLNS_18Fp8KVCacheDataTypeE1EEEvPKlPT_S7_PKS6_PKT0_illlliPT3_S5_iiiiPKf
; %bb.0:
	s_load_dwordx2 s[2:3], s[4:5], 0x60
	s_mov_b32 s7, 0
	s_lshl_b64 s[0:1], s[6:7], 3
	s_waitcnt lgkmcnt(0)
	s_add_u32 s2, s2, s0
	s_addc_u32 s3, s3, s1
	s_load_dwordx2 s[26:27], s[2:3], 0x0
	s_waitcnt lgkmcnt(0)
	v_cmp_lt_i64_e64 s[2:3], s[26:27], 0
	s_and_b64 vcc, exec, s[2:3]
	s_cbranch_vccnz .LBB58_61
; %bb.1:
	s_load_dword s7, s[4:5], 0x28
	s_load_dwordx2 s[2:3], s[4:5], 0x0
	s_load_dwordx4 s[16:19], s[4:5], 0x10
	s_waitcnt lgkmcnt(0)
	s_ashr_i32 s22, s7, 31
	s_add_u32 s0, s2, s0
	s_addc_u32 s1, s3, s1
	s_load_dwordx2 s[20:21], s[0:1], 0x0
	s_load_dwordx2 s[28:29], s[4:5], 0x20
	s_load_dwordx8 s[8:15], s[4:5], 0x30
	s_load_dwordx2 s[2:3], s[4:5], 0x58
	s_load_dword s23, s[4:5], 0x50
	s_waitcnt lgkmcnt(0)
	s_mul_i32 s0, s20, s22
	s_mul_hi_u32 s1, s20, s7
	s_mul_i32 s21, s21, s7
	s_add_i32 s0, s1, s0
	s_add_i32 s31, s0, s21
	s_lshr_b32 s0, s7, 31
	s_mul_i32 s30, s20, s7
	s_add_i32 s7, s7, s0
	s_ashr_i32 s20, s7, 1
	s_mul_i32 s7, s20, s23
	v_cmp_gt_i32_e32 vcc, s7, v0
	s_and_saveexec_b64 s[0:1], vcc
	s_cbranch_execz .LBB58_4
; %bb.2:
	s_lshl_b64 s[22:23], s[30:31], 1
	s_add_u32 s33, s28, s22
	s_addc_u32 s24, s29, s23
	s_load_dwordx2 s[22:23], s[4:5], 0x8
	s_mul_i32 s9, s6, s9
	s_mul_hi_u32 s25, s6, s8
	s_add_i32 s9, s25, s9
	s_load_dword s25, s[4:5], 0x8c
	s_mul_i32 s8, s6, s8
	s_ashr_i32 s21, s20, 31
	s_lshl_b64 s[8:9], s[8:9], 2
	s_waitcnt lgkmcnt(0)
	s_add_u32 s34, s22, s8
	s_addc_u32 s38, s23, s9
	s_abs_i32 s35, s20
	v_cvt_f32_u32_e32 v1, s35
	s_sub_i32 s8, 0, s35
	s_and_b32 s36, s25, 0xffff
	v_mov_b32_e32 v3, s24
	v_rcp_iflag_f32_e32 v1, v1
	s_lshl_b64 s[22:23], s[20:21], 1
	s_lshl_b64 s[24:25], s[20:21], 2
	s_sub_i32 s37, 0, s20
	v_mul_f32_e32 v1, 0x4f7ffffe, v1
	v_cvt_u32_f32_e32 v1, v1
	v_mov_b32_e32 v4, s23
	v_mov_b32_e32 v5, s38
	;; [unrolled: 1-line block ×3, first 2 shown]
	v_mul_lo_u32 v2, s8, v1
	v_mul_hi_u32 v2, v1, v2
	v_add_u32_e32 v1, v1, v2
	s_mov_b64 s[8:9], 0
	v_mov_b32_e32 v2, v0
.LBB58_3:                               ; =>This Inner Loop Header: Depth=1
	v_sub_u32_e32 v8, 0, v2
	v_max_i32_e32 v8, v2, v8
	v_mul_hi_u32 v9, v8, v1
	v_mul_lo_u32 v10, v9, s35
	v_sub_u32_e32 v8, v8, v10
	v_add_u32_e32 v11, 1, v9
	v_cmp_le_u32_e32 vcc, s35, v8
	v_subrev_u32_e32 v10, s35, v8
	v_cndmask_b32_e32 v9, v9, v11, vcc
	v_cndmask_b32_e32 v8, v8, v10, vcc
	v_ashrrev_i32_e32 v7, 31, v2
	v_add_u32_e32 v10, 1, v9
	v_cmp_le_u32_e32 vcc, s35, v8
	v_xor_b32_e32 v7, s21, v7
	v_cndmask_b32_e32 v8, v9, v10, vcc
	v_xor_b32_e32 v8, v8, v7
	v_sub_u32_e32 v7, v8, v7
	v_mad_u64_u32 v[8:9], s[38:39], s37, v7, v[2:3]
	v_ashrrev_i32_e32 v12, 31, v7
	v_ashrrev_i32_e32 v9, 31, v8
	v_mul_lo_u32 v14, v7, s11
	v_mad_u64_u32 v[10:11], s[38:39], v7, s10, 0
	v_mul_lo_u32 v7, v12, s10
	v_lshlrev_b64 v[12:13], 1, v[8:9]
	v_add_co_u32_e32 v12, vcc, s33, v12
	v_addc_co_u32_e32 v13, vcc, v3, v13, vcc
	v_add3_u32 v11, v11, v14, v7
	v_add_co_u32_e32 v14, vcc, s22, v12
	v_lshlrev_b64 v[10:11], 2, v[10:11]
	v_addc_co_u32_e32 v15, vcc, v13, v4, vcc
	v_add_co_u32_e32 v7, vcc, s34, v10
	v_lshlrev_b64 v[8:9], 2, v[8:9]
	v_addc_co_u32_e32 v10, vcc, v5, v11, vcc
	v_add_co_u32_e32 v8, vcc, v7, v8
	v_addc_co_u32_e32 v9, vcc, v10, v9, vcc
	global_load_ushort v16, v[12:13], off
	global_load_ushort v17, v[14:15], off
	v_add_co_u32_e32 v10, vcc, s24, v8
	v_addc_co_u32_e32 v11, vcc, v9, v6, vcc
	global_load_dword v7, v[8:9], off
	global_load_dword v12, v[10:11], off
	v_add_u32_e32 v2, s36, v2
	v_cmp_le_i32_e32 vcc, s7, v2
	s_or_b64 s[8:9], vcc, s[8:9]
	s_waitcnt vmcnt(3)
	v_lshlrev_b32_e32 v13, 16, v16
	s_waitcnt vmcnt(2)
	v_lshlrev_b32_e32 v14, 16, v17
	s_waitcnt vmcnt(1)
	v_mul_f32_e32 v15, v7, v14
	s_waitcnt vmcnt(0)
	v_mul_f32_e32 v14, v12, v14
	v_fma_f32 v7, v7, v13, -v14
	v_fmac_f32_e32 v15, v12, v13
	global_store_dword v[8:9], v7, off
	global_store_dword v[10:11], v15, off
	s_andn2_b64 exec, exec, s[8:9]
	s_cbranch_execnz .LBB58_3
.LBB58_4:
	s_or_b64 exec, exec, s[0:1]
	s_load_dwordx4 s[8:11], s[4:5], 0x68
	s_waitcnt lgkmcnt(0)
	s_ashr_i32 s35, s11, 31
	s_mov_b32 s34, s11
	s_or_b64 s[0:1], s[26:27], s[34:35]
	s_mov_b32 s0, 0
	s_cmp_lg_u64 s[0:1], 0
	s_cbranch_scc0 .LBB58_62
; %bb.5:
	s_add_u32 s0, s34, s35
	s_mov_b32 s22, s35
	s_mov_b32 s23, s35
	s_addc_u32 s1, s35, s35
	s_xor_b64 s[36:37], s[0:1], s[22:23]
	v_cvt_f32_u32_e32 v1, s36
	v_cvt_f32_u32_e32 v2, s37
	s_sub_u32 s0, 0, s36
	s_subb_u32 s1, 0, s37
	v_madmk_f32 v1, v2, 0x4f800000, v1
	v_rcp_f32_e32 v1, v1
	v_mul_f32_e32 v1, 0x5f7ffffc, v1
	v_mul_f32_e32 v2, 0x2f800000, v1
	v_trunc_f32_e32 v2, v2
	v_madmk_f32 v1, v2, 0xcf800000, v1
	v_cvt_u32_f32_e32 v2, v2
	v_cvt_u32_f32_e32 v1, v1
	v_readfirstlane_b32 s7, v2
	v_readfirstlane_b32 s11, v1
	s_mul_i32 s21, s0, s7
	s_mul_hi_u32 s38, s0, s11
	s_mul_i32 s33, s1, s11
	s_add_i32 s21, s38, s21
	s_add_i32 s21, s21, s33
	s_mul_i32 s39, s0, s11
	s_mul_hi_u32 s33, s11, s21
	s_mul_i32 s38, s11, s21
	s_mul_hi_u32 s11, s11, s39
	s_add_u32 s11, s11, s38
	s_addc_u32 s33, 0, s33
	s_mul_hi_u32 s40, s7, s39
	s_mul_i32 s39, s7, s39
	s_add_u32 s11, s11, s39
	s_mul_hi_u32 s38, s7, s21
	s_addc_u32 s11, s33, s40
	s_addc_u32 s33, s38, 0
	s_mul_i32 s21, s7, s21
	s_add_u32 s11, s11, s21
	s_addc_u32 s21, 0, s33
	v_add_co_u32_e32 v1, vcc, s11, v1
	s_cmp_lg_u64 vcc, 0
	s_addc_u32 s7, s7, s21
	v_readfirstlane_b32 s21, v1
	s_mul_i32 s11, s0, s7
	s_mul_hi_u32 s33, s0, s21
	s_add_i32 s11, s33, s11
	s_mul_i32 s1, s1, s21
	s_add_i32 s11, s11, s1
	s_mul_i32 s0, s0, s21
	s_mul_hi_u32 s33, s7, s0
	s_mul_i32 s38, s7, s0
	s_mul_i32 s40, s21, s11
	s_mul_hi_u32 s0, s21, s0
	s_mul_hi_u32 s39, s21, s11
	s_add_u32 s0, s0, s40
	s_addc_u32 s21, 0, s39
	s_add_u32 s0, s0, s38
	s_mul_hi_u32 s1, s7, s11
	s_addc_u32 s0, s21, s33
	s_addc_u32 s1, s1, 0
	s_mul_i32 s11, s7, s11
	s_add_u32 s0, s0, s11
	s_addc_u32 s1, 0, s1
	v_add_co_u32_e32 v1, vcc, s0, v1
	s_cmp_lg_u64 vcc, 0
	s_addc_u32 s7, s7, s1
	s_ashr_i32 s38, s27, 31
	s_add_u32 s0, s26, s38
	s_mov_b32 s39, s38
	s_addc_u32 s1, s27, s38
	s_xor_b64 s[40:41], s[0:1], s[38:39]
	v_readfirstlane_b32 s11, v1
	s_mul_i32 s1, s40, s7
	s_mul_hi_u32 s21, s40, s11
	s_mul_hi_u32 s0, s40, s7
	s_add_u32 s1, s21, s1
	s_addc_u32 s0, 0, s0
	s_mul_hi_u32 s33, s41, s11
	s_mul_i32 s11, s41, s11
	s_add_u32 s1, s1, s11
	s_mul_hi_u32 s21, s41, s7
	s_addc_u32 s0, s0, s33
	s_addc_u32 s1, s21, 0
	s_mul_i32 s7, s41, s7
	s_add_u32 s7, s0, s7
	s_addc_u32 s11, 0, s1
	s_mul_i32 s0, s36, s11
	s_mul_hi_u32 s1, s36, s7
	s_add_i32 s0, s1, s0
	s_mul_i32 s1, s37, s7
	s_add_i32 s21, s0, s1
	s_mul_i32 s1, s36, s7
	v_mov_b32_e32 v1, s1
	s_sub_i32 s0, s41, s21
	v_sub_co_u32_e32 v1, vcc, s40, v1
	s_cmp_lg_u64 vcc, 0
	s_subb_u32 s33, s0, s37
	v_subrev_co_u32_e64 v2, s[0:1], s36, v1
	s_cmp_lg_u64 s[0:1], 0
	s_subb_u32 s0, s33, 0
	s_cmp_ge_u32 s0, s37
	v_readfirstlane_b32 s33, v2
	s_cselect_b32 s1, -1, 0
	s_cmp_ge_u32 s33, s36
	s_cselect_b32 s33, -1, 0
	s_cmp_eq_u32 s0, s37
	s_cselect_b32 s0, s33, s1
	s_add_u32 s1, s7, 1
	s_addc_u32 s33, s11, 0
	s_add_u32 s40, s7, 2
	s_addc_u32 s42, s11, 0
	s_cmp_lg_u32 s0, 0
	s_cselect_b32 s0, s40, s1
	s_cselect_b32 s1, s42, s33
	s_cmp_lg_u64 vcc, 0
	s_subb_u32 s21, s41, s21
	s_cmp_ge_u32 s21, s37
	v_readfirstlane_b32 s40, v1
	s_cselect_b32 s33, -1, 0
	s_cmp_ge_u32 s40, s36
	s_cselect_b32 s36, -1, 0
	s_cmp_eq_u32 s21, s37
	s_cselect_b32 s21, s36, s33
	s_cmp_lg_u32 s21, 0
	s_cselect_b32 s1, s1, s11
	s_cselect_b32 s0, s0, s7
	s_xor_b64 s[22:23], s[38:39], s[22:23]
	s_xor_b64 s[0:1], s[0:1], s[22:23]
	s_sub_u32 s22, s0, s22
	s_subb_u32 s23, s1, s23
	s_cbranch_execnz .LBB58_7
.LBB58_6:
	v_cvt_f32_u32_e32 v1, s34
	s_sub_i32 s0, 0, s34
	s_mov_b32 s23, 0
	v_rcp_iflag_f32_e32 v1, v1
	v_mul_f32_e32 v1, 0x4f7ffffe, v1
	v_cvt_u32_f32_e32 v1, v1
	v_readfirstlane_b32 s1, v1
	s_mul_i32 s0, s0, s1
	s_mul_hi_u32 s0, s1, s0
	s_add_i32 s1, s1, s0
	s_mul_hi_u32 s0, s26, s1
	s_mul_i32 s7, s0, s34
	s_sub_i32 s7, s26, s7
	s_add_i32 s1, s0, 1
	s_sub_i32 s11, s7, s34
	s_cmp_ge_u32 s7, s34
	s_cselect_b32 s0, s1, s0
	s_cselect_b32 s7, s11, s7
	s_add_i32 s1, s0, 1
	s_cmp_ge_u32 s7, s34
	s_cselect_b32 s22, s1, s0
.LBB58_7:
	s_mul_i32 s0, s22, s35
	s_mul_hi_u32 s1, s22, s34
	s_load_dwordx2 s[24:25], s[4:5], 0x78
	s_add_i32 s0, s1, s0
	s_mul_i32 s1, s23, s34
	s_add_i32 s0, s0, s1
	s_mul_i32 s1, s22, s34
	s_sub_u32 s7, s26, s1
	s_subb_u32 s11, s27, s0
	v_cmp_gt_i32_e32 vcc, s20, v0
	s_mul_hi_u32 s46, s22, s8
	s_mul_i32 s47, s23, s8
	s_mul_i32 s48, s22, s8
	s_mul_hi_u32 s33, s7, s9
	s_mul_i32 s11, s11, s9
	s_mul_i32 s23, s7, s9
	s_and_saveexec_b64 s[26:27], vcc
	s_cbranch_execz .LBB58_42
; %bb.8:
	s_ashr_i32 s0, s8, 31
	s_ashr_i32 s1, s9, 31
	s_mul_i32 s0, s22, s0
	s_mul_i32 s1, s7, s1
	s_add_i32 s0, s46, s0
	s_add_i32 s1, s33, s1
	s_ashr_i32 s21, s20, 31
	s_add_i32 s0, s0, s47
	s_add_i32 s1, s1, s11
	s_add_u32 s34, s48, s23
	s_load_dword s36, s[4:5], 0x8c
	s_addc_u32 s35, s0, s1
	s_add_u32 s0, s34, s2
	s_addc_u32 s1, s35, s3
	s_ashr_i32 s37, s10, 31
	s_add_u32 s49, s0, s10
	s_addc_u32 s50, s1, s37
	s_waitcnt lgkmcnt(0)
	s_and_b32 s52, s36, 0xffff
	s_lshl_b64 s[0:1], s[30:31], 1
	s_add_u32 s0, s28, s0
	v_lshlrev_b32_e32 v1, 1, v0
	s_addc_u32 s1, s29, s1
	v_mov_b32_e32 v2, s1
	v_add_co_u32_e32 v4, vcc, s0, v1
	s_mul_i32 s0, s13, s6
	s_mul_hi_u32 s1, s12, s6
	s_add_i32 s1, s1, s0
	s_mul_i32 s0, s12, s6
	s_lshl_b32 s54, s52, 1
	s_lshl_b64 s[28:29], s[20:21], 1
	s_lshl_b64 s[30:31], s[20:21], 2
	;; [unrolled: 1-line block ×3, first 2 shown]
	s_add_u32 s0, s16, s0
	v_addc_co_u32_e32 v5, vcc, 0, v2, vcc
	v_lshlrev_b32_e32 v1, 2, v0
	s_addc_u32 s1, s17, s1
	s_lshl_b32 s55, s52, 2
	v_add_co_u32_e32 v6, vcc, s0, v1
	s_add_u32 s0, s34, s20
	s_load_dword s51, s[24:25], 0x0
	v_mov_b32_e32 v2, s1
	s_addc_u32 s1, s35, s21
	s_add_u32 s0, s0, s10
	s_addc_u32 s1, s1, s37
	s_mov_b32 s53, 0
	s_add_u32 s21, s2, s0
	v_mov_b32_e32 v3, 0
	v_addc_co_u32_e32 v7, vcc, 0, v2, vcc
	s_mov_b32 s56, s53
	s_addc_u32 s57, s3, s1
	s_mov_b64 s[12:13], 0
	v_mov_b32_e32 v1, s29
	v_mov_b32_e32 v10, s31
	s_movk_i32 s29, 0x80
	s_mov_b64 s[16:17], 0x7f800000
	s_mov_b64 s[34:35], 0x43e00001
	s_movk_i32 s31, 0x7a
	s_mov_b64 s[36:37], 0xffffff
	s_movk_i32 s58, 0x7f
	v_mov_b32_e32 v11, 0xffffff82
	v_mov_b32_e32 v12, 0x78
	s_mov_b64 s[38:39], 0
	s_branch .LBB58_10
.LBB58_9:                               ;   in Loop: Header=BB58_10 Depth=1
	s_or_b64 exec, exec, s[0:1]
	s_add_u32 s38, s38, s52
	v_mov_b32_e32 v2, s57
	v_add_co_u32_e32 v14, vcc, s21, v0
	s_addc_u32 s39, s39, 0
	v_addc_co_u32_e32 v15, vcc, 0, v2, vcc
	s_add_u32 s21, s21, s52
	v_mov_b32_e32 v8, s53
	v_add_co_u32_e32 v4, vcc, s54, v4
	s_addc_u32 s57, s57, 0
	v_add_u32_e32 v2, s38, v0
	v_addc_co_u32_e32 v5, vcc, v5, v8, vcc
	s_add_u32 s49, s49, s52
	s_addc_u32 s50, s50, 0
	v_cmp_le_i32_e32 vcc, s20, v2
	v_mov_b32_e32 v8, s56
	s_or_b64 s[12:13], vcc, s[12:13]
	v_add_co_u32_e32 v6, vcc, s55, v6
	v_addc_co_u32_e32 v7, vcc, v7, v8, vcc
	global_store_byte v[14:15], v9, off
	s_andn2_b64 exec, exec, s[12:13]
	s_cbranch_execz .LBB58_42
.LBB58_10:                              ; =>This Inner Loop Header: Depth=1
	v_add_co_u32_e32 v8, vcc, s28, v4
	v_addc_co_u32_e32 v9, vcc, v5, v1, vcc
	global_load_ushort v2, v[4:5], off
	global_load_ushort v13, v[8:9], off
	v_add_co_u32_e32 v8, vcc, s30, v6
	v_addc_co_u32_e32 v9, vcc, v7, v10, vcc
	global_load_dword v14, v[8:9], off
	global_load_dword v15, v[6:7], off
	v_mov_b32_e32 v17, v3
	s_waitcnt vmcnt(3)
	v_lshlrev_b32_e32 v2, 16, v2
	s_waitcnt vmcnt(2)
	v_lshlrev_b32_e32 v13, 16, v13
	s_waitcnt vmcnt(1)
	v_mul_f32_e32 v16, v14, v13
	s_waitcnt vmcnt(0)
	v_mul_f32_e32 v13, v15, v13
	v_fma_f32 v15, v15, v2, -v16
	v_fmac_f32_e32 v13, v14, v2
	s_waitcnt lgkmcnt(0)
	v_div_scale_f32 v2, s[0:1], s51, s51, v15
	v_rcp_f32_e32 v14, v2
	global_store_dword v[6:7], v15, off
	global_store_dword v[8:9], v13, off
	v_div_scale_f32 v8, vcc, v15, s51, v15
	v_fma_f32 v9, -v2, v14, 1.0
	v_fmac_f32_e32 v14, v9, v14
	v_mul_f32_e32 v9, v8, v14
	v_fma_f32 v16, -v2, v9, v8
	v_fmac_f32_e32 v9, v16, v14
	v_fma_f32 v2, -v2, v9, v8
	v_div_fmas_f32 v2, v2, v14, v9
	v_div_fixup_f32 v8, v2, s51, v15
	v_and_b32_sdwa v14, v8, s29 dst_sel:DWORD dst_unused:UNUSED_PAD src0_sel:BYTE_3 src1_sel:DWORD
	v_and_b32_e32 v16, 0x7f800000, v8
	v_and_b32_e32 v2, 0x7fffff, v8
	v_or_b32_e32 v9, 0x7e, v14
	v_cmp_ne_u64_e32 vcc, s[16:17], v[16:17]
	s_and_saveexec_b64 s[0:1], vcc
	s_xor_b64 s[40:41], exec, s[0:1]
	s_cbranch_execz .LBB58_24
; %bb.11:                               ;   in Loop: Header=BB58_10 Depth=1
	v_and_b32_e32 v16, 0x7fffffff, v8
	v_mov_b32_e32 v17, v3
	v_cmp_gt_u64_e32 vcc, s[34:35], v[16:17]
	s_and_saveexec_b64 s[0:1], vcc
	s_xor_b64 s[42:43], exec, s[0:1]
	s_cbranch_execz .LBB58_23
; %bb.12:                               ;   in Loop: Header=BB58_10 Depth=1
	v_cmp_ne_u32_e32 vcc, 0, v8
	v_mov_b32_e32 v9, 0
	s_and_saveexec_b64 s[44:45], vcc
	s_cbranch_execz .LBB58_22
; %bb.13:                               ;   in Loop: Header=BB58_10 Depth=1
	v_bfe_u32 v8, v8, 23, 8
	v_sub_u32_e32 v15, 0x79, v8
	v_cmp_gt_u32_e32 vcc, s31, v8
	v_cndmask_b32_e32 v15, 0, v15, vcc
	v_cmp_eq_u32_e32 vcc, 0, v8
	v_cndmask_b32_e32 v15, v15, v12, vcc
	v_add_u32_e32 v9, 0xffffff81, v8
	v_or_b32_e32 v16, 0x800000, v2
	v_add_u32_e32 v8, 20, v15
	v_cndmask_b32_e32 v17, v9, v11, vcc
	v_cndmask_b32_e32 v2, v16, v2, vcc
	v_lshlrev_b64 v[8:9], v8, -1
	v_not_b32_e32 v8, v8
	v_lshrrev_b64 v[20:21], v15, v[2:3]
	v_not_b32_e32 v9, v9
	v_and_b32_e32 v8, v2, v8
	v_add_u32_e32 v16, 19, v15
	v_lshrrev_b32_e32 v2, 23, v20
	v_and_b32_e32 v9, 0, v9
	v_lshlrev_b64 v[18:19], v16, 1
	v_add3_u32 v16, v15, v17, v2
	v_bfe_u32 v2, v20, 20, 1
	v_add_u32_e32 v2, -1, v2
	v_cmp_eq_u64_e32 vcc, v[8:9], v[18:19]
	v_cndmask_b32_e32 v2, 0, v2, vcc
	v_add_u32_e32 v2, v2, v20
	v_and_b32_e32 v2, 0xfffff, v2
	v_add_co_u32_e32 v8, vcc, v2, v20
	v_add_u32_e32 v15, 6, v16
	v_addc_co_u32_e32 v9, vcc, 0, v21, vcc
	v_cmp_ne_u32_e32 vcc, 0, v15
                                        ; implicit-def: $vgpr2
	s_and_saveexec_b64 s[0:1], vcc
	s_xor_b64 s[0:1], exec, s[0:1]
; %bb.14:                               ;   in Loop: Header=BB58_10 Depth=1
	v_add_u32_e32 v2, 7, v16
	v_cmp_lt_u64_e32 vcc, s[36:37], v[8:9]
	v_cndmask_b32_e32 v2, v15, v2, vcc
	v_cndmask_b32_e64 v15, 0, 1, vcc
	v_lshrrev_b64 v[8:9], v15, v[8:9]
; %bb.15:                               ;   in Loop: Header=BB58_10 Depth=1
	s_andn2_saveexec_b64 s[0:1], s[0:1]
; %bb.16:                               ;   in Loop: Header=BB58_10 Depth=1
	v_bfe_u32 v2, v8, 23, 1
; %bb.17:                               ;   in Loop: Header=BB58_10 Depth=1
	s_or_b64 exec, exec, s[0:1]
	v_lshrrev_b64 v[8:9], 20, v[8:9]
	v_cmp_gt_i32_e32 vcc, 16, v2
	v_cndmask_b32_e32 v9, 0, v9, vcc
	v_cndmask_b32_e32 v8, 7, v8, vcc
	v_cmp_ne_u32_e32 vcc, 0, v2
	v_cmp_ne_u64_e64 s[0:1], 0, v[8:9]
	s_or_b64 s[0:1], vcc, s[0:1]
                                        ; implicit-def: $vgpr9
	s_and_saveexec_b64 s[60:61], s[0:1]
	s_xor_b64 s[0:1], exec, s[60:61]
; %bb.18:                               ;   in Loop: Header=BB58_10 Depth=1
	v_min_i32_e32 v2, 15, v2
	v_lshl_or_b32 v2, v2, 3, v14
	v_and_or_b32 v9, v8, 7, v2
                                        ; implicit-def: $vgpr14
; %bb.19:                               ;   in Loop: Header=BB58_10 Depth=1
	s_andn2_saveexec_b64 s[0:1], s[0:1]
; %bb.20:                               ;   in Loop: Header=BB58_10 Depth=1
	v_mov_b32_e32 v9, v14
; %bb.21:                               ;   in Loop: Header=BB58_10 Depth=1
	s_or_b64 exec, exec, s[0:1]
.LBB58_22:                              ;   in Loop: Header=BB58_10 Depth=1
	s_or_b64 exec, exec, s[44:45]
.LBB58_23:                              ;   in Loop: Header=BB58_10 Depth=1
	s_andn2_saveexec_b64 s[0:1], s[42:43]
	s_or_b64 exec, exec, s[0:1]
                                        ; implicit-def: $vgpr8
.LBB58_24:                              ;   in Loop: Header=BB58_10 Depth=1
	s_andn2_saveexec_b64 s[0:1], s[40:41]
; %bb.25:                               ;   in Loop: Header=BB58_10 Depth=1
	v_or_b32_sdwa v8, v8, s58 dst_sel:DWORD dst_unused:UNUSED_PAD src0_sel:BYTE_3 src1_sel:DWORD
	v_cmp_eq_u64_e32 vcc, 0, v[2:3]
	v_cndmask_b32_e32 v9, v8, v9, vcc
; %bb.26:                               ;   in Loop: Header=BB58_10 Depth=1
	s_or_b64 exec, exec, s[0:1]
	v_div_scale_f32 v8, s[0:1], s51, s51, v13
	v_rcp_f32_e32 v16, v8
	v_mov_b32_e32 v2, s50
	v_add_co_u32_e32 v14, vcc, s49, v0
	v_addc_co_u32_e32 v15, vcc, 0, v2, vcc
	v_fma_f32 v2, -v8, v16, 1.0
	v_fmac_f32_e32 v16, v2, v16
	v_div_scale_f32 v2, vcc, v13, s51, v13
	global_store_byte v[14:15], v9, off
	v_mul_f32_e32 v9, v2, v16
	v_fma_f32 v14, -v8, v9, v2
	v_fmac_f32_e32 v9, v14, v16
	v_fma_f32 v2, -v8, v9, v2
	v_div_fmas_f32 v2, v2, v16, v9
	v_div_fixup_f32 v8, v2, s51, v13
	v_and_b32_sdwa v13, v8, s29 dst_sel:DWORD dst_unused:UNUSED_PAD src0_sel:BYTE_3 src1_sel:DWORD
	v_and_b32_e32 v14, 0x7f800000, v8
	v_mov_b32_e32 v15, v3
	v_and_b32_e32 v2, 0x7fffff, v8
	v_or_b32_e32 v9, 0x7e, v13
	v_cmp_ne_u64_e32 vcc, s[16:17], v[14:15]
	s_and_saveexec_b64 s[0:1], vcc
	s_xor_b64 s[40:41], exec, s[0:1]
	s_cbranch_execz .LBB58_40
; %bb.27:                               ;   in Loop: Header=BB58_10 Depth=1
	v_and_b32_e32 v14, 0x7fffffff, v8
	v_mov_b32_e32 v15, v3
	v_cmp_gt_u64_e32 vcc, s[34:35], v[14:15]
	s_and_saveexec_b64 s[0:1], vcc
	s_xor_b64 s[42:43], exec, s[0:1]
	s_cbranch_execz .LBB58_39
; %bb.28:                               ;   in Loop: Header=BB58_10 Depth=1
	v_cmp_ne_u32_e32 vcc, 0, v8
	v_mov_b32_e32 v9, 0
	s_and_saveexec_b64 s[44:45], vcc
	s_cbranch_execz .LBB58_38
; %bb.29:                               ;   in Loop: Header=BB58_10 Depth=1
	v_bfe_u32 v8, v8, 23, 8
	v_sub_u32_e32 v14, 0x79, v8
	v_cmp_gt_u32_e32 vcc, s31, v8
	v_cndmask_b32_e32 v14, 0, v14, vcc
	v_cmp_eq_u32_e32 vcc, 0, v8
	v_cndmask_b32_e32 v14, v14, v12, vcc
	v_add_u32_e32 v9, 0xffffff81, v8
	v_or_b32_e32 v15, 0x800000, v2
	v_add_u32_e32 v8, 20, v14
	v_cndmask_b32_e32 v20, v9, v11, vcc
	v_cndmask_b32_e32 v2, v15, v2, vcc
	v_lshlrev_b64 v[8:9], v8, -1
	v_not_b32_e32 v8, v8
	v_lshrrev_b64 v[18:19], v14, v[2:3]
	v_not_b32_e32 v9, v9
	v_and_b32_e32 v8, v2, v8
	v_add_u32_e32 v15, 19, v14
	v_lshrrev_b32_e32 v2, 23, v18
	v_and_b32_e32 v9, 0, v9
	v_lshlrev_b64 v[16:17], v15, 1
	v_add3_u32 v15, v14, v20, v2
	v_bfe_u32 v2, v18, 20, 1
	v_add_u32_e32 v2, -1, v2
	v_cmp_eq_u64_e32 vcc, v[8:9], v[16:17]
	v_cndmask_b32_e32 v2, 0, v2, vcc
	v_add_u32_e32 v2, v2, v18
	v_and_b32_e32 v2, 0xfffff, v2
	v_add_co_u32_e32 v8, vcc, v2, v18
	v_add_u32_e32 v14, 6, v15
	v_addc_co_u32_e32 v9, vcc, 0, v19, vcc
	v_cmp_ne_u32_e32 vcc, 0, v14
                                        ; implicit-def: $vgpr2
	s_and_saveexec_b64 s[0:1], vcc
	s_xor_b64 s[0:1], exec, s[0:1]
; %bb.30:                               ;   in Loop: Header=BB58_10 Depth=1
	v_add_u32_e32 v2, 7, v15
	v_cmp_lt_u64_e32 vcc, s[36:37], v[8:9]
	v_cndmask_b32_e32 v2, v14, v2, vcc
	v_cndmask_b32_e64 v14, 0, 1, vcc
	v_lshrrev_b64 v[8:9], v14, v[8:9]
; %bb.31:                               ;   in Loop: Header=BB58_10 Depth=1
	s_andn2_saveexec_b64 s[0:1], s[0:1]
; %bb.32:                               ;   in Loop: Header=BB58_10 Depth=1
	v_bfe_u32 v2, v8, 23, 1
; %bb.33:                               ;   in Loop: Header=BB58_10 Depth=1
	s_or_b64 exec, exec, s[0:1]
	v_lshrrev_b64 v[8:9], 20, v[8:9]
	v_cmp_gt_i32_e32 vcc, 16, v2
	v_cndmask_b32_e32 v9, 0, v9, vcc
	v_cndmask_b32_e32 v8, 7, v8, vcc
	v_cmp_ne_u32_e32 vcc, 0, v2
	v_cmp_ne_u64_e64 s[0:1], 0, v[8:9]
	s_or_b64 s[0:1], vcc, s[0:1]
                                        ; implicit-def: $vgpr9
	s_and_saveexec_b64 s[60:61], s[0:1]
	s_xor_b64 s[0:1], exec, s[60:61]
; %bb.34:                               ;   in Loop: Header=BB58_10 Depth=1
	v_min_i32_e32 v2, 15, v2
	v_lshl_or_b32 v2, v2, 3, v13
	v_and_or_b32 v9, v8, 7, v2
                                        ; implicit-def: $vgpr13
; %bb.35:                               ;   in Loop: Header=BB58_10 Depth=1
	s_andn2_saveexec_b64 s[0:1], s[0:1]
; %bb.36:                               ;   in Loop: Header=BB58_10 Depth=1
	v_mov_b32_e32 v9, v13
; %bb.37:                               ;   in Loop: Header=BB58_10 Depth=1
	s_or_b64 exec, exec, s[0:1]
.LBB58_38:                              ;   in Loop: Header=BB58_10 Depth=1
	s_or_b64 exec, exec, s[44:45]
.LBB58_39:                              ;   in Loop: Header=BB58_10 Depth=1
	s_andn2_saveexec_b64 s[0:1], s[42:43]
	s_or_b64 exec, exec, s[0:1]
                                        ; implicit-def: $vgpr8
.LBB58_40:                              ;   in Loop: Header=BB58_10 Depth=1
	s_andn2_saveexec_b64 s[0:1], s[40:41]
	s_cbranch_execz .LBB58_9
; %bb.41:                               ;   in Loop: Header=BB58_10 Depth=1
	v_or_b32_sdwa v8, v8, s58 dst_sel:DWORD dst_unused:UNUSED_PAD src0_sel:BYTE_3 src1_sel:DWORD
	v_cmp_eq_u64_e32 vcc, 0, v[2:3]
	v_cndmask_b32_e32 v9, v8, v9, vcc
	s_branch .LBB58_9
.LBB58_42:
	s_or_b64 exec, exec, s[26:27]
	v_cmp_gt_i32_e32 vcc, s10, v0
	s_and_saveexec_b64 s[0:1], vcc
	s_cbranch_execz .LBB58_61
; %bb.43:
	s_mul_i32 s0, s6, s15
	s_mul_hi_u32 s1, s6, s14
	s_add_i32 s1, s1, s0
	s_mul_i32 s0, s6, s14
	s_lshl_b64 s[0:1], s[0:1], 2
	s_add_u32 s18, s18, s0
	s_addc_u32 s0, s19, s1
	s_ashr_i32 s1, s8, 31
	s_mul_i32 s1, s22, s1
	s_add_i32 s1, s46, s1
	s_add_i32 s1, s1, s47
	s_add_u32 s2, s2, s48
	s_addc_u32 s1, s3, s1
	s_ashr_i32 s3, s9, 31
	s_load_dword s4, s[4:5], 0x8c
	s_mul_i32 s7, s7, s3
	s_waitcnt lgkmcnt(0)
	s_load_dword s20, s[24:25], 0x0
	s_add_i32 s3, s33, s7
	s_add_i32 s3, s3, s11
	s_add_u32 s11, s2, s23
	s_addc_u32 s19, s1, s3
	s_and_b32 s21, s4, 0xffff
	s_mov_b64 s[2:3], 0
	v_mov_b32_e32 v6, s0
	v_mov_b32_e32 v3, 0
	s_movk_i32 s22, 0x80
	s_mov_b64 s[4:5], 0x7f800000
	s_mov_b64 s[6:7], 0x43e00001
	s_movk_i32 s23, 0x7a
	s_mov_b64 s[8:9], 0xffffff
	s_movk_i32 s24, 0x7f
	v_mov_b32_e32 v7, 0xffffff82
	v_mov_b32_e32 v8, 0x78
	s_branch .LBB58_45
.LBB58_44:                              ;   in Loop: Header=BB58_45 Depth=1
	s_or_b64 exec, exec, s[0:1]
	v_mov_b32_e32 v2, s19
	v_add_co_u32_e32 v10, vcc, s11, v0
	v_addc_co_u32_e32 v11, vcc, v2, v1, vcc
	v_add_u32_e32 v0, s21, v0
	v_cmp_le_i32_e32 vcc, s10, v0
	s_or_b64 s[2:3], vcc, s[2:3]
	global_store_byte v[10:11], v5, off
	s_andn2_b64 exec, exec, s[2:3]
	s_cbranch_execz .LBB58_61
.LBB58_45:                              ; =>This Inner Loop Header: Depth=1
	v_ashrrev_i32_e32 v1, 31, v0
	v_lshlrev_b64 v[4:5], 2, v[0:1]
	v_add_co_u32_e32 v4, vcc, s18, v4
	v_addc_co_u32_e32 v5, vcc, v6, v5, vcc
	global_load_dword v2, v[4:5], off
	v_mov_b32_e32 v11, v3
	s_waitcnt vmcnt(0) lgkmcnt(0)
	v_div_scale_f32 v4, s[0:1], s20, s20, v2
	v_rcp_f32_e32 v5, v4
	v_div_scale_f32 v9, vcc, v2, s20, v2
	v_fma_f32 v10, -v4, v5, 1.0
	v_fmac_f32_e32 v5, v10, v5
	v_mul_f32_e32 v10, v9, v5
	v_fma_f32 v12, -v4, v10, v9
	v_fmac_f32_e32 v10, v12, v5
	v_fma_f32 v4, -v4, v10, v9
	v_div_fmas_f32 v4, v4, v5, v10
	v_div_fixup_f32 v4, v4, s20, v2
	v_and_b32_sdwa v9, v4, s22 dst_sel:DWORD dst_unused:UNUSED_PAD src0_sel:BYTE_3 src1_sel:DWORD
	v_and_b32_e32 v10, 0x7f800000, v4
	v_and_b32_e32 v2, 0x7fffff, v4
	v_or_b32_e32 v5, 0x7e, v9
	v_cmp_ne_u64_e32 vcc, s[4:5], v[10:11]
	s_and_saveexec_b64 s[0:1], vcc
	s_xor_b64 s[12:13], exec, s[0:1]
	s_cbranch_execz .LBB58_59
; %bb.46:                               ;   in Loop: Header=BB58_45 Depth=1
	v_and_b32_e32 v10, 0x7fffffff, v4
	v_mov_b32_e32 v11, v3
	v_cmp_gt_u64_e32 vcc, s[6:7], v[10:11]
	s_and_saveexec_b64 s[0:1], vcc
	s_xor_b64 s[14:15], exec, s[0:1]
	s_cbranch_execz .LBB58_58
; %bb.47:                               ;   in Loop: Header=BB58_45 Depth=1
	v_cmp_ne_u32_e32 vcc, 0, v4
	v_mov_b32_e32 v5, 0
	s_and_saveexec_b64 s[16:17], vcc
	s_cbranch_execz .LBB58_57
; %bb.48:                               ;   in Loop: Header=BB58_45 Depth=1
	v_bfe_u32 v4, v4, 23, 8
	v_sub_u32_e32 v10, 0x79, v4
	v_cmp_gt_u32_e32 vcc, s23, v4
	v_cndmask_b32_e32 v10, 0, v10, vcc
	v_cmp_eq_u32_e32 vcc, 0, v4
	v_cndmask_b32_e32 v10, v10, v8, vcc
	v_add_u32_e32 v5, 0xffffff81, v4
	v_or_b32_e32 v11, 0x800000, v2
	v_add_u32_e32 v4, 20, v10
	v_cndmask_b32_e32 v16, v5, v7, vcc
	v_cndmask_b32_e32 v2, v11, v2, vcc
	v_lshlrev_b64 v[4:5], v4, -1
	v_not_b32_e32 v4, v4
	v_lshrrev_b64 v[14:15], v10, v[2:3]
	v_not_b32_e32 v5, v5
	v_and_b32_e32 v4, v2, v4
	v_add_u32_e32 v11, 19, v10
	v_lshrrev_b32_e32 v2, 23, v14
	v_and_b32_e32 v5, 0, v5
	v_lshlrev_b64 v[12:13], v11, 1
	v_add3_u32 v11, v10, v16, v2
	v_bfe_u32 v2, v14, 20, 1
	v_add_u32_e32 v2, -1, v2
	v_cmp_eq_u64_e32 vcc, v[4:5], v[12:13]
	v_cndmask_b32_e32 v2, 0, v2, vcc
	v_add_u32_e32 v2, v2, v14
	v_and_b32_e32 v2, 0xfffff, v2
	v_add_co_u32_e32 v4, vcc, v2, v14
	v_add_u32_e32 v10, 6, v11
	v_addc_co_u32_e32 v5, vcc, 0, v15, vcc
	v_cmp_ne_u32_e32 vcc, 0, v10
                                        ; implicit-def: $vgpr2
	s_and_saveexec_b64 s[0:1], vcc
	s_xor_b64 s[0:1], exec, s[0:1]
; %bb.49:                               ;   in Loop: Header=BB58_45 Depth=1
	v_add_u32_e32 v2, 7, v11
	v_cmp_lt_u64_e32 vcc, s[8:9], v[4:5]
	v_cndmask_b32_e32 v2, v10, v2, vcc
	v_cndmask_b32_e64 v10, 0, 1, vcc
	v_lshrrev_b64 v[4:5], v10, v[4:5]
; %bb.50:                               ;   in Loop: Header=BB58_45 Depth=1
	s_andn2_saveexec_b64 s[0:1], s[0:1]
; %bb.51:                               ;   in Loop: Header=BB58_45 Depth=1
	v_bfe_u32 v2, v4, 23, 1
; %bb.52:                               ;   in Loop: Header=BB58_45 Depth=1
	s_or_b64 exec, exec, s[0:1]
	v_lshrrev_b64 v[4:5], 20, v[4:5]
	v_cmp_gt_i32_e32 vcc, 16, v2
	v_cndmask_b32_e32 v5, 0, v5, vcc
	v_cndmask_b32_e32 v4, 7, v4, vcc
	v_cmp_ne_u32_e32 vcc, 0, v2
	v_cmp_ne_u64_e64 s[0:1], 0, v[4:5]
	s_or_b64 s[0:1], vcc, s[0:1]
                                        ; implicit-def: $vgpr5
	s_and_saveexec_b64 s[26:27], s[0:1]
	s_xor_b64 s[0:1], exec, s[26:27]
; %bb.53:                               ;   in Loop: Header=BB58_45 Depth=1
	v_min_i32_e32 v2, 15, v2
	v_lshl_or_b32 v2, v2, 3, v9
	v_and_or_b32 v5, v4, 7, v2
                                        ; implicit-def: $vgpr9
; %bb.54:                               ;   in Loop: Header=BB58_45 Depth=1
	s_andn2_saveexec_b64 s[0:1], s[0:1]
; %bb.55:                               ;   in Loop: Header=BB58_45 Depth=1
	v_mov_b32_e32 v5, v9
; %bb.56:                               ;   in Loop: Header=BB58_45 Depth=1
	s_or_b64 exec, exec, s[0:1]
.LBB58_57:                              ;   in Loop: Header=BB58_45 Depth=1
	s_or_b64 exec, exec, s[16:17]
.LBB58_58:                              ;   in Loop: Header=BB58_45 Depth=1
	s_andn2_saveexec_b64 s[0:1], s[14:15]
	s_or_b64 exec, exec, s[0:1]
                                        ; implicit-def: $vgpr4
.LBB58_59:                              ;   in Loop: Header=BB58_45 Depth=1
	s_andn2_saveexec_b64 s[0:1], s[12:13]
	s_cbranch_execz .LBB58_44
; %bb.60:                               ;   in Loop: Header=BB58_45 Depth=1
	v_or_b32_sdwa v4, v4, s24 dst_sel:DWORD dst_unused:UNUSED_PAD src0_sel:BYTE_3 src1_sel:DWORD
	v_cmp_eq_u64_e32 vcc, 0, v[2:3]
	v_cndmask_b32_e32 v5, v4, v5, vcc
	s_branch .LBB58_44
.LBB58_61:
	s_endpgm
.LBB58_62:
                                        ; implicit-def: $sgpr22_sgpr23
	s_branch .LBB58_6
	.section	.rodata,"a",@progbits
	.p2align	6, 0x0
	.amdhsa_kernel _ZN4vllm38concat_and_cache_mla_rope_fused_kernelIfN3c108BFloat16ELb1EfhLNS_18Fp8KVCacheDataTypeE1EEEvPKlPT_S7_PKS6_PKT0_illlliPT3_S5_iiiiPKf
		.amdhsa_group_segment_fixed_size 0
		.amdhsa_private_segment_fixed_size 0
		.amdhsa_kernarg_size 384
		.amdhsa_user_sgpr_count 6
		.amdhsa_user_sgpr_private_segment_buffer 1
		.amdhsa_user_sgpr_dispatch_ptr 0
		.amdhsa_user_sgpr_queue_ptr 0
		.amdhsa_user_sgpr_kernarg_segment_ptr 1
		.amdhsa_user_sgpr_dispatch_id 0
		.amdhsa_user_sgpr_flat_scratch_init 0
		.amdhsa_user_sgpr_kernarg_preload_length 0
		.amdhsa_user_sgpr_kernarg_preload_offset 0
		.amdhsa_user_sgpr_private_segment_size 0
		.amdhsa_uses_dynamic_stack 0
		.amdhsa_system_sgpr_private_segment_wavefront_offset 0
		.amdhsa_system_sgpr_workgroup_id_x 1
		.amdhsa_system_sgpr_workgroup_id_y 0
		.amdhsa_system_sgpr_workgroup_id_z 0
		.amdhsa_system_sgpr_workgroup_info 0
		.amdhsa_system_vgpr_workitem_id 0
		.amdhsa_next_free_vgpr 22
		.amdhsa_next_free_sgpr 62
		.amdhsa_accum_offset 24
		.amdhsa_reserve_vcc 1
		.amdhsa_reserve_flat_scratch 0
		.amdhsa_float_round_mode_32 0
		.amdhsa_float_round_mode_16_64 0
		.amdhsa_float_denorm_mode_32 3
		.amdhsa_float_denorm_mode_16_64 3
		.amdhsa_dx10_clamp 1
		.amdhsa_ieee_mode 1
		.amdhsa_fp16_overflow 0
		.amdhsa_tg_split 0
		.amdhsa_exception_fp_ieee_invalid_op 0
		.amdhsa_exception_fp_denorm_src 0
		.amdhsa_exception_fp_ieee_div_zero 0
		.amdhsa_exception_fp_ieee_overflow 0
		.amdhsa_exception_fp_ieee_underflow 0
		.amdhsa_exception_fp_ieee_inexact 0
		.amdhsa_exception_int_div_zero 0
	.end_amdhsa_kernel
	.section	.text._ZN4vllm38concat_and_cache_mla_rope_fused_kernelIfN3c108BFloat16ELb1EfhLNS_18Fp8KVCacheDataTypeE1EEEvPKlPT_S7_PKS6_PKT0_illlliPT3_S5_iiiiPKf,"axG",@progbits,_ZN4vllm38concat_and_cache_mla_rope_fused_kernelIfN3c108BFloat16ELb1EfhLNS_18Fp8KVCacheDataTypeE1EEEvPKlPT_S7_PKS6_PKT0_illlliPT3_S5_iiiiPKf,comdat
.Lfunc_end58:
	.size	_ZN4vllm38concat_and_cache_mla_rope_fused_kernelIfN3c108BFloat16ELb1EfhLNS_18Fp8KVCacheDataTypeE1EEEvPKlPT_S7_PKS6_PKT0_illlliPT3_S5_iiiiPKf, .Lfunc_end58-_ZN4vllm38concat_and_cache_mla_rope_fused_kernelIfN3c108BFloat16ELb1EfhLNS_18Fp8KVCacheDataTypeE1EEEvPKlPT_S7_PKS6_PKT0_illlliPT3_S5_iiiiPKf
                                        ; -- End function
	.section	.AMDGPU.csdata,"",@progbits
; Kernel info:
; codeLenInByte = 3684
; NumSgprs: 66
; NumVgprs: 22
; NumAgprs: 0
; TotalNumVgprs: 22
; ScratchSize: 0
; MemoryBound: 0
; FloatMode: 240
; IeeeMode: 1
; LDSByteSize: 0 bytes/workgroup (compile time only)
; SGPRBlocks: 8
; VGPRBlocks: 2
; NumSGPRsForWavesPerEU: 66
; NumVGPRsForWavesPerEU: 22
; AccumOffset: 24
; Occupancy: 8
; WaveLimiterHint : 1
; COMPUTE_PGM_RSRC2:SCRATCH_EN: 0
; COMPUTE_PGM_RSRC2:USER_SGPR: 6
; COMPUTE_PGM_RSRC2:TRAP_HANDLER: 0
; COMPUTE_PGM_RSRC2:TGID_X_EN: 1
; COMPUTE_PGM_RSRC2:TGID_Y_EN: 0
; COMPUTE_PGM_RSRC2:TGID_Z_EN: 0
; COMPUTE_PGM_RSRC2:TIDIG_COMP_CNT: 0
; COMPUTE_PGM_RSRC3_GFX90A:ACCUM_OFFSET: 5
; COMPUTE_PGM_RSRC3_GFX90A:TG_SPLIT: 0
	.section	.text._ZN4vllm38concat_and_cache_mla_rope_fused_kernelIfN3c108BFloat16ELb0EfhLNS_18Fp8KVCacheDataTypeE1EEEvPKlPT_S7_PKS6_PKT0_illlliPT3_S5_iiiiPKf,"axG",@progbits,_ZN4vllm38concat_and_cache_mla_rope_fused_kernelIfN3c108BFloat16ELb0EfhLNS_18Fp8KVCacheDataTypeE1EEEvPKlPT_S7_PKS6_PKT0_illlliPT3_S5_iiiiPKf,comdat
	.protected	_ZN4vllm38concat_and_cache_mla_rope_fused_kernelIfN3c108BFloat16ELb0EfhLNS_18Fp8KVCacheDataTypeE1EEEvPKlPT_S7_PKS6_PKT0_illlliPT3_S5_iiiiPKf ; -- Begin function _ZN4vllm38concat_and_cache_mla_rope_fused_kernelIfN3c108BFloat16ELb0EfhLNS_18Fp8KVCacheDataTypeE1EEEvPKlPT_S7_PKS6_PKT0_illlliPT3_S5_iiiiPKf
	.globl	_ZN4vllm38concat_and_cache_mla_rope_fused_kernelIfN3c108BFloat16ELb0EfhLNS_18Fp8KVCacheDataTypeE1EEEvPKlPT_S7_PKS6_PKT0_illlliPT3_S5_iiiiPKf
	.p2align	8
	.type	_ZN4vllm38concat_and_cache_mla_rope_fused_kernelIfN3c108BFloat16ELb0EfhLNS_18Fp8KVCacheDataTypeE1EEEvPKlPT_S7_PKS6_PKT0_illlliPT3_S5_iiiiPKf,@function
_ZN4vllm38concat_and_cache_mla_rope_fused_kernelIfN3c108BFloat16ELb0EfhLNS_18Fp8KVCacheDataTypeE1EEEvPKlPT_S7_PKS6_PKT0_illlliPT3_S5_iiiiPKf: ; @_ZN4vllm38concat_and_cache_mla_rope_fused_kernelIfN3c108BFloat16ELb0EfhLNS_18Fp8KVCacheDataTypeE1EEEvPKlPT_S7_PKS6_PKT0_illlliPT3_S5_iiiiPKf
; %bb.0:
	s_load_dwordx2 s[2:3], s[4:5], 0x60
	s_mov_b32 s7, 0
	s_lshl_b64 s[0:1], s[6:7], 3
	s_waitcnt lgkmcnt(0)
	s_add_u32 s2, s2, s0
	s_addc_u32 s3, s3, s1
	s_load_dwordx2 s[26:27], s[2:3], 0x0
	s_waitcnt lgkmcnt(0)
	v_cmp_lt_i64_e64 s[2:3], s[26:27], 0
	s_and_b64 vcc, exec, s[2:3]
	s_cbranch_vccnz .LBB59_61
; %bb.1:
	s_load_dword s7, s[4:5], 0x28
	s_load_dwordx2 s[2:3], s[4:5], 0x0
	s_load_dwordx4 s[16:19], s[4:5], 0x10
	v_lshlrev_b32_e32 v1, 1, v0
	s_waitcnt lgkmcnt(0)
	s_ashr_i32 s22, s7, 31
	s_add_u32 s0, s2, s0
	s_addc_u32 s1, s3, s1
	s_load_dwordx2 s[20:21], s[0:1], 0x0
	s_load_dwordx2 s[28:29], s[4:5], 0x20
	s_load_dwordx8 s[8:15], s[4:5], 0x30
	s_load_dwordx2 s[2:3], s[4:5], 0x58
	s_load_dword s23, s[4:5], 0x50
	s_waitcnt lgkmcnt(0)
	s_mul_i32 s0, s20, s22
	s_mul_hi_u32 s1, s20, s7
	s_mul_i32 s21, s21, s7
	s_add_i32 s0, s1, s0
	s_add_i32 s31, s0, s21
	s_lshr_b32 s0, s7, 31
	s_mul_i32 s30, s20, s7
	s_add_i32 s7, s7, s0
	s_ashr_i32 s20, s7, 1
	s_mul_i32 s7, s20, s23
	v_cmp_gt_i32_e32 vcc, s7, v0
	s_and_saveexec_b64 s[0:1], vcc
	s_cbranch_execz .LBB59_4
; %bb.2:
	s_lshl_b64 s[22:23], s[30:31], 1
	s_add_u32 s24, s28, s22
	s_addc_u32 s38, s29, s23
	s_load_dwordx2 s[22:23], s[4:5], 0x8
	s_load_dword s34, s[4:5], 0x8c
	s_mul_i32 s9, s6, s9
	s_mul_hi_u32 s25, s6, s8
	s_add_i32 s9, s25, s9
	s_mul_i32 s8, s6, s8
	s_ashr_i32 s21, s20, 31
	s_lshl_b64 s[8:9], s[8:9], 2
	s_waitcnt lgkmcnt(0)
	s_add_u32 s25, s22, s8
	s_addc_u32 s39, s23, s9
	s_abs_i32 s33, s20
	v_cvt_f32_u32_e32 v2, s33
	s_sub_i32 s8, 0, s33
	s_and_b32 s34, s34, 0xffff
	s_lshl_b64 s[22:23], s[20:21], 1
	v_rcp_iflag_f32_e32 v2, v2
	s_sub_i32 s35, 0, s20
	s_lshl_b32 s37, s34, 1
	v_mov_b32_e32 v5, s38
	v_mul_f32_e32 v2, 0x4f7ffffe, v2
	v_cvt_u32_f32_e32 v2, v2
	v_mov_b32_e32 v6, s23
	v_mov_b32_e32 v7, s39
	v_mov_b32_e32 v4, v0
	v_mul_lo_u32 v3, s8, v2
	v_mul_hi_u32 v3, v2, v3
	s_lshl_b32 s8, s20, 1
	v_add_u32_e32 v3, v2, v3
	s_sub_i32 s36, 0, s8
	s_mov_b64 s[8:9], 0
	v_mov_b32_e32 v2, v1
.LBB59_3:                               ; =>This Inner Loop Header: Depth=1
	v_sub_u32_e32 v9, 0, v4
	v_max_i32_e32 v9, v4, v9
	v_mul_hi_u32 v10, v9, v3
	v_mul_lo_u32 v11, v10, s33
	v_sub_u32_e32 v9, v9, v11
	v_add_u32_e32 v12, 1, v10
	v_cmp_le_u32_e32 vcc, s33, v9
	v_subrev_u32_e32 v11, s33, v9
	v_cndmask_b32_e32 v10, v10, v12, vcc
	v_cndmask_b32_e32 v9, v9, v11, vcc
	v_ashrrev_i32_e32 v8, 31, v4
	v_add_u32_e32 v11, 1, v10
	v_cmp_le_u32_e32 vcc, s33, v9
	v_xor_b32_e32 v8, s21, v8
	v_cndmask_b32_e32 v9, v10, v11, vcc
	v_xor_b32_e32 v9, v9, v8
	v_sub_u32_e32 v12, v9, v8
	v_mad_u64_u32 v[8:9], s[38:39], s35, v12, v[4:5]
	v_ashrrev_i32_e32 v9, 31, v8
	v_lshlrev_b64 v[8:9], 1, v[8:9]
	v_ashrrev_i32_e32 v14, 31, v12
	v_add_co_u32_e32 v8, vcc, s24, v8
	v_mul_lo_u32 v15, v12, s11
	v_mad_u64_u32 v[10:11], s[38:39], v12, s10, 0
	v_mul_lo_u32 v14, v14, s10
	v_addc_co_u32_e32 v9, vcc, v5, v9, vcc
	v_add3_u32 v11, v11, v15, v14
	v_add_co_u32_e32 v14, vcc, s22, v8
	v_mad_u64_u32 v[12:13], s[38:39], s36, v12, v[2:3]
	v_lshlrev_b64 v[10:11], 2, v[10:11]
	v_addc_co_u32_e32 v15, vcc, v9, v6, vcc
	v_ashrrev_i32_e32 v13, 31, v12
	v_add_co_u32_e32 v10, vcc, s25, v10
	v_lshlrev_b64 v[12:13], 2, v[12:13]
	v_addc_co_u32_e32 v11, vcc, v7, v11, vcc
	global_load_ushort v16, v[8:9], off
	global_load_ushort v17, v[14:15], off
	v_add_co_u32_e32 v8, vcc, v10, v12
	v_addc_co_u32_e32 v9, vcc, v11, v13, vcc
	global_load_dwordx2 v[10:11], v[8:9], off
	v_add_u32_e32 v4, s34, v4
	v_cmp_le_i32_e32 vcc, s7, v4
	v_add_u32_e32 v2, s37, v2
	s_or_b64 s[8:9], vcc, s[8:9]
	s_waitcnt vmcnt(2)
	v_lshlrev_b32_e32 v14, 16, v16
	s_waitcnt vmcnt(1)
	v_lshlrev_b32_e32 v12, 16, v17
	s_waitcnt vmcnt(0)
	v_mul_f32_e32 v15, v11, v12
	v_mul_f32_e32 v13, v10, v12
	v_fma_f32 v12, v10, v14, -v15
	v_fmac_f32_e32 v13, v11, v14
	global_store_dwordx2 v[8:9], v[12:13], off
	s_andn2_b64 exec, exec, s[8:9]
	s_cbranch_execnz .LBB59_3
.LBB59_4:
	s_or_b64 exec, exec, s[0:1]
	s_load_dwordx4 s[8:11], s[4:5], 0x68
	s_waitcnt lgkmcnt(0)
	s_ashr_i32 s35, s11, 31
	s_mov_b32 s34, s11
	s_or_b64 s[0:1], s[26:27], s[34:35]
	s_mov_b32 s0, 0
	s_cmp_lg_u64 s[0:1], 0
	s_cbranch_scc0 .LBB59_62
; %bb.5:
	s_add_u32 s0, s34, s35
	s_mov_b32 s22, s35
	s_mov_b32 s23, s35
	s_addc_u32 s1, s35, s35
	s_xor_b64 s[36:37], s[0:1], s[22:23]
	v_cvt_f32_u32_e32 v2, s36
	v_cvt_f32_u32_e32 v3, s37
	s_sub_u32 s0, 0, s36
	s_subb_u32 s1, 0, s37
	v_madmk_f32 v2, v3, 0x4f800000, v2
	v_rcp_f32_e32 v2, v2
	v_mul_f32_e32 v2, 0x5f7ffffc, v2
	v_mul_f32_e32 v3, 0x2f800000, v2
	v_trunc_f32_e32 v3, v3
	v_madmk_f32 v2, v3, 0xcf800000, v2
	v_cvt_u32_f32_e32 v3, v3
	v_cvt_u32_f32_e32 v2, v2
	v_readfirstlane_b32 s7, v3
	v_readfirstlane_b32 s11, v2
	s_mul_i32 s21, s0, s7
	s_mul_hi_u32 s38, s0, s11
	s_mul_i32 s33, s1, s11
	s_add_i32 s21, s38, s21
	s_add_i32 s21, s21, s33
	s_mul_i32 s39, s0, s11
	s_mul_hi_u32 s33, s11, s21
	s_mul_i32 s38, s11, s21
	s_mul_hi_u32 s11, s11, s39
	s_add_u32 s11, s11, s38
	s_addc_u32 s33, 0, s33
	s_mul_hi_u32 s40, s7, s39
	s_mul_i32 s39, s7, s39
	s_add_u32 s11, s11, s39
	s_mul_hi_u32 s38, s7, s21
	s_addc_u32 s11, s33, s40
	s_addc_u32 s33, s38, 0
	s_mul_i32 s21, s7, s21
	s_add_u32 s11, s11, s21
	s_addc_u32 s21, 0, s33
	v_add_co_u32_e32 v2, vcc, s11, v2
	s_cmp_lg_u64 vcc, 0
	s_addc_u32 s7, s7, s21
	v_readfirstlane_b32 s21, v2
	s_mul_i32 s11, s0, s7
	s_mul_hi_u32 s33, s0, s21
	s_add_i32 s11, s33, s11
	s_mul_i32 s1, s1, s21
	s_add_i32 s11, s11, s1
	s_mul_i32 s0, s0, s21
	s_mul_hi_u32 s33, s7, s0
	s_mul_i32 s38, s7, s0
	s_mul_i32 s40, s21, s11
	s_mul_hi_u32 s0, s21, s0
	s_mul_hi_u32 s39, s21, s11
	s_add_u32 s0, s0, s40
	s_addc_u32 s21, 0, s39
	s_add_u32 s0, s0, s38
	s_mul_hi_u32 s1, s7, s11
	s_addc_u32 s0, s21, s33
	s_addc_u32 s1, s1, 0
	s_mul_i32 s11, s7, s11
	s_add_u32 s0, s0, s11
	s_addc_u32 s1, 0, s1
	v_add_co_u32_e32 v2, vcc, s0, v2
	s_cmp_lg_u64 vcc, 0
	s_addc_u32 s7, s7, s1
	s_ashr_i32 s38, s27, 31
	s_add_u32 s0, s26, s38
	s_mov_b32 s39, s38
	s_addc_u32 s1, s27, s38
	s_xor_b64 s[40:41], s[0:1], s[38:39]
	v_readfirstlane_b32 s11, v2
	s_mul_i32 s1, s40, s7
	s_mul_hi_u32 s21, s40, s11
	s_mul_hi_u32 s0, s40, s7
	s_add_u32 s1, s21, s1
	s_addc_u32 s0, 0, s0
	s_mul_hi_u32 s33, s41, s11
	s_mul_i32 s11, s41, s11
	s_add_u32 s1, s1, s11
	s_mul_hi_u32 s21, s41, s7
	s_addc_u32 s0, s0, s33
	s_addc_u32 s1, s21, 0
	s_mul_i32 s7, s41, s7
	s_add_u32 s7, s0, s7
	s_addc_u32 s11, 0, s1
	s_mul_i32 s0, s36, s11
	s_mul_hi_u32 s1, s36, s7
	s_add_i32 s0, s1, s0
	s_mul_i32 s1, s37, s7
	s_add_i32 s21, s0, s1
	s_mul_i32 s1, s36, s7
	v_mov_b32_e32 v2, s1
	s_sub_i32 s0, s41, s21
	v_sub_co_u32_e32 v2, vcc, s40, v2
	s_cmp_lg_u64 vcc, 0
	s_subb_u32 s33, s0, s37
	v_subrev_co_u32_e64 v3, s[0:1], s36, v2
	s_cmp_lg_u64 s[0:1], 0
	s_subb_u32 s0, s33, 0
	s_cmp_ge_u32 s0, s37
	v_readfirstlane_b32 s33, v3
	s_cselect_b32 s1, -1, 0
	s_cmp_ge_u32 s33, s36
	s_cselect_b32 s33, -1, 0
	s_cmp_eq_u32 s0, s37
	s_cselect_b32 s0, s33, s1
	s_add_u32 s1, s7, 1
	s_addc_u32 s33, s11, 0
	s_add_u32 s40, s7, 2
	s_addc_u32 s42, s11, 0
	s_cmp_lg_u32 s0, 0
	s_cselect_b32 s0, s40, s1
	s_cselect_b32 s1, s42, s33
	s_cmp_lg_u64 vcc, 0
	s_subb_u32 s21, s41, s21
	s_cmp_ge_u32 s21, s37
	v_readfirstlane_b32 s40, v2
	s_cselect_b32 s33, -1, 0
	s_cmp_ge_u32 s40, s36
	s_cselect_b32 s36, -1, 0
	s_cmp_eq_u32 s21, s37
	s_cselect_b32 s21, s36, s33
	s_cmp_lg_u32 s21, 0
	s_cselect_b32 s1, s1, s11
	s_cselect_b32 s0, s0, s7
	s_xor_b64 s[22:23], s[38:39], s[22:23]
	s_xor_b64 s[0:1], s[0:1], s[22:23]
	s_sub_u32 s22, s0, s22
	s_subb_u32 s23, s1, s23
	s_cbranch_execnz .LBB59_7
.LBB59_6:
	v_cvt_f32_u32_e32 v2, s34
	s_sub_i32 s0, 0, s34
	s_mov_b32 s23, 0
	v_rcp_iflag_f32_e32 v2, v2
	v_mul_f32_e32 v2, 0x4f7ffffe, v2
	v_cvt_u32_f32_e32 v2, v2
	v_readfirstlane_b32 s1, v2
	s_mul_i32 s0, s0, s1
	s_mul_hi_u32 s0, s1, s0
	s_add_i32 s1, s1, s0
	s_mul_hi_u32 s0, s26, s1
	s_mul_i32 s7, s0, s34
	s_sub_i32 s7, s26, s7
	s_add_i32 s1, s0, 1
	s_sub_i32 s11, s7, s34
	s_cmp_ge_u32 s7, s34
	s_cselect_b32 s0, s1, s0
	s_cselect_b32 s7, s11, s7
	s_add_i32 s1, s0, 1
	s_cmp_ge_u32 s7, s34
	s_cselect_b32 s22, s1, s0
.LBB59_7:
	s_mul_i32 s0, s22, s35
	s_mul_hi_u32 s1, s22, s34
	s_load_dwordx2 s[24:25], s[4:5], 0x78
	s_add_i32 s0, s1, s0
	s_mul_i32 s1, s23, s34
	s_add_i32 s0, s0, s1
	s_mul_i32 s1, s22, s34
	s_sub_u32 s7, s26, s1
	s_subb_u32 s11, s27, s0
	v_cmp_gt_i32_e32 vcc, s20, v0
	s_mul_hi_u32 s42, s22, s8
	s_mul_i32 s43, s23, s8
	s_mul_i32 s44, s22, s8
	s_mul_hi_u32 s33, s7, s9
	s_mul_i32 s11, s11, s9
	s_mul_i32 s23, s7, s9
	s_and_saveexec_b64 s[26:27], vcc
	s_cbranch_execz .LBB59_42
; %bb.8:
	s_ashr_i32 s0, s8, 31
	s_mul_i32 s0, s22, s0
	s_load_dword s1, s[4:5], 0x8c
	s_add_i32 s0, s42, s0
	s_add_i32 s34, s0, s43
	s_ashr_i32 s0, s9, 31
	s_mul_i32 s0, s7, s0
	s_add_i32 s0, s33, s0
	s_ashr_i32 s21, s20, 31
	s_add_i32 s35, s0, s11
	s_ashr_i32 s36, s10, 31
	s_waitcnt lgkmcnt(0)
	s_and_b32 s46, s1, 0xffff
	s_lshl_b64 s[0:1], s[30:31], 1
	s_add_u32 s0, s28, s0
	s_addc_u32 s1, s29, s1
	v_mov_b32_e32 v3, s1
	v_add_co_u32_e32 v2, vcc, s0, v1
	s_mul_i32 s0, s13, s6
	s_mul_hi_u32 s1, s12, s6
	s_add_i32 s1, s1, s0
	s_mul_i32 s0, s12, s6
	s_lshl_b32 s48, s46, 1
	s_lshl_b64 s[28:29], s[20:21], 1
	s_lshl_b64 s[0:1], s[0:1], 2
	s_add_u32 s0, s16, s0
	v_addc_co_u32_e32 v3, vcc, 0, v3, vcc
	v_lshlrev_b32_e32 v4, 3, v0
	s_addc_u32 s1, s17, s1
	s_lshl_b32 s21, s46, 3
	v_add_co_u32_e32 v4, vcc, s0, v4
	s_add_u32 s0, s44, s23
	v_mov_b32_e32 v5, s1
	s_addc_u32 s1, s34, s35
	s_add_u32 s12, s2, s10
	v_addc_co_u32_e32 v5, vcc, 0, v5, vcc
	s_addc_u32 s13, s3, s36
	v_add_co_u32_e32 v4, vcc, 4, v4
	s_add_u32 s0, s12, s0
	s_load_dword s45, s[24:25], 0x0
	v_addc_co_u32_e32 v5, vcc, 0, v5, vcc
	s_addc_u32 s1, s13, s1
	v_mov_b32_e32 v6, s1
	v_add_co_u32_e32 v1, vcc, s0, v1
	v_addc_co_u32_e32 v7, vcc, 0, v6, vcc
	s_mov_b32 s47, 0
	v_add_co_u32_e32 v6, vcc, 1, v1
	s_mov_b32 s49, s47
	v_addc_co_u32_e32 v7, vcc, 0, v7, vcc
	s_mov_b64 s[12:13], 0
	v_mov_b32_e32 v1, s29
	v_mov_b32_e32 v9, 0
	s_movk_i32 s29, 0x80
	s_mov_b64 s[16:17], 0x7f800000
	s_mov_b64 s[30:31], 0x43e00001
	s_movk_i32 s50, 0x7a
	s_mov_b64 s[34:35], 0xffffff
	s_movk_i32 s51, 0x7f
	v_mov_b32_e32 v14, 0xffffff82
	v_mov_b32_e32 v15, 0x78
	;; [unrolled: 1-line block ×3, first 2 shown]
	s_branch .LBB59_10
.LBB59_9:                               ;   in Loop: Header=BB59_10 Depth=1
	s_or_b64 exec, exec, s[0:1]
	v_mov_b32_e32 v8, s47
	v_add_co_u32_e32 v2, vcc, s48, v2
	v_addc_co_u32_e32 v3, vcc, v3, v8, vcc
	v_mov_b32_e32 v10, s49
	v_add_co_u32_e32 v4, vcc, s21, v4
	v_add_u32_e32 v16, s46, v16
	v_addc_co_u32_e32 v5, vcc, v5, v10, vcc
	v_cmp_le_i32_e32 vcc, s20, v16
	global_store_byte v[6:7], v11, off
	s_or_b64 s[12:13], vcc, s[12:13]
	v_add_co_u32_e32 v6, vcc, s48, v6
	v_addc_co_u32_e32 v7, vcc, v7, v8, vcc
	s_andn2_b64 exec, exec, s[12:13]
	s_cbranch_execz .LBB59_42
.LBB59_10:                              ; =>This Inner Loop Header: Depth=1
	v_add_co_u32_e32 v10, vcc, s28, v2
	v_addc_co_u32_e32 v11, vcc, v3, v1, vcc
	global_load_ushort v8, v[2:3], off
	global_load_dwordx2 v[12:13], v[4:5], off offset:-4
	global_load_ushort v17, v[10:11], off
	v_mov_b32_e32 v19, v9
	s_waitcnt vmcnt(2)
	v_lshlrev_b32_e32 v10, 16, v8
	s_waitcnt vmcnt(1)
	v_mov_b32_e32 v8, v13
	s_waitcnt vmcnt(0)
	v_lshlrev_b32_e32 v11, 16, v17
	v_pk_mul_f32 v[20:21], v[12:13], v[10:11]
	v_mov_b32_e32 v18, v11
	v_mov_b32_e32 v20, v21
	v_pk_mul_f32 v[22:23], v[12:13], v[18:19] op_sel_hi:[1,0]
	v_pk_fma_f32 v[12:13], v[12:13], v[10:11], v[20:21] neg_lo:[0,0,1] neg_hi:[0,0,1]
	v_pk_fma_f32 v[10:11], v[8:9], v[10:11], v[22:23]
	s_waitcnt lgkmcnt(0)
	v_div_scale_f32 v8, s[0:1], s45, s45, v12
	v_rcp_f32_e32 v11, v8
	v_mov_b32_e32 v13, v10
	global_store_dwordx2 v[4:5], v[12:13], off offset:-4
	v_div_scale_f32 v17, vcc, v12, s45, v12
	v_fma_f32 v13, -v8, v11, 1.0
	v_fmac_f32_e32 v11, v13, v11
	v_mul_f32_e32 v13, v17, v11
	v_fma_f32 v18, -v8, v13, v17
	v_fmac_f32_e32 v13, v18, v11
	v_fma_f32 v8, -v8, v13, v17
	v_div_fmas_f32 v8, v8, v11, v13
	v_div_fixup_f32 v12, v8, s45, v12
	v_and_b32_sdwa v11, v12, s29 dst_sel:DWORD dst_unused:UNUSED_PAD src0_sel:BYTE_3 src1_sel:DWORD
	v_and_b32_e32 v18, 0x7f800000, v12
	v_and_b32_e32 v8, 0x7fffff, v12
	v_or_b32_e32 v13, 0x7e, v11
	v_cmp_ne_u64_e32 vcc, s[16:17], v[18:19]
	s_and_saveexec_b64 s[0:1], vcc
	s_xor_b64 s[36:37], exec, s[0:1]
	s_cbranch_execz .LBB59_24
; %bb.11:                               ;   in Loop: Header=BB59_10 Depth=1
	v_and_b32_e32 v18, 0x7fffffff, v12
	v_mov_b32_e32 v19, v9
	v_cmp_gt_u64_e32 vcc, s[30:31], v[18:19]
	s_and_saveexec_b64 s[0:1], vcc
	s_xor_b64 s[38:39], exec, s[0:1]
	s_cbranch_execz .LBB59_23
; %bb.12:                               ;   in Loop: Header=BB59_10 Depth=1
	v_cmp_ne_u32_e32 vcc, 0, v12
	v_mov_b32_e32 v13, 0
	s_and_saveexec_b64 s[40:41], vcc
	s_cbranch_execz .LBB59_22
; %bb.13:                               ;   in Loop: Header=BB59_10 Depth=1
	v_bfe_u32 v12, v12, 23, 8
	v_sub_u32_e32 v17, 0x79, v12
	v_cmp_gt_u32_e32 vcc, s50, v12
	v_cndmask_b32_e32 v17, 0, v17, vcc
	v_cmp_eq_u32_e32 vcc, 0, v12
	v_cndmask_b32_e32 v17, v17, v15, vcc
	v_add_u32_e32 v13, 0xffffff81, v12
	v_or_b32_e32 v18, 0x800000, v8
	v_add_u32_e32 v12, 20, v17
	v_cndmask_b32_e32 v19, v13, v14, vcc
	v_cndmask_b32_e32 v8, v18, v8, vcc
	v_lshlrev_b64 v[12:13], v12, -1
	v_not_b32_e32 v12, v12
	v_lshrrev_b64 v[22:23], v17, v[8:9]
	v_not_b32_e32 v13, v13
	v_and_b32_e32 v12, v8, v12
	v_add_u32_e32 v18, 19, v17
	v_lshrrev_b32_e32 v8, 23, v22
	v_and_b32_e32 v13, 0, v13
	v_lshlrev_b64 v[20:21], v18, 1
	v_add3_u32 v18, v17, v19, v8
	v_bfe_u32 v8, v22, 20, 1
	v_add_u32_e32 v8, -1, v8
	v_cmp_eq_u64_e32 vcc, v[12:13], v[20:21]
	v_cndmask_b32_e32 v8, 0, v8, vcc
	v_add_u32_e32 v8, v8, v22
	v_and_b32_e32 v8, 0xfffff, v8
	v_add_co_u32_e32 v12, vcc, v8, v22
	v_add_u32_e32 v17, 6, v18
	v_addc_co_u32_e32 v13, vcc, 0, v23, vcc
	v_cmp_ne_u32_e32 vcc, 0, v17
                                        ; implicit-def: $vgpr8
	s_and_saveexec_b64 s[0:1], vcc
	s_xor_b64 s[0:1], exec, s[0:1]
; %bb.14:                               ;   in Loop: Header=BB59_10 Depth=1
	v_add_u32_e32 v8, 7, v18
	v_cmp_lt_u64_e32 vcc, s[34:35], v[12:13]
	v_cndmask_b32_e32 v8, v17, v8, vcc
	v_cndmask_b32_e64 v17, 0, 1, vcc
	v_lshrrev_b64 v[12:13], v17, v[12:13]
; %bb.15:                               ;   in Loop: Header=BB59_10 Depth=1
	s_andn2_saveexec_b64 s[0:1], s[0:1]
; %bb.16:                               ;   in Loop: Header=BB59_10 Depth=1
	v_bfe_u32 v8, v12, 23, 1
; %bb.17:                               ;   in Loop: Header=BB59_10 Depth=1
	s_or_b64 exec, exec, s[0:1]
	v_lshrrev_b64 v[12:13], 20, v[12:13]
	v_cmp_gt_i32_e32 vcc, 16, v8
	v_cndmask_b32_e32 v13, 0, v13, vcc
	v_cndmask_b32_e32 v12, 7, v12, vcc
	v_cmp_ne_u32_e32 vcc, 0, v8
	v_cmp_ne_u64_e64 s[0:1], 0, v[12:13]
	s_or_b64 s[0:1], vcc, s[0:1]
                                        ; implicit-def: $vgpr13
	s_and_saveexec_b64 s[52:53], s[0:1]
	s_xor_b64 s[0:1], exec, s[52:53]
; %bb.18:                               ;   in Loop: Header=BB59_10 Depth=1
	v_min_i32_e32 v8, 15, v8
	v_lshl_or_b32 v8, v8, 3, v11
	v_and_or_b32 v13, v12, 7, v8
                                        ; implicit-def: $vgpr11
; %bb.19:                               ;   in Loop: Header=BB59_10 Depth=1
	s_andn2_saveexec_b64 s[0:1], s[0:1]
; %bb.20:                               ;   in Loop: Header=BB59_10 Depth=1
	v_mov_b32_e32 v13, v11
; %bb.21:                               ;   in Loop: Header=BB59_10 Depth=1
	s_or_b64 exec, exec, s[0:1]
.LBB59_22:                              ;   in Loop: Header=BB59_10 Depth=1
	s_or_b64 exec, exec, s[40:41]
.LBB59_23:                              ;   in Loop: Header=BB59_10 Depth=1
	s_andn2_saveexec_b64 s[0:1], s[38:39]
	s_or_b64 exec, exec, s[0:1]
                                        ; implicit-def: $vgpr12
.LBB59_24:                              ;   in Loop: Header=BB59_10 Depth=1
	s_andn2_saveexec_b64 s[0:1], s[36:37]
; %bb.25:                               ;   in Loop: Header=BB59_10 Depth=1
	v_or_b32_sdwa v11, v12, s51 dst_sel:DWORD dst_unused:UNUSED_PAD src0_sel:BYTE_3 src1_sel:DWORD
	v_cmp_eq_u64_e32 vcc, 0, v[8:9]
	v_cndmask_b32_e32 v13, v11, v13, vcc
; %bb.26:                               ;   in Loop: Header=BB59_10 Depth=1
	s_or_b64 exec, exec, s[0:1]
	v_div_scale_f32 v8, s[0:1], s45, s45, v10
	v_rcp_f32_e32 v11, v8
	global_store_byte v[6:7], v13, off offset:-1
	v_mov_b32_e32 v19, v9
	v_fma_f32 v12, -v8, v11, 1.0
	v_fmac_f32_e32 v11, v12, v11
	v_div_scale_f32 v12, vcc, v10, s45, v10
	v_mul_f32_e32 v13, v12, v11
	v_fma_f32 v17, -v8, v13, v12
	v_fmac_f32_e32 v13, v17, v11
	v_fma_f32 v8, -v8, v13, v12
	v_div_fmas_f32 v8, v8, v11, v13
	v_div_fixup_f32 v10, v8, s45, v10
	v_and_b32_sdwa v12, v10, s29 dst_sel:DWORD dst_unused:UNUSED_PAD src0_sel:BYTE_3 src1_sel:DWORD
	v_and_b32_e32 v18, 0x7f800000, v10
	v_and_b32_e32 v8, 0x7fffff, v10
	v_or_b32_e32 v11, 0x7e, v12
	v_cmp_ne_u64_e32 vcc, s[16:17], v[18:19]
	s_and_saveexec_b64 s[0:1], vcc
	s_xor_b64 s[36:37], exec, s[0:1]
	s_cbranch_execz .LBB59_40
; %bb.27:                               ;   in Loop: Header=BB59_10 Depth=1
	v_and_b32_e32 v18, 0x7fffffff, v10
	v_mov_b32_e32 v19, v9
	v_cmp_gt_u64_e32 vcc, s[30:31], v[18:19]
	s_and_saveexec_b64 s[0:1], vcc
	s_xor_b64 s[38:39], exec, s[0:1]
	s_cbranch_execz .LBB59_39
; %bb.28:                               ;   in Loop: Header=BB59_10 Depth=1
	v_cmp_ne_u32_e32 vcc, 0, v10
	v_mov_b32_e32 v11, 0
	s_and_saveexec_b64 s[40:41], vcc
	s_cbranch_execz .LBB59_38
; %bb.29:                               ;   in Loop: Header=BB59_10 Depth=1
	v_bfe_u32 v10, v10, 23, 8
	v_sub_u32_e32 v13, 0x79, v10
	v_cmp_gt_u32_e32 vcc, s50, v10
	v_cndmask_b32_e32 v13, 0, v13, vcc
	v_cmp_eq_u32_e32 vcc, 0, v10
	v_cndmask_b32_e32 v13, v13, v15, vcc
	v_add_u32_e32 v11, 0xffffff81, v10
	v_or_b32_e32 v17, 0x800000, v8
	v_add_u32_e32 v10, 20, v13
	v_cndmask_b32_e32 v22, v11, v14, vcc
	v_cndmask_b32_e32 v8, v17, v8, vcc
	v_lshlrev_b64 v[10:11], v10, -1
	v_not_b32_e32 v10, v10
	v_lshrrev_b64 v[20:21], v13, v[8:9]
	v_not_b32_e32 v11, v11
	v_and_b32_e32 v10, v8, v10
	v_add_u32_e32 v17, 19, v13
	v_lshrrev_b32_e32 v8, 23, v20
	v_and_b32_e32 v11, 0, v11
	v_lshlrev_b64 v[18:19], v17, 1
	v_add3_u32 v17, v13, v22, v8
	v_bfe_u32 v8, v20, 20, 1
	v_add_u32_e32 v8, -1, v8
	v_cmp_eq_u64_e32 vcc, v[10:11], v[18:19]
	v_cndmask_b32_e32 v8, 0, v8, vcc
	v_add_u32_e32 v8, v8, v20
	v_and_b32_e32 v8, 0xfffff, v8
	v_add_co_u32_e32 v10, vcc, v8, v20
	v_add_u32_e32 v13, 6, v17
	v_addc_co_u32_e32 v11, vcc, 0, v21, vcc
	v_cmp_ne_u32_e32 vcc, 0, v13
                                        ; implicit-def: $vgpr8
	s_and_saveexec_b64 s[0:1], vcc
	s_xor_b64 s[0:1], exec, s[0:1]
; %bb.30:                               ;   in Loop: Header=BB59_10 Depth=1
	v_add_u32_e32 v8, 7, v17
	v_cmp_lt_u64_e32 vcc, s[34:35], v[10:11]
	v_cndmask_b32_e32 v8, v13, v8, vcc
	v_cndmask_b32_e64 v13, 0, 1, vcc
	v_lshrrev_b64 v[10:11], v13, v[10:11]
; %bb.31:                               ;   in Loop: Header=BB59_10 Depth=1
	s_andn2_saveexec_b64 s[0:1], s[0:1]
; %bb.32:                               ;   in Loop: Header=BB59_10 Depth=1
	v_bfe_u32 v8, v10, 23, 1
; %bb.33:                               ;   in Loop: Header=BB59_10 Depth=1
	s_or_b64 exec, exec, s[0:1]
	v_lshrrev_b64 v[10:11], 20, v[10:11]
	v_cmp_gt_i32_e32 vcc, 16, v8
	v_cndmask_b32_e32 v11, 0, v11, vcc
	v_cndmask_b32_e32 v10, 7, v10, vcc
	v_cmp_ne_u32_e32 vcc, 0, v8
	v_cmp_ne_u64_e64 s[0:1], 0, v[10:11]
	s_or_b64 s[0:1], vcc, s[0:1]
                                        ; implicit-def: $vgpr11
	s_and_saveexec_b64 s[52:53], s[0:1]
	s_xor_b64 s[0:1], exec, s[52:53]
; %bb.34:                               ;   in Loop: Header=BB59_10 Depth=1
	v_min_i32_e32 v8, 15, v8
	v_lshl_or_b32 v8, v8, 3, v12
	v_and_or_b32 v11, v10, 7, v8
                                        ; implicit-def: $vgpr12
; %bb.35:                               ;   in Loop: Header=BB59_10 Depth=1
	s_andn2_saveexec_b64 s[0:1], s[0:1]
; %bb.36:                               ;   in Loop: Header=BB59_10 Depth=1
	v_mov_b32_e32 v11, v12
; %bb.37:                               ;   in Loop: Header=BB59_10 Depth=1
	s_or_b64 exec, exec, s[0:1]
.LBB59_38:                              ;   in Loop: Header=BB59_10 Depth=1
	s_or_b64 exec, exec, s[40:41]
.LBB59_39:                              ;   in Loop: Header=BB59_10 Depth=1
	s_andn2_saveexec_b64 s[0:1], s[38:39]
	s_or_b64 exec, exec, s[0:1]
                                        ; implicit-def: $vgpr10
.LBB59_40:                              ;   in Loop: Header=BB59_10 Depth=1
	s_andn2_saveexec_b64 s[0:1], s[36:37]
	s_cbranch_execz .LBB59_9
; %bb.41:                               ;   in Loop: Header=BB59_10 Depth=1
	v_or_b32_sdwa v10, v10, s51 dst_sel:DWORD dst_unused:UNUSED_PAD src0_sel:BYTE_3 src1_sel:DWORD
	v_cmp_eq_u64_e32 vcc, 0, v[8:9]
	v_cndmask_b32_e32 v11, v10, v11, vcc
	s_branch .LBB59_9
.LBB59_42:
	s_or_b64 exec, exec, s[26:27]
	v_cmp_gt_i32_e32 vcc, s10, v0
	s_and_saveexec_b64 s[0:1], vcc
	s_cbranch_execz .LBB59_61
; %bb.43:
	s_mul_i32 s0, s6, s15
	s_mul_hi_u32 s1, s6, s14
	s_add_i32 s1, s1, s0
	s_mul_i32 s0, s6, s14
	s_lshl_b64 s[0:1], s[0:1], 2
	s_add_u32 s18, s18, s0
	s_addc_u32 s0, s19, s1
	s_ashr_i32 s1, s8, 31
	s_mul_i32 s1, s22, s1
	s_add_i32 s1, s42, s1
	s_add_i32 s1, s1, s43
	s_add_u32 s2, s2, s44
	s_addc_u32 s1, s3, s1
	s_ashr_i32 s3, s9, 31
	s_load_dword s4, s[4:5], 0x8c
	s_mul_i32 s7, s7, s3
	s_waitcnt lgkmcnt(0)
	s_load_dword s20, s[24:25], 0x0
	s_add_i32 s3, s33, s7
	s_add_i32 s3, s3, s11
	s_add_u32 s11, s2, s23
	s_addc_u32 s19, s1, s3
	s_and_b32 s21, s4, 0xffff
	s_mov_b64 s[2:3], 0
	v_mov_b32_e32 v6, s0
	v_mov_b32_e32 v3, 0
	s_movk_i32 s22, 0x80
	s_mov_b64 s[4:5], 0x7f800000
	s_mov_b64 s[6:7], 0x43e00001
	s_movk_i32 s23, 0x7a
	s_mov_b64 s[8:9], 0xffffff
	s_movk_i32 s24, 0x7f
	v_mov_b32_e32 v7, 0xffffff82
	v_mov_b32_e32 v8, 0x78
	s_branch .LBB59_45
.LBB59_44:                              ;   in Loop: Header=BB59_45 Depth=1
	s_or_b64 exec, exec, s[0:1]
	v_mov_b32_e32 v2, s19
	v_add_co_u32_e32 v10, vcc, s11, v0
	v_addc_co_u32_e32 v11, vcc, v2, v1, vcc
	v_add_u32_e32 v0, s21, v0
	v_cmp_le_i32_e32 vcc, s10, v0
	s_or_b64 s[2:3], vcc, s[2:3]
	global_store_byte v[10:11], v5, off
	s_andn2_b64 exec, exec, s[2:3]
	s_cbranch_execz .LBB59_61
.LBB59_45:                              ; =>This Inner Loop Header: Depth=1
	v_ashrrev_i32_e32 v1, 31, v0
	v_lshlrev_b64 v[4:5], 2, v[0:1]
	v_add_co_u32_e32 v4, vcc, s18, v4
	v_addc_co_u32_e32 v5, vcc, v6, v5, vcc
	global_load_dword v2, v[4:5], off
	v_mov_b32_e32 v11, v3
	s_waitcnt vmcnt(0) lgkmcnt(0)
	v_div_scale_f32 v4, s[0:1], s20, s20, v2
	v_rcp_f32_e32 v5, v4
	v_div_scale_f32 v9, vcc, v2, s20, v2
	v_fma_f32 v10, -v4, v5, 1.0
	v_fmac_f32_e32 v5, v10, v5
	v_mul_f32_e32 v10, v9, v5
	v_fma_f32 v12, -v4, v10, v9
	v_fmac_f32_e32 v10, v12, v5
	v_fma_f32 v4, -v4, v10, v9
	v_div_fmas_f32 v4, v4, v5, v10
	v_div_fixup_f32 v4, v4, s20, v2
	v_and_b32_sdwa v9, v4, s22 dst_sel:DWORD dst_unused:UNUSED_PAD src0_sel:BYTE_3 src1_sel:DWORD
	v_and_b32_e32 v10, 0x7f800000, v4
	v_and_b32_e32 v2, 0x7fffff, v4
	v_or_b32_e32 v5, 0x7e, v9
	v_cmp_ne_u64_e32 vcc, s[4:5], v[10:11]
	s_and_saveexec_b64 s[0:1], vcc
	s_xor_b64 s[12:13], exec, s[0:1]
	s_cbranch_execz .LBB59_59
; %bb.46:                               ;   in Loop: Header=BB59_45 Depth=1
	v_and_b32_e32 v10, 0x7fffffff, v4
	v_mov_b32_e32 v11, v3
	v_cmp_gt_u64_e32 vcc, s[6:7], v[10:11]
	s_and_saveexec_b64 s[0:1], vcc
	s_xor_b64 s[14:15], exec, s[0:1]
	s_cbranch_execz .LBB59_58
; %bb.47:                               ;   in Loop: Header=BB59_45 Depth=1
	v_cmp_ne_u32_e32 vcc, 0, v4
	v_mov_b32_e32 v5, 0
	s_and_saveexec_b64 s[16:17], vcc
	s_cbranch_execz .LBB59_57
; %bb.48:                               ;   in Loop: Header=BB59_45 Depth=1
	v_bfe_u32 v4, v4, 23, 8
	v_sub_u32_e32 v10, 0x79, v4
	v_cmp_gt_u32_e32 vcc, s23, v4
	v_cndmask_b32_e32 v10, 0, v10, vcc
	v_cmp_eq_u32_e32 vcc, 0, v4
	v_cndmask_b32_e32 v10, v10, v8, vcc
	v_add_u32_e32 v5, 0xffffff81, v4
	v_or_b32_e32 v11, 0x800000, v2
	v_add_u32_e32 v4, 20, v10
	v_cndmask_b32_e32 v16, v5, v7, vcc
	v_cndmask_b32_e32 v2, v11, v2, vcc
	v_lshlrev_b64 v[4:5], v4, -1
	v_not_b32_e32 v4, v4
	v_lshrrev_b64 v[14:15], v10, v[2:3]
	v_not_b32_e32 v5, v5
	v_and_b32_e32 v4, v2, v4
	v_add_u32_e32 v11, 19, v10
	v_lshrrev_b32_e32 v2, 23, v14
	v_and_b32_e32 v5, 0, v5
	v_lshlrev_b64 v[12:13], v11, 1
	v_add3_u32 v11, v10, v16, v2
	v_bfe_u32 v2, v14, 20, 1
	v_add_u32_e32 v2, -1, v2
	v_cmp_eq_u64_e32 vcc, v[4:5], v[12:13]
	v_cndmask_b32_e32 v2, 0, v2, vcc
	v_add_u32_e32 v2, v2, v14
	v_and_b32_e32 v2, 0xfffff, v2
	v_add_co_u32_e32 v4, vcc, v2, v14
	v_add_u32_e32 v10, 6, v11
	v_addc_co_u32_e32 v5, vcc, 0, v15, vcc
	v_cmp_ne_u32_e32 vcc, 0, v10
                                        ; implicit-def: $vgpr2
	s_and_saveexec_b64 s[0:1], vcc
	s_xor_b64 s[0:1], exec, s[0:1]
; %bb.49:                               ;   in Loop: Header=BB59_45 Depth=1
	v_add_u32_e32 v2, 7, v11
	v_cmp_lt_u64_e32 vcc, s[8:9], v[4:5]
	v_cndmask_b32_e32 v2, v10, v2, vcc
	v_cndmask_b32_e64 v10, 0, 1, vcc
	v_lshrrev_b64 v[4:5], v10, v[4:5]
; %bb.50:                               ;   in Loop: Header=BB59_45 Depth=1
	s_andn2_saveexec_b64 s[0:1], s[0:1]
; %bb.51:                               ;   in Loop: Header=BB59_45 Depth=1
	v_bfe_u32 v2, v4, 23, 1
; %bb.52:                               ;   in Loop: Header=BB59_45 Depth=1
	s_or_b64 exec, exec, s[0:1]
	v_lshrrev_b64 v[4:5], 20, v[4:5]
	v_cmp_gt_i32_e32 vcc, 16, v2
	v_cndmask_b32_e32 v5, 0, v5, vcc
	v_cndmask_b32_e32 v4, 7, v4, vcc
	v_cmp_ne_u32_e32 vcc, 0, v2
	v_cmp_ne_u64_e64 s[0:1], 0, v[4:5]
	s_or_b64 s[0:1], vcc, s[0:1]
                                        ; implicit-def: $vgpr5
	s_and_saveexec_b64 s[26:27], s[0:1]
	s_xor_b64 s[0:1], exec, s[26:27]
; %bb.53:                               ;   in Loop: Header=BB59_45 Depth=1
	v_min_i32_e32 v2, 15, v2
	v_lshl_or_b32 v2, v2, 3, v9
	v_and_or_b32 v5, v4, 7, v2
                                        ; implicit-def: $vgpr9
; %bb.54:                               ;   in Loop: Header=BB59_45 Depth=1
	s_andn2_saveexec_b64 s[0:1], s[0:1]
; %bb.55:                               ;   in Loop: Header=BB59_45 Depth=1
	v_mov_b32_e32 v5, v9
; %bb.56:                               ;   in Loop: Header=BB59_45 Depth=1
	s_or_b64 exec, exec, s[0:1]
.LBB59_57:                              ;   in Loop: Header=BB59_45 Depth=1
	s_or_b64 exec, exec, s[16:17]
.LBB59_58:                              ;   in Loop: Header=BB59_45 Depth=1
	s_andn2_saveexec_b64 s[0:1], s[14:15]
	s_or_b64 exec, exec, s[0:1]
                                        ; implicit-def: $vgpr4
.LBB59_59:                              ;   in Loop: Header=BB59_45 Depth=1
	s_andn2_saveexec_b64 s[0:1], s[12:13]
	s_cbranch_execz .LBB59_44
; %bb.60:                               ;   in Loop: Header=BB59_45 Depth=1
	v_or_b32_sdwa v4, v4, s24 dst_sel:DWORD dst_unused:UNUSED_PAD src0_sel:BYTE_3 src1_sel:DWORD
	v_cmp_eq_u64_e32 vcc, 0, v[2:3]
	v_cndmask_b32_e32 v5, v4, v5, vcc
	s_branch .LBB59_44
.LBB59_61:
	s_endpgm
.LBB59_62:
                                        ; implicit-def: $sgpr22_sgpr23
	s_branch .LBB59_6
	.section	.rodata,"a",@progbits
	.p2align	6, 0x0
	.amdhsa_kernel _ZN4vllm38concat_and_cache_mla_rope_fused_kernelIfN3c108BFloat16ELb0EfhLNS_18Fp8KVCacheDataTypeE1EEEvPKlPT_S7_PKS6_PKT0_illlliPT3_S5_iiiiPKf
		.amdhsa_group_segment_fixed_size 0
		.amdhsa_private_segment_fixed_size 0
		.amdhsa_kernarg_size 384
		.amdhsa_user_sgpr_count 6
		.amdhsa_user_sgpr_private_segment_buffer 1
		.amdhsa_user_sgpr_dispatch_ptr 0
		.amdhsa_user_sgpr_queue_ptr 0
		.amdhsa_user_sgpr_kernarg_segment_ptr 1
		.amdhsa_user_sgpr_dispatch_id 0
		.amdhsa_user_sgpr_flat_scratch_init 0
		.amdhsa_user_sgpr_kernarg_preload_length 0
		.amdhsa_user_sgpr_kernarg_preload_offset 0
		.amdhsa_user_sgpr_private_segment_size 0
		.amdhsa_uses_dynamic_stack 0
		.amdhsa_system_sgpr_private_segment_wavefront_offset 0
		.amdhsa_system_sgpr_workgroup_id_x 1
		.amdhsa_system_sgpr_workgroup_id_y 0
		.amdhsa_system_sgpr_workgroup_id_z 0
		.amdhsa_system_sgpr_workgroup_info 0
		.amdhsa_system_vgpr_workitem_id 0
		.amdhsa_next_free_vgpr 24
		.amdhsa_next_free_sgpr 54
		.amdhsa_accum_offset 24
		.amdhsa_reserve_vcc 1
		.amdhsa_reserve_flat_scratch 0
		.amdhsa_float_round_mode_32 0
		.amdhsa_float_round_mode_16_64 0
		.amdhsa_float_denorm_mode_32 3
		.amdhsa_float_denorm_mode_16_64 3
		.amdhsa_dx10_clamp 1
		.amdhsa_ieee_mode 1
		.amdhsa_fp16_overflow 0
		.amdhsa_tg_split 0
		.amdhsa_exception_fp_ieee_invalid_op 0
		.amdhsa_exception_fp_denorm_src 0
		.amdhsa_exception_fp_ieee_div_zero 0
		.amdhsa_exception_fp_ieee_overflow 0
		.amdhsa_exception_fp_ieee_underflow 0
		.amdhsa_exception_fp_ieee_inexact 0
		.amdhsa_exception_int_div_zero 0
	.end_amdhsa_kernel
	.section	.text._ZN4vllm38concat_and_cache_mla_rope_fused_kernelIfN3c108BFloat16ELb0EfhLNS_18Fp8KVCacheDataTypeE1EEEvPKlPT_S7_PKS6_PKT0_illlliPT3_S5_iiiiPKf,"axG",@progbits,_ZN4vllm38concat_and_cache_mla_rope_fused_kernelIfN3c108BFloat16ELb0EfhLNS_18Fp8KVCacheDataTypeE1EEEvPKlPT_S7_PKS6_PKT0_illlliPT3_S5_iiiiPKf,comdat
.Lfunc_end59:
	.size	_ZN4vllm38concat_and_cache_mla_rope_fused_kernelIfN3c108BFloat16ELb0EfhLNS_18Fp8KVCacheDataTypeE1EEEvPKlPT_S7_PKS6_PKT0_illlliPT3_S5_iiiiPKf, .Lfunc_end59-_ZN4vllm38concat_and_cache_mla_rope_fused_kernelIfN3c108BFloat16ELb0EfhLNS_18Fp8KVCacheDataTypeE1EEEvPKlPT_S7_PKS6_PKT0_illlliPT3_S5_iiiiPKf
                                        ; -- End function
	.section	.AMDGPU.csdata,"",@progbits
; Kernel info:
; codeLenInByte = 3636
; NumSgprs: 58
; NumVgprs: 24
; NumAgprs: 0
; TotalNumVgprs: 24
; ScratchSize: 0
; MemoryBound: 0
; FloatMode: 240
; IeeeMode: 1
; LDSByteSize: 0 bytes/workgroup (compile time only)
; SGPRBlocks: 7
; VGPRBlocks: 2
; NumSGPRsForWavesPerEU: 58
; NumVGPRsForWavesPerEU: 24
; AccumOffset: 24
; Occupancy: 8
; WaveLimiterHint : 1
; COMPUTE_PGM_RSRC2:SCRATCH_EN: 0
; COMPUTE_PGM_RSRC2:USER_SGPR: 6
; COMPUTE_PGM_RSRC2:TRAP_HANDLER: 0
; COMPUTE_PGM_RSRC2:TGID_X_EN: 1
; COMPUTE_PGM_RSRC2:TGID_Y_EN: 0
; COMPUTE_PGM_RSRC2:TGID_Z_EN: 0
; COMPUTE_PGM_RSRC2:TIDIG_COMP_CNT: 0
; COMPUTE_PGM_RSRC3_GFX90A:ACCUM_OFFSET: 5
; COMPUTE_PGM_RSRC3_GFX90A:TG_SPLIT: 0
	.section	.text._ZN4vllm38concat_and_cache_mla_rope_fused_kernelIN3c104HalfEfLb1EfhLNS_18Fp8KVCacheDataTypeE1EEEvPKlPT_S7_PKS6_PKT0_illlliPT3_S5_iiiiPKf,"axG",@progbits,_ZN4vllm38concat_and_cache_mla_rope_fused_kernelIN3c104HalfEfLb1EfhLNS_18Fp8KVCacheDataTypeE1EEEvPKlPT_S7_PKS6_PKT0_illlliPT3_S5_iiiiPKf,comdat
	.protected	_ZN4vllm38concat_and_cache_mla_rope_fused_kernelIN3c104HalfEfLb1EfhLNS_18Fp8KVCacheDataTypeE1EEEvPKlPT_S7_PKS6_PKT0_illlliPT3_S5_iiiiPKf ; -- Begin function _ZN4vllm38concat_and_cache_mla_rope_fused_kernelIN3c104HalfEfLb1EfhLNS_18Fp8KVCacheDataTypeE1EEEvPKlPT_S7_PKS6_PKT0_illlliPT3_S5_iiiiPKf
	.globl	_ZN4vllm38concat_and_cache_mla_rope_fused_kernelIN3c104HalfEfLb1EfhLNS_18Fp8KVCacheDataTypeE1EEEvPKlPT_S7_PKS6_PKT0_illlliPT3_S5_iiiiPKf
	.p2align	8
	.type	_ZN4vllm38concat_and_cache_mla_rope_fused_kernelIN3c104HalfEfLb1EfhLNS_18Fp8KVCacheDataTypeE1EEEvPKlPT_S7_PKS6_PKT0_illlliPT3_S5_iiiiPKf,@function
_ZN4vllm38concat_and_cache_mla_rope_fused_kernelIN3c104HalfEfLb1EfhLNS_18Fp8KVCacheDataTypeE1EEEvPKlPT_S7_PKS6_PKT0_illlliPT3_S5_iiiiPKf: ; @_ZN4vllm38concat_and_cache_mla_rope_fused_kernelIN3c104HalfEfLb1EfhLNS_18Fp8KVCacheDataTypeE1EEEvPKlPT_S7_PKS6_PKT0_illlliPT3_S5_iiiiPKf
; %bb.0:
	s_load_dwordx2 s[2:3], s[6:7], 0x60
	s_mov_b32 s9, 0
	s_lshl_b64 s[0:1], s[8:9], 3
	s_waitcnt lgkmcnt(0)
	s_add_u32 s2, s2, s0
	s_addc_u32 s3, s3, s1
	s_load_dwordx2 s[28:29], s[2:3], 0x0
	s_waitcnt lgkmcnt(0)
	v_cmp_lt_i64_e64 s[2:3], s[28:29], 0
	s_and_b64 vcc, exec, s[2:3]
	s_cbranch_vccnz .LBB60_61
; %bb.1:
	s_load_dword s9, s[6:7], 0x28
	s_load_dwordx2 s[2:3], s[6:7], 0x0
	s_load_dwordx2 s[30:31], s[6:7], 0x20
	s_load_dwordx4 s[20:23], s[6:7], 0x10
	v_and_b32_e32 v2, 0x3ff, v0
	s_waitcnt lgkmcnt(0)
	s_ashr_i32 s24, s9, 31
	s_add_u32 s0, s2, s0
	s_addc_u32 s1, s3, s1
	s_load_dwordx2 s[10:11], s[0:1], 0x0
	s_load_dwordx8 s[12:19], s[6:7], 0x30
	s_load_dwordx2 s[2:3], s[6:7], 0x58
	s_load_dword s25, s[6:7], 0x50
	s_waitcnt lgkmcnt(0)
	s_mul_i32 s0, s10, s24
	s_mul_hi_u32 s1, s10, s9
	s_add_i32 s0, s1, s0
	s_mul_i32 s1, s11, s9
	s_add_i32 s35, s0, s1
	s_lshr_b32 s0, s9, 31
	s_mul_i32 s34, s10, s9
	s_add_i32 s9, s9, s0
	s_ashr_i32 s10, s9, 1
	s_mul_i32 s9, s10, s25
	v_cmp_gt_i32_e32 vcc, s9, v2
	s_and_saveexec_b64 s[0:1], vcc
	s_cbranch_execz .LBB60_4
; %bb.2:
	s_lshl_b64 s[24:25], s[34:35], 2
	s_add_u32 s33, s30, s24
	s_addc_u32 s26, s31, s25
	s_load_dwordx2 s[24:25], s[6:7], 0x8
	s_mul_i32 s13, s8, s13
	s_mul_hi_u32 s27, s8, s12
	s_add_i32 s13, s27, s13
	s_load_dword s27, s[6:7], 0x8c
	s_mul_i32 s12, s8, s12
	s_ashr_i32 s11, s10, 31
	s_lshl_b64 s[12:13], s[12:13], 1
	s_waitcnt lgkmcnt(0)
	s_add_u32 s36, s24, s12
	s_addc_u32 s40, s25, s13
	s_abs_i32 s37, s10
	v_cvt_f32_u32_e32 v1, s37
	s_sub_i32 s12, 0, s37
	s_and_b32 s38, s27, 0xffff
	s_lshl_b64 s[24:25], s[10:11], 2
	v_rcp_iflag_f32_e32 v1, v1
	s_sub_i32 s39, 0, s10
	v_mov_b32_e32 v5, s25
	v_mov_b32_e32 v6, s40
	v_mul_f32_e32 v1, 0x4f7ffffe, v1
	v_cvt_u32_f32_e32 v1, v1
	v_mov_b32_e32 v4, v2
	v_mul_lo_u32 v3, s12, v1
	v_mul_hi_u32 v3, v1, v3
	v_add_u32_e32 v1, v1, v3
	v_mov_b32_e32 v3, s26
	s_lshl_b64 s[26:27], s[10:11], 1
	s_mov_b64 s[12:13], 0
	v_mov_b32_e32 v7, s27
.LBB60_3:                               ; =>This Inner Loop Header: Depth=1
	v_sub_u32_e32 v9, 0, v4
	v_max_i32_e32 v9, v4, v9
	v_mul_hi_u32 v10, v9, v1
	v_mul_lo_u32 v11, v10, s37
	v_sub_u32_e32 v9, v9, v11
	v_add_u32_e32 v12, 1, v10
	v_cmp_le_u32_e32 vcc, s37, v9
	v_subrev_u32_e32 v11, s37, v9
	v_cndmask_b32_e32 v10, v10, v12, vcc
	v_cndmask_b32_e32 v9, v9, v11, vcc
	v_ashrrev_i32_e32 v8, 31, v4
	v_add_u32_e32 v11, 1, v10
	v_cmp_le_u32_e32 vcc, s37, v9
	v_xor_b32_e32 v8, s11, v8
	v_cndmask_b32_e32 v9, v10, v11, vcc
	v_xor_b32_e32 v9, v9, v8
	v_sub_u32_e32 v10, v9, v8
	v_mad_u64_u32 v[8:9], s[40:41], s39, v10, v[4:5]
	v_ashrrev_i32_e32 v12, 31, v10
	v_ashrrev_i32_e32 v9, 31, v8
	v_mul_lo_u32 v15, v12, s14
	v_lshlrev_b64 v[12:13], 2, v[8:9]
	v_add_co_u32_e32 v12, vcc, s33, v12
	v_mul_lo_u32 v14, v10, s15
	v_mad_u64_u32 v[10:11], s[40:41], v10, s14, 0
	v_addc_co_u32_e32 v13, vcc, v3, v13, vcc
	v_add3_u32 v11, v11, v14, v15
	v_add_co_u32_e32 v14, vcc, s24, v12
	v_lshlrev_b64 v[10:11], 1, v[10:11]
	v_addc_co_u32_e32 v15, vcc, v13, v5, vcc
	v_add_co_u32_e32 v10, vcc, s36, v10
	v_lshlrev_b64 v[8:9], 1, v[8:9]
	v_addc_co_u32_e32 v11, vcc, v6, v11, vcc
	global_load_dword v16, v[12:13], off
	global_load_dword v17, v[14:15], off
	v_add_co_u32_e32 v8, vcc, v10, v8
	v_addc_co_u32_e32 v9, vcc, v11, v9, vcc
	v_add_co_u32_e32 v10, vcc, s26, v8
	v_addc_co_u32_e32 v11, vcc, v9, v7, vcc
	global_load_ushort v12, v[8:9], off
	global_load_ushort v13, v[10:11], off
	v_add_u32_e32 v4, s38, v4
	v_cmp_le_i32_e32 vcc, s9, v4
	s_or_b64 s[12:13], vcc, s[12:13]
	s_waitcnt vmcnt(3)
	v_cvt_f16_f32_e32 v14, v16
	s_waitcnt vmcnt(2)
	v_cvt_f16_f32_e32 v15, v17
	s_waitcnt vmcnt(0)
	v_mul_f16_e32 v16, v13, v14
	v_mul_f16_e32 v13, v13, v15
	v_fma_f16 v15, v12, v15, v16
	v_fma_f16 v12, v12, v14, -v13
	global_store_short v[8:9], v12, off
	global_store_short v[10:11], v15, off
	s_andn2_b64 exec, exec, s[12:13]
	s_cbranch_execnz .LBB60_3
.LBB60_4:
	s_or_b64 exec, exec, s[0:1]
	s_load_dwordx4 s[12:15], s[6:7], 0x68
	s_waitcnt lgkmcnt(0)
	s_ashr_i32 s37, s15, 31
	s_mov_b32 s36, s15
	s_or_b64 s[0:1], s[28:29], s[36:37]
	s_mov_b32 s0, 0
	s_cmp_lg_u64 s[0:1], 0
	s_cbranch_scc0 .LBB60_62
; %bb.5:
	s_add_u32 s0, s36, s37
	s_mov_b32 s24, s37
	s_mov_b32 s25, s37
	s_addc_u32 s1, s37, s37
	s_xor_b64 s[38:39], s[0:1], s[24:25]
	v_cvt_f32_u32_e32 v1, s38
	v_cvt_f32_u32_e32 v3, s39
	s_sub_u32 s0, 0, s38
	s_subb_u32 s1, 0, s39
	v_madmk_f32 v1, v3, 0x4f800000, v1
	v_rcp_f32_e32 v1, v1
	v_mul_f32_e32 v1, 0x5f7ffffc, v1
	v_mul_f32_e32 v3, 0x2f800000, v1
	v_trunc_f32_e32 v3, v3
	v_madmk_f32 v1, v3, 0xcf800000, v1
	v_cvt_u32_f32_e32 v3, v3
	v_cvt_u32_f32_e32 v1, v1
	v_readfirstlane_b32 s9, v3
	v_readfirstlane_b32 s11, v1
	s_mul_i32 s15, s0, s9
	s_mul_hi_u32 s40, s0, s11
	s_mul_i32 s33, s1, s11
	s_add_i32 s15, s40, s15
	s_add_i32 s15, s15, s33
	s_mul_i32 s41, s0, s11
	s_mul_hi_u32 s33, s11, s15
	s_mul_i32 s40, s11, s15
	s_mul_hi_u32 s11, s11, s41
	s_add_u32 s11, s11, s40
	s_addc_u32 s33, 0, s33
	s_mul_hi_u32 s42, s9, s41
	s_mul_i32 s41, s9, s41
	s_add_u32 s11, s11, s41
	s_mul_hi_u32 s40, s9, s15
	s_addc_u32 s11, s33, s42
	s_addc_u32 s33, s40, 0
	s_mul_i32 s15, s9, s15
	s_add_u32 s11, s11, s15
	s_addc_u32 s15, 0, s33
	v_add_co_u32_e32 v1, vcc, s11, v1
	s_cmp_lg_u64 vcc, 0
	s_addc_u32 s9, s9, s15
	v_readfirstlane_b32 s15, v1
	s_mul_i32 s11, s0, s9
	s_mul_hi_u32 s33, s0, s15
	s_add_i32 s11, s33, s11
	s_mul_i32 s1, s1, s15
	s_add_i32 s11, s11, s1
	s_mul_i32 s0, s0, s15
	s_mul_hi_u32 s33, s9, s0
	s_mul_i32 s40, s9, s0
	s_mul_i32 s42, s15, s11
	s_mul_hi_u32 s0, s15, s0
	s_mul_hi_u32 s41, s15, s11
	s_add_u32 s0, s0, s42
	s_addc_u32 s15, 0, s41
	s_add_u32 s0, s0, s40
	s_mul_hi_u32 s1, s9, s11
	s_addc_u32 s0, s15, s33
	s_addc_u32 s1, s1, 0
	s_mul_i32 s11, s9, s11
	s_add_u32 s0, s0, s11
	s_addc_u32 s1, 0, s1
	v_add_co_u32_e32 v1, vcc, s0, v1
	s_cmp_lg_u64 vcc, 0
	s_addc_u32 s9, s9, s1
	s_ashr_i32 s40, s29, 31
	s_add_u32 s0, s28, s40
	s_mov_b32 s41, s40
	s_addc_u32 s1, s29, s40
	s_xor_b64 s[42:43], s[0:1], s[40:41]
	v_readfirstlane_b32 s11, v1
	s_mul_i32 s1, s42, s9
	s_mul_hi_u32 s15, s42, s11
	s_mul_hi_u32 s0, s42, s9
	s_add_u32 s1, s15, s1
	s_addc_u32 s0, 0, s0
	s_mul_hi_u32 s33, s43, s11
	s_mul_i32 s11, s43, s11
	s_add_u32 s1, s1, s11
	s_mul_hi_u32 s15, s43, s9
	s_addc_u32 s0, s0, s33
	s_addc_u32 s1, s15, 0
	s_mul_i32 s9, s43, s9
	s_add_u32 s9, s0, s9
	s_addc_u32 s11, 0, s1
	s_mul_i32 s0, s38, s11
	s_mul_hi_u32 s1, s38, s9
	s_add_i32 s0, s1, s0
	s_mul_i32 s1, s39, s9
	s_add_i32 s15, s0, s1
	s_mul_i32 s1, s38, s9
	v_mov_b32_e32 v1, s1
	s_sub_i32 s0, s43, s15
	v_sub_co_u32_e32 v1, vcc, s42, v1
	s_cmp_lg_u64 vcc, 0
	s_subb_u32 s33, s0, s39
	v_subrev_co_u32_e64 v3, s[0:1], s38, v1
	s_cmp_lg_u64 s[0:1], 0
	s_subb_u32 s0, s33, 0
	s_cmp_ge_u32 s0, s39
	v_readfirstlane_b32 s33, v3
	s_cselect_b32 s1, -1, 0
	s_cmp_ge_u32 s33, s38
	s_cselect_b32 s33, -1, 0
	s_cmp_eq_u32 s0, s39
	s_cselect_b32 s0, s33, s1
	s_add_u32 s1, s9, 1
	s_addc_u32 s33, s11, 0
	s_add_u32 s42, s9, 2
	s_addc_u32 s44, s11, 0
	s_cmp_lg_u32 s0, 0
	s_cselect_b32 s0, s42, s1
	s_cselect_b32 s1, s44, s33
	s_cmp_lg_u64 vcc, 0
	s_subb_u32 s15, s43, s15
	s_cmp_ge_u32 s15, s39
	v_readfirstlane_b32 s42, v1
	s_cselect_b32 s33, -1, 0
	s_cmp_ge_u32 s42, s38
	s_cselect_b32 s38, -1, 0
	s_cmp_eq_u32 s15, s39
	s_cselect_b32 s15, s38, s33
	s_cmp_lg_u32 s15, 0
	s_cselect_b32 s1, s1, s11
	s_cselect_b32 s0, s0, s9
	s_xor_b64 s[24:25], s[40:41], s[24:25]
	s_xor_b64 s[0:1], s[0:1], s[24:25]
	s_sub_u32 s24, s0, s24
	s_subb_u32 s25, s1, s25
	s_cbranch_execnz .LBB60_7
.LBB60_6:
	v_cvt_f32_u32_e32 v1, s36
	s_sub_i32 s0, 0, s36
	s_mov_b32 s25, 0
	v_rcp_iflag_f32_e32 v1, v1
	v_mul_f32_e32 v1, 0x4f7ffffe, v1
	v_cvt_u32_f32_e32 v1, v1
	v_readfirstlane_b32 s1, v1
	s_mul_i32 s0, s0, s1
	s_mul_hi_u32 s0, s1, s0
	s_add_i32 s1, s1, s0
	s_mul_hi_u32 s0, s28, s1
	s_mul_i32 s9, s0, s36
	s_sub_i32 s9, s28, s9
	s_add_i32 s1, s0, 1
	s_sub_i32 s11, s9, s36
	s_cmp_ge_u32 s9, s36
	s_cselect_b32 s0, s1, s0
	s_cselect_b32 s9, s11, s9
	s_add_i32 s1, s0, 1
	s_cmp_ge_u32 s9, s36
	s_cselect_b32 s24, s1, s0
.LBB60_7:
	s_mul_i32 s0, s24, s37
	s_mul_hi_u32 s1, s24, s36
	s_load_dwordx2 s[26:27], s[6:7], 0x78
	s_add_i32 s0, s1, s0
	s_mul_i32 s1, s25, s36
	s_add_i32 s0, s0, s1
	s_mul_i32 s1, s24, s36
	s_sub_u32 s9, s28, s1
	s_subb_u32 s15, s29, s0
	v_cmp_gt_i32_e32 vcc, s10, v2
	s_mul_hi_u32 s46, s24, s12
	s_mul_i32 s47, s25, s12
	s_mul_i32 s48, s24, s12
	s_mul_hi_u32 s33, s9, s13
	s_mul_i32 s15, s15, s13
	s_mul_i32 s25, s9, s13
	s_and_saveexec_b64 s[28:29], vcc
	s_cbranch_execz .LBB60_42
; %bb.8:
	s_load_dwordx2 s[0:1], s[4:5], 0x4
	v_bfe_u32 v1, v0, 10, 10
	s_ashr_i32 s4, s12, 31
	s_ashr_i32 s11, s10, 31
	v_bfe_u32 v0, v0, 20, 10
	s_waitcnt lgkmcnt(0)
	s_lshr_b32 s0, s0, 16
	s_mul_i32 s0, s0, s1
	v_mul_lo_u32 v3, s0, v2
	v_mad_u32_u24 v1, v1, s1, v3
	s_ashr_i32 s1, s13, 31
	s_mul_i32 s0, s24, s4
	s_mul_i32 s1, s9, s1
	s_add_i32 s0, s46, s0
	s_add_i32 s1, s33, s1
	;; [unrolled: 1-line block ×4, first 2 shown]
	s_add_u32 s36, s48, s25
	s_load_dword s4, s[6:7], 0x8c
	s_addc_u32 s37, s0, s1
	s_add_u32 s0, s36, s2
	s_addc_u32 s1, s37, s3
	s_ashr_i32 s38, s14, 31
	s_add_u32 s49, s0, s14
	s_addc_u32 s50, s1, s38
	s_waitcnt lgkmcnt(0)
	s_and_b32 s52, s4, 0xffff
	s_lshl_b64 s[0:1], s[34:35], 2
	s_add_u32 s0, s30, s0
	v_add_lshl_u32 v3, v1, v0, 1
	v_lshlrev_b32_e32 v0, 2, v2
	s_addc_u32 s1, s31, s1
	v_mov_b32_e32 v5, s1
	v_add_co_u32_e32 v4, vcc, s0, v0
	s_mul_i32 s0, s17, s8
	s_mul_hi_u32 s1, s16, s8
	s_add_i32 s1, s1, s0
	s_mul_i32 s0, s16, s8
	s_lshl_b32 s54, s52, 2
	s_lshl_b64 s[4:5], s[10:11], 2
	s_lshl_b64 s[30:31], s[10:11], 1
	;; [unrolled: 1-line block ×3, first 2 shown]
	s_add_u32 s0, s20, s0
	v_addc_co_u32_e32 v5, vcc, 0, v5, vcc
	v_lshlrev_b32_e32 v0, 1, v2
	s_addc_u32 s1, s21, s1
	s_lshl_b32 s55, s52, 1
	v_add_co_u32_e32 v6, vcc, s0, v0
	s_add_u32 s0, s36, s10
	s_load_dword s51, s[26:27], 0x0
	v_mov_b32_e32 v7, s1
	s_addc_u32 s1, s37, s11
	s_add_u32 s0, s0, s14
	s_addc_u32 s1, s1, s38
	s_mov_b32 s53, 0
	s_add_u32 s11, s2, s0
	v_add_u32_e32 v10, 0x800, v3
	v_mov_b32_e32 v1, 0
	v_addc_co_u32_e32 v7, vcc, 0, v7, vcc
	s_mov_b32 s56, s53
	s_addc_u32 s57, s3, s1
	s_mov_b64 s[16:17], 0
	v_mov_b32_e32 v11, s5
	v_mov_b32_e32 v12, s31
	s_movk_i32 s5, 0x80
	s_mov_b64 s[20:21], 0x7f800000
	s_mov_b64 s[34:35], 0x43e00001
	s_movk_i32 s31, 0x7a
	s_mov_b64 s[36:37], 0xffffff
	s_movk_i32 s58, 0x7f
	v_mov_b32_e32 v13, 0xffffff82
	v_mov_b32_e32 v14, 0x78
	s_mov_b64 s[38:39], 0
	s_branch .LBB60_10
.LBB60_9:                               ;   in Loop: Header=BB60_10 Depth=1
	s_or_b64 exec, exec, s[0:1]
	s_add_u32 s38, s38, s52
	v_mov_b32_e32 v0, s57
	v_add_co_u32_e32 v16, vcc, s11, v2
	s_addc_u32 s39, s39, 0
	v_addc_co_u32_e32 v17, vcc, 0, v0, vcc
	s_add_u32 s11, s11, s52
	v_mov_b32_e32 v8, s53
	v_add_co_u32_e32 v4, vcc, s54, v4
	s_addc_u32 s57, s57, 0
	v_add_u32_e32 v0, s38, v2
	v_addc_co_u32_e32 v5, vcc, v5, v8, vcc
	s_add_u32 s49, s49, s52
	s_addc_u32 s50, s50, 0
	v_cmp_le_i32_e32 vcc, s10, v0
	v_mov_b32_e32 v8, s56
	s_or_b64 s[16:17], vcc, s[16:17]
	v_add_co_u32_e32 v6, vcc, s55, v6
	v_addc_co_u32_e32 v7, vcc, v7, v8, vcc
	global_store_byte v[16:17], v9, off
	s_andn2_b64 exec, exec, s[16:17]
	s_cbranch_execz .LBB60_42
.LBB60_10:                              ; =>This Inner Loop Header: Depth=1
	v_add_co_u32_e32 v8, vcc, s4, v4
	v_addc_co_u32_e32 v9, vcc, v5, v11, vcc
	global_load_dword v0, v[4:5], off
	global_load_dword v15, v[8:9], off
	v_add_co_u32_e32 v8, vcc, s30, v6
	v_addc_co_u32_e32 v9, vcc, v7, v12, vcc
	global_load_ushort v16, v[8:9], off
	global_load_ushort v17, v[6:7], off
	v_mov_b32_e32 v19, v1
	s_waitcnt vmcnt(3)
	v_cvt_f16_f32_e32 v0, v0
	s_waitcnt vmcnt(2)
	v_cvt_f16_f32_e32 v15, v15
	s_waitcnt vmcnt(1)
	v_mul_f16_e32 v18, v16, v0
	v_mul_f16_e32 v16, v16, v15
	s_waitcnt vmcnt(0)
	v_fma_f16 v0, v17, v0, -v16
	ds_write_b16 v10, v0
	ds_read_b32 v16, v10
	v_fma_f16 v15, v17, v15, v18
	ds_write_b16 v3, v15
	global_store_short v[6:7], v0, off
	global_store_short v[8:9], v15, off
	ds_read_b32 v15, v3
	s_waitcnt lgkmcnt(0)
	v_div_scale_f32 v0, s[0:1], s51, s51, v16
	v_rcp_f32_e32 v8, v0
	v_div_scale_f32 v9, vcc, v16, s51, v16
	v_fma_f32 v17, -v0, v8, 1.0
	v_fmac_f32_e32 v8, v17, v8
	v_mul_f32_e32 v17, v9, v8
	v_fma_f32 v18, -v0, v17, v9
	v_fmac_f32_e32 v17, v18, v8
	v_fma_f32 v0, -v0, v17, v9
	v_div_fmas_f32 v0, v0, v8, v17
	v_div_fixup_f32 v8, v0, s51, v16
	v_and_b32_sdwa v16, v8, s5 dst_sel:DWORD dst_unused:UNUSED_PAD src0_sel:BYTE_3 src1_sel:DWORD
	v_and_b32_e32 v18, 0x7f800000, v8
	v_and_b32_e32 v0, 0x7fffff, v8
	v_or_b32_e32 v9, 0x7e, v16
	v_cmp_ne_u64_e32 vcc, s[20:21], v[18:19]
	s_and_saveexec_b64 s[0:1], vcc
	s_xor_b64 s[40:41], exec, s[0:1]
	s_cbranch_execz .LBB60_24
; %bb.11:                               ;   in Loop: Header=BB60_10 Depth=1
	v_and_b32_e32 v18, 0x7fffffff, v8
	v_mov_b32_e32 v19, v1
	v_cmp_gt_u64_e32 vcc, s[34:35], v[18:19]
	s_and_saveexec_b64 s[0:1], vcc
	s_xor_b64 s[42:43], exec, s[0:1]
	s_cbranch_execz .LBB60_23
; %bb.12:                               ;   in Loop: Header=BB60_10 Depth=1
	v_cmp_ne_u32_e32 vcc, 0, v8
	v_mov_b32_e32 v9, 0
	s_and_saveexec_b64 s[44:45], vcc
	s_cbranch_execz .LBB60_22
; %bb.13:                               ;   in Loop: Header=BB60_10 Depth=1
	v_bfe_u32 v8, v8, 23, 8
	v_sub_u32_e32 v17, 0x79, v8
	v_cmp_gt_u32_e32 vcc, s31, v8
	v_cndmask_b32_e32 v17, 0, v17, vcc
	v_cmp_eq_u32_e32 vcc, 0, v8
	v_cndmask_b32_e32 v17, v17, v14, vcc
	v_add_u32_e32 v9, 0xffffff81, v8
	v_or_b32_e32 v18, 0x800000, v0
	v_add_u32_e32 v8, 20, v17
	v_cndmask_b32_e32 v19, v9, v13, vcc
	v_cndmask_b32_e32 v0, v18, v0, vcc
	v_lshlrev_b64 v[8:9], v8, -1
	v_not_b32_e32 v8, v8
	v_lshrrev_b64 v[22:23], v17, v[0:1]
	v_not_b32_e32 v9, v9
	v_and_b32_e32 v8, v0, v8
	v_add_u32_e32 v18, 19, v17
	v_lshrrev_b32_e32 v0, 23, v22
	v_and_b32_e32 v9, 0, v9
	v_lshlrev_b64 v[20:21], v18, 1
	v_add3_u32 v18, v17, v19, v0
	v_bfe_u32 v0, v22, 20, 1
	v_add_u32_e32 v0, -1, v0
	v_cmp_eq_u64_e32 vcc, v[8:9], v[20:21]
	v_cndmask_b32_e32 v0, 0, v0, vcc
	v_add_u32_e32 v0, v0, v22
	v_and_b32_e32 v0, 0xfffff, v0
	v_add_co_u32_e32 v8, vcc, v0, v22
	v_add_u32_e32 v17, 6, v18
	v_addc_co_u32_e32 v9, vcc, 0, v23, vcc
	v_cmp_ne_u32_e32 vcc, 0, v17
                                        ; implicit-def: $vgpr0
	s_and_saveexec_b64 s[0:1], vcc
	s_xor_b64 s[0:1], exec, s[0:1]
; %bb.14:                               ;   in Loop: Header=BB60_10 Depth=1
	v_add_u32_e32 v0, 7, v18
	v_cmp_lt_u64_e32 vcc, s[36:37], v[8:9]
	v_cndmask_b32_e32 v0, v17, v0, vcc
	v_cndmask_b32_e64 v17, 0, 1, vcc
	v_lshrrev_b64 v[8:9], v17, v[8:9]
; %bb.15:                               ;   in Loop: Header=BB60_10 Depth=1
	s_andn2_saveexec_b64 s[0:1], s[0:1]
; %bb.16:                               ;   in Loop: Header=BB60_10 Depth=1
	v_bfe_u32 v0, v8, 23, 1
; %bb.17:                               ;   in Loop: Header=BB60_10 Depth=1
	s_or_b64 exec, exec, s[0:1]
	v_lshrrev_b64 v[8:9], 20, v[8:9]
	v_cmp_gt_i32_e32 vcc, 16, v0
	v_cndmask_b32_e32 v9, 0, v9, vcc
	v_cndmask_b32_e32 v8, 7, v8, vcc
	v_cmp_ne_u32_e32 vcc, 0, v0
	v_cmp_ne_u64_e64 s[0:1], 0, v[8:9]
	s_or_b64 s[0:1], vcc, s[0:1]
                                        ; implicit-def: $vgpr9
	s_and_saveexec_b64 s[60:61], s[0:1]
	s_xor_b64 s[0:1], exec, s[60:61]
; %bb.18:                               ;   in Loop: Header=BB60_10 Depth=1
	v_min_i32_e32 v0, 15, v0
	v_lshl_or_b32 v0, v0, 3, v16
	v_and_or_b32 v9, v8, 7, v0
                                        ; implicit-def: $vgpr16
; %bb.19:                               ;   in Loop: Header=BB60_10 Depth=1
	s_andn2_saveexec_b64 s[0:1], s[0:1]
; %bb.20:                               ;   in Loop: Header=BB60_10 Depth=1
	v_mov_b32_e32 v9, v16
; %bb.21:                               ;   in Loop: Header=BB60_10 Depth=1
	s_or_b64 exec, exec, s[0:1]
.LBB60_22:                              ;   in Loop: Header=BB60_10 Depth=1
	s_or_b64 exec, exec, s[44:45]
.LBB60_23:                              ;   in Loop: Header=BB60_10 Depth=1
	s_andn2_saveexec_b64 s[0:1], s[42:43]
	s_or_b64 exec, exec, s[0:1]
                                        ; implicit-def: $vgpr8
.LBB60_24:                              ;   in Loop: Header=BB60_10 Depth=1
	s_andn2_saveexec_b64 s[0:1], s[40:41]
; %bb.25:                               ;   in Loop: Header=BB60_10 Depth=1
	v_or_b32_sdwa v8, v8, s58 dst_sel:DWORD dst_unused:UNUSED_PAD src0_sel:BYTE_3 src1_sel:DWORD
	v_cmp_eq_u64_e32 vcc, 0, v[0:1]
	v_cndmask_b32_e32 v9, v8, v9, vcc
; %bb.26:                               ;   in Loop: Header=BB60_10 Depth=1
	s_or_b64 exec, exec, s[0:1]
	v_div_scale_f32 v8, s[0:1], s51, s51, v15
	v_rcp_f32_e32 v18, v8
	v_mov_b32_e32 v0, s50
	v_add_co_u32_e32 v16, vcc, s49, v2
	v_addc_co_u32_e32 v17, vcc, 0, v0, vcc
	v_fma_f32 v0, -v8, v18, 1.0
	v_fmac_f32_e32 v18, v0, v18
	v_div_scale_f32 v0, vcc, v15, s51, v15
	global_store_byte v[16:17], v9, off
	v_mul_f32_e32 v9, v0, v18
	v_fma_f32 v16, -v8, v9, v0
	v_fmac_f32_e32 v9, v16, v18
	v_fma_f32 v0, -v8, v9, v0
	v_div_fmas_f32 v0, v0, v18, v9
	v_div_fixup_f32 v8, v0, s51, v15
	v_and_b32_sdwa v15, v8, s5 dst_sel:DWORD dst_unused:UNUSED_PAD src0_sel:BYTE_3 src1_sel:DWORD
	v_and_b32_e32 v16, 0x7f800000, v8
	v_mov_b32_e32 v17, v1
	v_and_b32_e32 v0, 0x7fffff, v8
	v_or_b32_e32 v9, 0x7e, v15
	v_cmp_ne_u64_e32 vcc, s[20:21], v[16:17]
	s_and_saveexec_b64 s[0:1], vcc
	s_xor_b64 s[40:41], exec, s[0:1]
	s_cbranch_execz .LBB60_40
; %bb.27:                               ;   in Loop: Header=BB60_10 Depth=1
	v_and_b32_e32 v16, 0x7fffffff, v8
	v_mov_b32_e32 v17, v1
	v_cmp_gt_u64_e32 vcc, s[34:35], v[16:17]
	s_and_saveexec_b64 s[0:1], vcc
	s_xor_b64 s[42:43], exec, s[0:1]
	s_cbranch_execz .LBB60_39
; %bb.28:                               ;   in Loop: Header=BB60_10 Depth=1
	v_cmp_ne_u32_e32 vcc, 0, v8
	v_mov_b32_e32 v9, 0
	s_and_saveexec_b64 s[44:45], vcc
	s_cbranch_execz .LBB60_38
; %bb.29:                               ;   in Loop: Header=BB60_10 Depth=1
	v_bfe_u32 v8, v8, 23, 8
	v_sub_u32_e32 v16, 0x79, v8
	v_cmp_gt_u32_e32 vcc, s31, v8
	v_cndmask_b32_e32 v16, 0, v16, vcc
	v_cmp_eq_u32_e32 vcc, 0, v8
	v_cndmask_b32_e32 v16, v16, v14, vcc
	v_add_u32_e32 v9, 0xffffff81, v8
	v_or_b32_e32 v17, 0x800000, v0
	v_add_u32_e32 v8, 20, v16
	v_cndmask_b32_e32 v22, v9, v13, vcc
	v_cndmask_b32_e32 v0, v17, v0, vcc
	v_lshlrev_b64 v[8:9], v8, -1
	v_not_b32_e32 v8, v8
	v_lshrrev_b64 v[20:21], v16, v[0:1]
	v_not_b32_e32 v9, v9
	v_and_b32_e32 v8, v0, v8
	v_add_u32_e32 v17, 19, v16
	v_lshrrev_b32_e32 v0, 23, v20
	v_and_b32_e32 v9, 0, v9
	v_lshlrev_b64 v[18:19], v17, 1
	v_add3_u32 v17, v16, v22, v0
	v_bfe_u32 v0, v20, 20, 1
	v_add_u32_e32 v0, -1, v0
	v_cmp_eq_u64_e32 vcc, v[8:9], v[18:19]
	v_cndmask_b32_e32 v0, 0, v0, vcc
	v_add_u32_e32 v0, v0, v20
	v_and_b32_e32 v0, 0xfffff, v0
	v_add_co_u32_e32 v8, vcc, v0, v20
	v_add_u32_e32 v16, 6, v17
	v_addc_co_u32_e32 v9, vcc, 0, v21, vcc
	v_cmp_ne_u32_e32 vcc, 0, v16
                                        ; implicit-def: $vgpr0
	s_and_saveexec_b64 s[0:1], vcc
	s_xor_b64 s[0:1], exec, s[0:1]
; %bb.30:                               ;   in Loop: Header=BB60_10 Depth=1
	v_add_u32_e32 v0, 7, v17
	v_cmp_lt_u64_e32 vcc, s[36:37], v[8:9]
	v_cndmask_b32_e32 v0, v16, v0, vcc
	v_cndmask_b32_e64 v16, 0, 1, vcc
	v_lshrrev_b64 v[8:9], v16, v[8:9]
; %bb.31:                               ;   in Loop: Header=BB60_10 Depth=1
	s_andn2_saveexec_b64 s[0:1], s[0:1]
; %bb.32:                               ;   in Loop: Header=BB60_10 Depth=1
	v_bfe_u32 v0, v8, 23, 1
; %bb.33:                               ;   in Loop: Header=BB60_10 Depth=1
	s_or_b64 exec, exec, s[0:1]
	v_lshrrev_b64 v[8:9], 20, v[8:9]
	v_cmp_gt_i32_e32 vcc, 16, v0
	v_cndmask_b32_e32 v9, 0, v9, vcc
	v_cndmask_b32_e32 v8, 7, v8, vcc
	v_cmp_ne_u32_e32 vcc, 0, v0
	v_cmp_ne_u64_e64 s[0:1], 0, v[8:9]
	s_or_b64 s[0:1], vcc, s[0:1]
                                        ; implicit-def: $vgpr9
	s_and_saveexec_b64 s[60:61], s[0:1]
	s_xor_b64 s[0:1], exec, s[60:61]
; %bb.34:                               ;   in Loop: Header=BB60_10 Depth=1
	v_min_i32_e32 v0, 15, v0
	v_lshl_or_b32 v0, v0, 3, v15
	v_and_or_b32 v9, v8, 7, v0
                                        ; implicit-def: $vgpr15
; %bb.35:                               ;   in Loop: Header=BB60_10 Depth=1
	s_andn2_saveexec_b64 s[0:1], s[0:1]
; %bb.36:                               ;   in Loop: Header=BB60_10 Depth=1
	v_mov_b32_e32 v9, v15
; %bb.37:                               ;   in Loop: Header=BB60_10 Depth=1
	s_or_b64 exec, exec, s[0:1]
.LBB60_38:                              ;   in Loop: Header=BB60_10 Depth=1
	s_or_b64 exec, exec, s[44:45]
.LBB60_39:                              ;   in Loop: Header=BB60_10 Depth=1
	s_andn2_saveexec_b64 s[0:1], s[42:43]
	s_or_b64 exec, exec, s[0:1]
                                        ; implicit-def: $vgpr8
.LBB60_40:                              ;   in Loop: Header=BB60_10 Depth=1
	s_andn2_saveexec_b64 s[0:1], s[40:41]
	s_cbranch_execz .LBB60_9
; %bb.41:                               ;   in Loop: Header=BB60_10 Depth=1
	v_or_b32_sdwa v8, v8, s58 dst_sel:DWORD dst_unused:UNUSED_PAD src0_sel:BYTE_3 src1_sel:DWORD
	v_cmp_eq_u64_e32 vcc, 0, v[0:1]
	v_cndmask_b32_e32 v9, v8, v9, vcc
	s_branch .LBB60_9
.LBB60_42:
	s_or_b64 exec, exec, s[28:29]
	v_cmp_gt_i32_e32 vcc, s14, v2
	s_and_saveexec_b64 s[0:1], vcc
	s_cbranch_execz .LBB60_61
; %bb.43:
	s_mul_i32 s0, s8, s19
	s_mul_hi_u32 s1, s8, s18
	s_add_i32 s1, s1, s0
	s_mul_i32 s0, s8, s18
	s_lshl_b64 s[0:1], s[0:1], 1
	s_add_u32 s18, s22, s0
	s_addc_u32 s0, s23, s1
	s_ashr_i32 s1, s12, 31
	s_mul_i32 s1, s24, s1
	s_add_i32 s1, s46, s1
	s_add_i32 s1, s1, s47
	s_add_u32 s2, s2, s48
	s_addc_u32 s1, s3, s1
	s_ashr_i32 s3, s13, 31
	s_load_dword s4, s[6:7], 0x8c
	s_mul_i32 s9, s9, s3
	s_waitcnt lgkmcnt(0)
	s_load_dword s20, s[26:27], 0x0
	s_add_i32 s3, s33, s9
	s_add_i32 s3, s3, s15
	s_add_u32 s15, s2, s25
	s_addc_u32 s19, s1, s3
	s_and_b32 s21, s4, 0xffff
	s_mov_b64 s[2:3], 0
	v_mov_b32_e32 v6, s0
	v_mov_b32_e32 v1, 0
	s_movk_i32 s22, 0x80
	s_mov_b64 s[4:5], 0x7f800000
	s_mov_b64 s[6:7], 0x43e00001
	s_movk_i32 s23, 0x7a
	s_mov_b64 s[8:9], 0xffffff
	s_movk_i32 s24, 0x7f
	v_mov_b32_e32 v7, 0xffffff82
	v_mov_b32_e32 v8, 0x78
	s_branch .LBB60_45
.LBB60_44:                              ;   in Loop: Header=BB60_45 Depth=1
	s_or_b64 exec, exec, s[0:1]
	v_mov_b32_e32 v0, s19
	v_add_co_u32_e32 v10, vcc, s15, v2
	v_addc_co_u32_e32 v11, vcc, v0, v3, vcc
	v_add_u32_e32 v2, s21, v2
	v_cmp_le_i32_e32 vcc, s14, v2
	s_or_b64 s[2:3], vcc, s[2:3]
	global_store_byte v[10:11], v5, off
	s_andn2_b64 exec, exec, s[2:3]
	s_cbranch_execz .LBB60_61
.LBB60_45:                              ; =>This Inner Loop Header: Depth=1
	v_ashrrev_i32_e32 v3, 31, v2
	v_lshlrev_b64 v[4:5], 1, v[2:3]
	v_add_co_u32_e32 v4, vcc, s18, v4
	v_addc_co_u32_e32 v5, vcc, v6, v5, vcc
	global_load_dword v0, v[4:5], off
	v_mov_b32_e32 v11, v1
	s_waitcnt vmcnt(0) lgkmcnt(0)
	v_div_scale_f32 v4, s[0:1], s20, s20, v0
	v_rcp_f32_e32 v5, v4
	v_div_scale_f32 v9, vcc, v0, s20, v0
	v_fma_f32 v10, -v4, v5, 1.0
	v_fmac_f32_e32 v5, v10, v5
	v_mul_f32_e32 v10, v9, v5
	v_fma_f32 v12, -v4, v10, v9
	v_fmac_f32_e32 v10, v12, v5
	v_fma_f32 v4, -v4, v10, v9
	v_div_fmas_f32 v4, v4, v5, v10
	v_div_fixup_f32 v4, v4, s20, v0
	v_and_b32_sdwa v9, v4, s22 dst_sel:DWORD dst_unused:UNUSED_PAD src0_sel:BYTE_3 src1_sel:DWORD
	v_and_b32_e32 v10, 0x7f800000, v4
	v_and_b32_e32 v0, 0x7fffff, v4
	v_or_b32_e32 v5, 0x7e, v9
	v_cmp_ne_u64_e32 vcc, s[4:5], v[10:11]
	s_and_saveexec_b64 s[0:1], vcc
	s_xor_b64 s[10:11], exec, s[0:1]
	s_cbranch_execz .LBB60_59
; %bb.46:                               ;   in Loop: Header=BB60_45 Depth=1
	v_and_b32_e32 v10, 0x7fffffff, v4
	v_mov_b32_e32 v11, v1
	v_cmp_gt_u64_e32 vcc, s[6:7], v[10:11]
	s_and_saveexec_b64 s[0:1], vcc
	s_xor_b64 s[12:13], exec, s[0:1]
	s_cbranch_execz .LBB60_58
; %bb.47:                               ;   in Loop: Header=BB60_45 Depth=1
	v_cmp_ne_u32_e32 vcc, 0, v4
	v_mov_b32_e32 v5, 0
	s_and_saveexec_b64 s[16:17], vcc
	s_cbranch_execz .LBB60_57
; %bb.48:                               ;   in Loop: Header=BB60_45 Depth=1
	v_bfe_u32 v4, v4, 23, 8
	v_sub_u32_e32 v10, 0x79, v4
	v_cmp_gt_u32_e32 vcc, s23, v4
	v_cndmask_b32_e32 v10, 0, v10, vcc
	v_cmp_eq_u32_e32 vcc, 0, v4
	v_cndmask_b32_e32 v10, v10, v8, vcc
	v_add_u32_e32 v5, 0xffffff81, v4
	v_or_b32_e32 v11, 0x800000, v0
	v_add_u32_e32 v4, 20, v10
	v_cndmask_b32_e32 v16, v5, v7, vcc
	v_cndmask_b32_e32 v0, v11, v0, vcc
	v_lshlrev_b64 v[4:5], v4, -1
	v_not_b32_e32 v4, v4
	v_lshrrev_b64 v[14:15], v10, v[0:1]
	v_not_b32_e32 v5, v5
	v_and_b32_e32 v4, v0, v4
	v_add_u32_e32 v11, 19, v10
	v_lshrrev_b32_e32 v0, 23, v14
	v_and_b32_e32 v5, 0, v5
	v_lshlrev_b64 v[12:13], v11, 1
	v_add3_u32 v11, v10, v16, v0
	v_bfe_u32 v0, v14, 20, 1
	v_add_u32_e32 v0, -1, v0
	v_cmp_eq_u64_e32 vcc, v[4:5], v[12:13]
	v_cndmask_b32_e32 v0, 0, v0, vcc
	v_add_u32_e32 v0, v0, v14
	v_and_b32_e32 v0, 0xfffff, v0
	v_add_co_u32_e32 v4, vcc, v0, v14
	v_add_u32_e32 v10, 6, v11
	v_addc_co_u32_e32 v5, vcc, 0, v15, vcc
	v_cmp_ne_u32_e32 vcc, 0, v10
                                        ; implicit-def: $vgpr0
	s_and_saveexec_b64 s[0:1], vcc
	s_xor_b64 s[0:1], exec, s[0:1]
; %bb.49:                               ;   in Loop: Header=BB60_45 Depth=1
	v_add_u32_e32 v0, 7, v11
	v_cmp_lt_u64_e32 vcc, s[8:9], v[4:5]
	v_cndmask_b32_e32 v0, v10, v0, vcc
	v_cndmask_b32_e64 v10, 0, 1, vcc
	v_lshrrev_b64 v[4:5], v10, v[4:5]
; %bb.50:                               ;   in Loop: Header=BB60_45 Depth=1
	s_andn2_saveexec_b64 s[0:1], s[0:1]
; %bb.51:                               ;   in Loop: Header=BB60_45 Depth=1
	v_bfe_u32 v0, v4, 23, 1
; %bb.52:                               ;   in Loop: Header=BB60_45 Depth=1
	s_or_b64 exec, exec, s[0:1]
	v_lshrrev_b64 v[4:5], 20, v[4:5]
	v_cmp_gt_i32_e32 vcc, 16, v0
	v_cndmask_b32_e32 v5, 0, v5, vcc
	v_cndmask_b32_e32 v4, 7, v4, vcc
	v_cmp_ne_u32_e32 vcc, 0, v0
	v_cmp_ne_u64_e64 s[0:1], 0, v[4:5]
	s_or_b64 s[0:1], vcc, s[0:1]
                                        ; implicit-def: $vgpr5
	s_and_saveexec_b64 s[26:27], s[0:1]
	s_xor_b64 s[0:1], exec, s[26:27]
; %bb.53:                               ;   in Loop: Header=BB60_45 Depth=1
	v_min_i32_e32 v0, 15, v0
	v_lshl_or_b32 v0, v0, 3, v9
	v_and_or_b32 v5, v4, 7, v0
                                        ; implicit-def: $vgpr9
; %bb.54:                               ;   in Loop: Header=BB60_45 Depth=1
	s_andn2_saveexec_b64 s[0:1], s[0:1]
; %bb.55:                               ;   in Loop: Header=BB60_45 Depth=1
	v_mov_b32_e32 v5, v9
; %bb.56:                               ;   in Loop: Header=BB60_45 Depth=1
	s_or_b64 exec, exec, s[0:1]
.LBB60_57:                              ;   in Loop: Header=BB60_45 Depth=1
	s_or_b64 exec, exec, s[16:17]
.LBB60_58:                              ;   in Loop: Header=BB60_45 Depth=1
	s_andn2_saveexec_b64 s[0:1], s[12:13]
	s_or_b64 exec, exec, s[0:1]
                                        ; implicit-def: $vgpr4
.LBB60_59:                              ;   in Loop: Header=BB60_45 Depth=1
	s_andn2_saveexec_b64 s[0:1], s[10:11]
	s_cbranch_execz .LBB60_44
; %bb.60:                               ;   in Loop: Header=BB60_45 Depth=1
	v_or_b32_sdwa v4, v4, s24 dst_sel:DWORD dst_unused:UNUSED_PAD src0_sel:BYTE_3 src1_sel:DWORD
	v_cmp_eq_u64_e32 vcc, 0, v[0:1]
	v_cndmask_b32_e32 v5, v4, v5, vcc
	s_branch .LBB60_44
.LBB60_61:
	s_endpgm
.LBB60_62:
                                        ; implicit-def: $sgpr24_sgpr25
	s_branch .LBB60_6
	.section	.rodata,"a",@progbits
	.p2align	6, 0x0
	.amdhsa_kernel _ZN4vllm38concat_and_cache_mla_rope_fused_kernelIN3c104HalfEfLb1EfhLNS_18Fp8KVCacheDataTypeE1EEEvPKlPT_S7_PKS6_PKT0_illlliPT3_S5_iiiiPKf
		.amdhsa_group_segment_fixed_size 4096
		.amdhsa_private_segment_fixed_size 0
		.amdhsa_kernarg_size 384
		.amdhsa_user_sgpr_count 8
		.amdhsa_user_sgpr_private_segment_buffer 1
		.amdhsa_user_sgpr_dispatch_ptr 1
		.amdhsa_user_sgpr_queue_ptr 0
		.amdhsa_user_sgpr_kernarg_segment_ptr 1
		.amdhsa_user_sgpr_dispatch_id 0
		.amdhsa_user_sgpr_flat_scratch_init 0
		.amdhsa_user_sgpr_kernarg_preload_length 0
		.amdhsa_user_sgpr_kernarg_preload_offset 0
		.amdhsa_user_sgpr_private_segment_size 0
		.amdhsa_uses_dynamic_stack 0
		.amdhsa_system_sgpr_private_segment_wavefront_offset 0
		.amdhsa_system_sgpr_workgroup_id_x 1
		.amdhsa_system_sgpr_workgroup_id_y 0
		.amdhsa_system_sgpr_workgroup_id_z 0
		.amdhsa_system_sgpr_workgroup_info 0
		.amdhsa_system_vgpr_workitem_id 2
		.amdhsa_next_free_vgpr 24
		.amdhsa_next_free_sgpr 62
		.amdhsa_accum_offset 24
		.amdhsa_reserve_vcc 1
		.amdhsa_reserve_flat_scratch 0
		.amdhsa_float_round_mode_32 0
		.amdhsa_float_round_mode_16_64 0
		.amdhsa_float_denorm_mode_32 3
		.amdhsa_float_denorm_mode_16_64 3
		.amdhsa_dx10_clamp 1
		.amdhsa_ieee_mode 1
		.amdhsa_fp16_overflow 0
		.amdhsa_tg_split 0
		.amdhsa_exception_fp_ieee_invalid_op 0
		.amdhsa_exception_fp_denorm_src 0
		.amdhsa_exception_fp_ieee_div_zero 0
		.amdhsa_exception_fp_ieee_overflow 0
		.amdhsa_exception_fp_ieee_underflow 0
		.amdhsa_exception_fp_ieee_inexact 0
		.amdhsa_exception_int_div_zero 0
	.end_amdhsa_kernel
	.section	.text._ZN4vllm38concat_and_cache_mla_rope_fused_kernelIN3c104HalfEfLb1EfhLNS_18Fp8KVCacheDataTypeE1EEEvPKlPT_S7_PKS6_PKT0_illlliPT3_S5_iiiiPKf,"axG",@progbits,_ZN4vllm38concat_and_cache_mla_rope_fused_kernelIN3c104HalfEfLb1EfhLNS_18Fp8KVCacheDataTypeE1EEEvPKlPT_S7_PKS6_PKT0_illlliPT3_S5_iiiiPKf,comdat
.Lfunc_end60:
	.size	_ZN4vllm38concat_and_cache_mla_rope_fused_kernelIN3c104HalfEfLb1EfhLNS_18Fp8KVCacheDataTypeE1EEEvPKlPT_S7_PKS6_PKT0_illlliPT3_S5_iiiiPKf, .Lfunc_end60-_ZN4vllm38concat_and_cache_mla_rope_fused_kernelIN3c104HalfEfLb1EfhLNS_18Fp8KVCacheDataTypeE1EEEvPKlPT_S7_PKS6_PKT0_illlliPT3_S5_iiiiPKf
                                        ; -- End function
	.section	.AMDGPU.csdata,"",@progbits
; Kernel info:
; codeLenInByte = 3796
; NumSgprs: 66
; NumVgprs: 24
; NumAgprs: 0
; TotalNumVgprs: 24
; ScratchSize: 0
; MemoryBound: 0
; FloatMode: 240
; IeeeMode: 1
; LDSByteSize: 4096 bytes/workgroup (compile time only)
; SGPRBlocks: 8
; VGPRBlocks: 2
; NumSGPRsForWavesPerEU: 66
; NumVGPRsForWavesPerEU: 24
; AccumOffset: 24
; Occupancy: 8
; WaveLimiterHint : 1
; COMPUTE_PGM_RSRC2:SCRATCH_EN: 0
; COMPUTE_PGM_RSRC2:USER_SGPR: 8
; COMPUTE_PGM_RSRC2:TRAP_HANDLER: 0
; COMPUTE_PGM_RSRC2:TGID_X_EN: 1
; COMPUTE_PGM_RSRC2:TGID_Y_EN: 0
; COMPUTE_PGM_RSRC2:TGID_Z_EN: 0
; COMPUTE_PGM_RSRC2:TIDIG_COMP_CNT: 2
; COMPUTE_PGM_RSRC3_GFX90A:ACCUM_OFFSET: 5
; COMPUTE_PGM_RSRC3_GFX90A:TG_SPLIT: 0
	.section	.text._ZN4vllm38concat_and_cache_mla_rope_fused_kernelIN3c104HalfEfLb0EfhLNS_18Fp8KVCacheDataTypeE1EEEvPKlPT_S7_PKS6_PKT0_illlliPT3_S5_iiiiPKf,"axG",@progbits,_ZN4vllm38concat_and_cache_mla_rope_fused_kernelIN3c104HalfEfLb0EfhLNS_18Fp8KVCacheDataTypeE1EEEvPKlPT_S7_PKS6_PKT0_illlliPT3_S5_iiiiPKf,comdat
	.protected	_ZN4vllm38concat_and_cache_mla_rope_fused_kernelIN3c104HalfEfLb0EfhLNS_18Fp8KVCacheDataTypeE1EEEvPKlPT_S7_PKS6_PKT0_illlliPT3_S5_iiiiPKf ; -- Begin function _ZN4vllm38concat_and_cache_mla_rope_fused_kernelIN3c104HalfEfLb0EfhLNS_18Fp8KVCacheDataTypeE1EEEvPKlPT_S7_PKS6_PKT0_illlliPT3_S5_iiiiPKf
	.globl	_ZN4vllm38concat_and_cache_mla_rope_fused_kernelIN3c104HalfEfLb0EfhLNS_18Fp8KVCacheDataTypeE1EEEvPKlPT_S7_PKS6_PKT0_illlliPT3_S5_iiiiPKf
	.p2align	8
	.type	_ZN4vllm38concat_and_cache_mla_rope_fused_kernelIN3c104HalfEfLb0EfhLNS_18Fp8KVCacheDataTypeE1EEEvPKlPT_S7_PKS6_PKT0_illlliPT3_S5_iiiiPKf,@function
_ZN4vllm38concat_and_cache_mla_rope_fused_kernelIN3c104HalfEfLb0EfhLNS_18Fp8KVCacheDataTypeE1EEEvPKlPT_S7_PKS6_PKT0_illlliPT3_S5_iiiiPKf: ; @_ZN4vllm38concat_and_cache_mla_rope_fused_kernelIN3c104HalfEfLb0EfhLNS_18Fp8KVCacheDataTypeE1EEEvPKlPT_S7_PKS6_PKT0_illlliPT3_S5_iiiiPKf
; %bb.0:
	s_load_dwordx2 s[2:3], s[6:7], 0x60
	s_mov_b32 s9, 0
	s_lshl_b64 s[0:1], s[8:9], 3
	s_waitcnt lgkmcnt(0)
	s_add_u32 s2, s2, s0
	s_addc_u32 s3, s3, s1
	s_load_dwordx2 s[28:29], s[2:3], 0x0
	s_waitcnt lgkmcnt(0)
	v_cmp_lt_i64_e64 s[2:3], s[28:29], 0
	s_and_b64 vcc, exec, s[2:3]
	s_cbranch_vccnz .LBB61_61
; %bb.1:
	s_load_dword s9, s[6:7], 0x28
	s_load_dwordx2 s[2:3], s[6:7], 0x0
	s_load_dwordx2 s[30:31], s[6:7], 0x20
	s_load_dwordx4 s[20:23], s[6:7], 0x10
	v_and_b32_e32 v2, 0x3ff, v0
	s_waitcnt lgkmcnt(0)
	s_ashr_i32 s24, s9, 31
	s_add_u32 s0, s2, s0
	s_addc_u32 s1, s3, s1
	s_load_dwordx2 s[10:11], s[0:1], 0x0
	s_load_dwordx8 s[12:19], s[6:7], 0x30
	s_load_dwordx2 s[2:3], s[6:7], 0x58
	s_load_dword s25, s[6:7], 0x50
	v_lshlrev_b32_e32 v1, 1, v2
	s_waitcnt lgkmcnt(0)
	s_mul_i32 s0, s10, s24
	s_mul_hi_u32 s1, s10, s9
	s_add_i32 s0, s1, s0
	s_mul_i32 s1, s11, s9
	s_add_i32 s35, s0, s1
	s_lshr_b32 s0, s9, 31
	s_mul_i32 s34, s10, s9
	s_add_i32 s9, s9, s0
	s_ashr_i32 s10, s9, 1
	s_mul_i32 s9, s10, s25
	v_cmp_gt_i32_e32 vcc, s9, v2
	s_and_saveexec_b64 s[0:1], vcc
	s_cbranch_execz .LBB61_4
; %bb.2:
	s_lshl_b64 s[24:25], s[34:35], 2
	s_add_u32 s26, s30, s24
	s_addc_u32 s40, s31, s25
	s_load_dwordx2 s[24:25], s[6:7], 0x8
	s_load_dword s36, s[6:7], 0x8c
	s_mul_i32 s13, s8, s13
	s_mul_hi_u32 s27, s8, s12
	s_add_i32 s13, s27, s13
	s_mul_i32 s12, s8, s12
	s_ashr_i32 s11, s10, 31
	s_lshl_b64 s[12:13], s[12:13], 1
	s_waitcnt lgkmcnt(0)
	s_add_u32 s27, s24, s12
	s_addc_u32 s41, s25, s13
	s_abs_i32 s33, s10
	v_cvt_f32_u32_e32 v3, s33
	s_sub_i32 s12, 0, s33
	s_and_b32 s36, s36, 0xffff
	s_lshl_b64 s[24:25], s[10:11], 2
	v_rcp_iflag_f32_e32 v3, v3
	s_sub_i32 s37, 0, s10
	s_lshl_b32 s39, s36, 1
	v_mov_b32_e32 v5, s40
	v_mul_f32_e32 v3, 0x4f7ffffe, v3
	v_cvt_u32_f32_e32 v3, v3
	v_mov_b32_e32 v7, s25
	v_mov_b32_e32 v8, s41
	;; [unrolled: 1-line block ×3, first 2 shown]
	v_mul_lo_u32 v4, s12, v3
	v_mul_hi_u32 v4, v3, v4
	s_lshl_b32 s12, s10, 1
	v_add_u32_e32 v3, v3, v4
	s_sub_i32 s38, 0, s12
	s_mov_b64 s[12:13], 0
	v_mov_b32_e32 v4, v1
.LBB61_3:                               ; =>This Inner Loop Header: Depth=1
	v_sub_u32_e32 v10, 0, v6
	v_max_i32_e32 v10, v6, v10
	v_mul_hi_u32 v11, v10, v3
	v_mul_lo_u32 v12, v11, s33
	v_sub_u32_e32 v10, v10, v12
	v_add_u32_e32 v13, 1, v11
	v_cmp_le_u32_e32 vcc, s33, v10
	v_subrev_u32_e32 v12, s33, v10
	v_cndmask_b32_e32 v11, v11, v13, vcc
	v_cndmask_b32_e32 v10, v10, v12, vcc
	v_ashrrev_i32_e32 v9, 31, v6
	v_add_u32_e32 v12, 1, v11
	v_cmp_le_u32_e32 vcc, s33, v10
	v_xor_b32_e32 v9, s11, v9
	v_cndmask_b32_e32 v10, v11, v12, vcc
	v_xor_b32_e32 v10, v10, v9
	v_sub_u32_e32 v9, v10, v9
	v_mad_u64_u32 v[10:11], s[40:41], s37, v9, v[6:7]
	v_ashrrev_i32_e32 v11, 31, v10
	v_lshlrev_b64 v[10:11], 2, v[10:11]
	v_ashrrev_i32_e32 v16, 31, v9
	v_add_co_u32_e32 v10, vcc, s26, v10
	v_mul_lo_u32 v17, v9, s15
	v_mad_u64_u32 v[12:13], s[40:41], v9, s14, 0
	v_mad_u64_u32 v[14:15], s[40:41], s38, v9, v[4:5]
	v_mul_lo_u32 v9, v16, s14
	v_addc_co_u32_e32 v11, vcc, v5, v11, vcc
	v_add3_u32 v13, v13, v17, v9
	v_add_co_u32_e32 v16, vcc, s24, v10
	v_lshlrev_b64 v[12:13], 1, v[12:13]
	v_addc_co_u32_e32 v17, vcc, v11, v7, vcc
	v_add_co_u32_e32 v9, vcc, s27, v12
	v_ashrrev_i32_e32 v15, 31, v14
	v_addc_co_u32_e32 v12, vcc, v8, v13, vcc
	global_load_dword v13, v[10:11], off
	global_load_dword v18, v[16:17], off
	v_lshlrev_b64 v[14:15], 1, v[14:15]
	v_add_co_u32_e32 v10, vcc, v9, v14
	v_addc_co_u32_e32 v11, vcc, v12, v15, vcc
	global_load_dword v9, v[10:11], off
	v_add_u32_e32 v6, s36, v6
	v_cmp_le_i32_e32 vcc, s9, v6
	v_add_u32_e32 v4, s39, v4
	s_or_b64 s[12:13], vcc, s[12:13]
	s_waitcnt vmcnt(2)
	v_cvt_f16_f32_e32 v12, v13
	s_waitcnt vmcnt(1)
	v_cvt_f16_f32_e32 v13, v18
	s_waitcnt vmcnt(0)
	v_mul_f16_sdwa v14, v9, v12 dst_sel:DWORD dst_unused:UNUSED_PAD src0_sel:WORD_1 src1_sel:DWORD
	v_mul_f16_sdwa v15, v9, v13 dst_sel:DWORD dst_unused:UNUSED_PAD src0_sel:WORD_1 src1_sel:DWORD
	v_fma_f16 v13, v9, v13, v14
	v_fma_f16 v9, v9, v12, -v15
	v_pack_b32_f16 v9, v9, v13
	global_store_dword v[10:11], v9, off
	s_andn2_b64 exec, exec, s[12:13]
	s_cbranch_execnz .LBB61_3
.LBB61_4:
	s_or_b64 exec, exec, s[0:1]
	s_load_dwordx4 s[12:15], s[6:7], 0x68
	s_waitcnt lgkmcnt(0)
	s_ashr_i32 s37, s15, 31
	s_mov_b32 s36, s15
	s_or_b64 s[0:1], s[28:29], s[36:37]
	s_mov_b32 s0, 0
	s_cmp_lg_u64 s[0:1], 0
	s_cbranch_scc0 .LBB61_62
; %bb.5:
	s_add_u32 s0, s36, s37
	s_mov_b32 s24, s37
	s_mov_b32 s25, s37
	s_addc_u32 s1, s37, s37
	s_xor_b64 s[38:39], s[0:1], s[24:25]
	v_cvt_f32_u32_e32 v3, s38
	v_cvt_f32_u32_e32 v4, s39
	s_sub_u32 s0, 0, s38
	s_subb_u32 s1, 0, s39
	v_madmk_f32 v3, v4, 0x4f800000, v3
	v_rcp_f32_e32 v3, v3
	v_mul_f32_e32 v3, 0x5f7ffffc, v3
	v_mul_f32_e32 v4, 0x2f800000, v3
	v_trunc_f32_e32 v4, v4
	v_madmk_f32 v3, v4, 0xcf800000, v3
	v_cvt_u32_f32_e32 v4, v4
	v_cvt_u32_f32_e32 v3, v3
	v_readfirstlane_b32 s9, v4
	v_readfirstlane_b32 s11, v3
	s_mul_i32 s15, s0, s9
	s_mul_hi_u32 s40, s0, s11
	s_mul_i32 s33, s1, s11
	s_add_i32 s15, s40, s15
	s_add_i32 s15, s15, s33
	s_mul_i32 s41, s0, s11
	s_mul_hi_u32 s33, s11, s15
	s_mul_i32 s40, s11, s15
	s_mul_hi_u32 s11, s11, s41
	s_add_u32 s11, s11, s40
	s_addc_u32 s33, 0, s33
	s_mul_hi_u32 s42, s9, s41
	s_mul_i32 s41, s9, s41
	s_add_u32 s11, s11, s41
	s_mul_hi_u32 s40, s9, s15
	s_addc_u32 s11, s33, s42
	s_addc_u32 s33, s40, 0
	s_mul_i32 s15, s9, s15
	s_add_u32 s11, s11, s15
	s_addc_u32 s15, 0, s33
	v_add_co_u32_e32 v3, vcc, s11, v3
	s_cmp_lg_u64 vcc, 0
	s_addc_u32 s9, s9, s15
	v_readfirstlane_b32 s15, v3
	s_mul_i32 s11, s0, s9
	s_mul_hi_u32 s33, s0, s15
	s_add_i32 s11, s33, s11
	s_mul_i32 s1, s1, s15
	s_add_i32 s11, s11, s1
	s_mul_i32 s0, s0, s15
	s_mul_hi_u32 s33, s9, s0
	s_mul_i32 s40, s9, s0
	s_mul_i32 s42, s15, s11
	s_mul_hi_u32 s0, s15, s0
	s_mul_hi_u32 s41, s15, s11
	s_add_u32 s0, s0, s42
	s_addc_u32 s15, 0, s41
	s_add_u32 s0, s0, s40
	s_mul_hi_u32 s1, s9, s11
	s_addc_u32 s0, s15, s33
	s_addc_u32 s1, s1, 0
	s_mul_i32 s11, s9, s11
	s_add_u32 s0, s0, s11
	s_addc_u32 s1, 0, s1
	v_add_co_u32_e32 v3, vcc, s0, v3
	s_cmp_lg_u64 vcc, 0
	s_addc_u32 s9, s9, s1
	s_ashr_i32 s40, s29, 31
	s_add_u32 s0, s28, s40
	s_mov_b32 s41, s40
	s_addc_u32 s1, s29, s40
	s_xor_b64 s[42:43], s[0:1], s[40:41]
	v_readfirstlane_b32 s11, v3
	s_mul_i32 s1, s42, s9
	s_mul_hi_u32 s15, s42, s11
	s_mul_hi_u32 s0, s42, s9
	s_add_u32 s1, s15, s1
	s_addc_u32 s0, 0, s0
	s_mul_hi_u32 s33, s43, s11
	s_mul_i32 s11, s43, s11
	s_add_u32 s1, s1, s11
	s_mul_hi_u32 s15, s43, s9
	s_addc_u32 s0, s0, s33
	s_addc_u32 s1, s15, 0
	s_mul_i32 s9, s43, s9
	s_add_u32 s9, s0, s9
	s_addc_u32 s11, 0, s1
	s_mul_i32 s0, s38, s11
	s_mul_hi_u32 s1, s38, s9
	s_add_i32 s0, s1, s0
	s_mul_i32 s1, s39, s9
	s_add_i32 s15, s0, s1
	s_mul_i32 s1, s38, s9
	v_mov_b32_e32 v3, s1
	s_sub_i32 s0, s43, s15
	v_sub_co_u32_e32 v3, vcc, s42, v3
	s_cmp_lg_u64 vcc, 0
	s_subb_u32 s33, s0, s39
	v_subrev_co_u32_e64 v4, s[0:1], s38, v3
	s_cmp_lg_u64 s[0:1], 0
	s_subb_u32 s0, s33, 0
	s_cmp_ge_u32 s0, s39
	v_readfirstlane_b32 s33, v4
	s_cselect_b32 s1, -1, 0
	s_cmp_ge_u32 s33, s38
	s_cselect_b32 s33, -1, 0
	s_cmp_eq_u32 s0, s39
	s_cselect_b32 s0, s33, s1
	s_add_u32 s1, s9, 1
	s_addc_u32 s33, s11, 0
	s_add_u32 s42, s9, 2
	s_addc_u32 s44, s11, 0
	s_cmp_lg_u32 s0, 0
	s_cselect_b32 s0, s42, s1
	s_cselect_b32 s1, s44, s33
	s_cmp_lg_u64 vcc, 0
	s_subb_u32 s15, s43, s15
	s_cmp_ge_u32 s15, s39
	v_readfirstlane_b32 s42, v3
	s_cselect_b32 s33, -1, 0
	s_cmp_ge_u32 s42, s38
	s_cselect_b32 s38, -1, 0
	s_cmp_eq_u32 s15, s39
	s_cselect_b32 s15, s38, s33
	s_cmp_lg_u32 s15, 0
	s_cselect_b32 s1, s1, s11
	s_cselect_b32 s0, s0, s9
	s_xor_b64 s[24:25], s[40:41], s[24:25]
	s_xor_b64 s[0:1], s[0:1], s[24:25]
	s_sub_u32 s24, s0, s24
	s_subb_u32 s25, s1, s25
	s_cbranch_execnz .LBB61_7
.LBB61_6:
	v_cvt_f32_u32_e32 v3, s36
	s_sub_i32 s0, 0, s36
	s_mov_b32 s25, 0
	v_rcp_iflag_f32_e32 v3, v3
	v_mul_f32_e32 v3, 0x4f7ffffe, v3
	v_cvt_u32_f32_e32 v3, v3
	v_readfirstlane_b32 s1, v3
	s_mul_i32 s0, s0, s1
	s_mul_hi_u32 s0, s1, s0
	s_add_i32 s1, s1, s0
	s_mul_hi_u32 s0, s28, s1
	s_mul_i32 s9, s0, s36
	s_sub_i32 s9, s28, s9
	s_add_i32 s1, s0, 1
	s_sub_i32 s11, s9, s36
	s_cmp_ge_u32 s9, s36
	s_cselect_b32 s0, s1, s0
	s_cselect_b32 s9, s11, s9
	s_add_i32 s1, s0, 1
	s_cmp_ge_u32 s9, s36
	s_cselect_b32 s24, s1, s0
.LBB61_7:
	s_mul_i32 s0, s24, s37
	s_mul_hi_u32 s1, s24, s36
	s_load_dwordx2 s[26:27], s[6:7], 0x78
	s_add_i32 s0, s1, s0
	s_mul_i32 s1, s25, s36
	s_add_i32 s0, s0, s1
	s_mul_i32 s1, s24, s36
	s_sub_u32 s9, s28, s1
	s_subb_u32 s15, s29, s0
	v_cmp_gt_i32_e32 vcc, s10, v2
	s_mul_hi_u32 s42, s24, s12
	s_mul_i32 s43, s25, s12
	s_mul_i32 s44, s24, s12
	s_mul_hi_u32 s33, s9, s13
	s_mul_i32 s15, s15, s13
	s_mul_i32 s25, s9, s13
	s_and_saveexec_b64 s[28:29], vcc
	s_cbranch_execz .LBB61_42
; %bb.8:
	s_load_dwordx2 s[0:1], s[4:5], 0x4
	v_bfe_u32 v3, v0, 10, 10
	s_ashr_i32 s4, s12, 31
	s_ashr_i32 s11, s10, 31
	;; [unrolled: 1-line block ×3, first 2 shown]
	s_waitcnt lgkmcnt(0)
	s_lshr_b32 s0, s0, 16
	s_mul_i32 s0, s0, s1
	v_mul_lo_u32 v4, s0, v2
	v_mad_u32_u24 v3, v3, s1, v4
	s_mul_i32 s0, s24, s4
	s_load_dword s1, s[6:7], 0x8c
	s_add_i32 s0, s42, s0
	s_add_i32 s4, s0, s43
	s_ashr_i32 s0, s13, 31
	s_mul_i32 s0, s9, s0
	s_add_i32 s0, s33, s0
	s_add_i32 s5, s0, s15
	s_waitcnt lgkmcnt(0)
	s_and_b32 s46, s1, 0xffff
	s_lshl_b64 s[0:1], s[34:35], 2
	s_add_u32 s0, s30, s0
	v_bfe_u32 v0, v0, 20, 10
	v_lshlrev_b32_e32 v4, 2, v2
	s_addc_u32 s1, s31, s1
	v_add_lshl_u32 v3, v3, v0, 1
	v_mov_b32_e32 v0, s1
	v_add_co_u32_e32 v9, vcc, s0, v4
	v_addc_co_u32_e32 v10, vcc, 0, v0, vcc
	s_lshl_b32 s48, s46, 2
	s_lshl_b64 s[0:1], s[10:11], 2
	v_add_co_u32_e32 v11, vcc, s0, v9
	s_add_u32 s0, s44, s25
	v_mov_b32_e32 v0, s1
	s_addc_u32 s1, s4, s5
	s_add_u32 s4, s2, s14
	s_addc_u32 s5, s3, s36
	s_add_u32 s0, s4, s0
	v_addc_co_u32_e32 v12, vcc, v10, v0, vcc
	s_addc_u32 s1, s5, s1
	v_mov_b32_e32 v0, s1
	v_add_co_u32_e32 v1, vcc, s0, v1
	s_mul_i32 s0, s17, s8
	s_mul_hi_u32 s1, s16, s8
	s_add_i32 s1, s1, s0
	s_mul_i32 s0, s16, s8
	s_load_dword s45, s[26:27], 0x0
	v_addc_co_u32_e32 v5, vcc, 0, v0, vcc
	s_lshl_b32 s11, s46, 1
	s_lshl_b64 s[0:1], s[0:1], 1
	v_add_co_u32_e32 v0, vcc, 1, v1
	s_add_u32 s0, s20, s0
	v_addc_co_u32_e32 v1, vcc, 0, v5, vcc
	s_addc_u32 s1, s21, s1
	v_mov_b32_e32 v5, s1
	v_add_co_u32_e32 v13, vcc, s0, v4
	v_add_u32_e32 v8, 0x800, v3
	s_mov_b32 s47, 0
	v_addc_co_u32_e32 v14, vcc, 0, v5, vcc
	s_mov_b64 s[4:5], 0
	v_mov_b32_e32 v5, 0
	s_movk_i32 s49, 0x80
	s_mov_b64 s[16:17], 0x7f800000
	s_mov_b64 s[20:21], 0x43e00001
	s_movk_i32 s50, 0x7a
	s_mov_b64 s[30:31], 0xffffff
	s_movk_i32 s51, 0x7f
	v_mov_b32_e32 v15, 0xffffff82
	v_mov_b32_e32 v16, 0x78
	s_mov_b64 s[34:35], 0
	v_mov_b32_e32 v17, v2
	s_branch .LBB61_10
.LBB61_9:                               ;   in Loop: Header=BB61_10 Depth=1
	s_or_b64 exec, exec, s[0:1]
	v_add_u32_e32 v17, s46, v17
	s_add_u32 s34, s34, s48
	s_addc_u32 s35, s35, 0
	v_cmp_le_i32_e32 vcc, s10, v17
	global_store_byte v[0:1], v7, off
	v_mov_b32_e32 v4, s47
	s_or_b64 s[4:5], vcc, s[4:5]
	v_add_co_u32_e32 v0, vcc, s11, v0
	v_addc_co_u32_e32 v1, vcc, v1, v4, vcc
	s_andn2_b64 exec, exec, s[4:5]
	s_cbranch_execz .LBB61_42
.LBB61_10:                              ; =>This Inner Loop Header: Depth=1
	v_mov_b32_e32 v4, s35
	v_add_co_u32_e32 v6, vcc, s34, v9
	v_addc_co_u32_e32 v7, vcc, v10, v4, vcc
	v_add_co_u32_e32 v18, vcc, s34, v11
	v_addc_co_u32_e32 v19, vcc, v12, v4, vcc
	global_load_dword v20, v[6:7], off
	global_load_dword v21, v[18:19], off
	v_add_co_u32_e32 v6, vcc, s34, v13
	v_addc_co_u32_e32 v7, vcc, v14, v4, vcc
	global_load_dword v4, v[6:7], off
	s_waitcnt vmcnt(2)
	v_cvt_f16_f32_e32 v19, v20
	s_waitcnt vmcnt(1)
	v_cvt_f16_f32_e32 v18, v21
	v_mov_b32_e32 v21, v5
	s_waitcnt vmcnt(0)
	v_mul_f16_sdwa v20, v4, v18 dst_sel:DWORD dst_unused:UNUSED_PAD src0_sel:WORD_1 src1_sel:DWORD
	v_mul_f16_sdwa v22, v4, v19 dst_sel:DWORD dst_unused:UNUSED_PAD src0_sel:WORD_1 src1_sel:DWORD
	v_fma_f16 v19, v4, v19, -v20
	ds_write_b16 v8, v19
	ds_read_b32 v20, v8
	v_fma_f16 v4, v4, v18, v22
	ds_write_b16 v3, v4
	v_pack_b32_f16 v4, v19, v4
	global_store_dword v[6:7], v4, off
	s_waitcnt lgkmcnt(0)
	v_div_scale_f32 v4, s[0:1], s45, s45, v20
	v_rcp_f32_e32 v6, v4
	v_div_scale_f32 v7, vcc, v20, s45, v20
	ds_read_b32 v18, v3
	v_fma_f32 v19, -v4, v6, 1.0
	v_fmac_f32_e32 v6, v19, v6
	v_mul_f32_e32 v19, v7, v6
	v_fma_f32 v22, -v4, v19, v7
	v_fmac_f32_e32 v19, v22, v6
	v_fma_f32 v4, -v4, v19, v7
	v_div_fmas_f32 v4, v4, v6, v19
	v_div_fixup_f32 v6, v4, s45, v20
	v_and_b32_sdwa v19, v6, s49 dst_sel:DWORD dst_unused:UNUSED_PAD src0_sel:BYTE_3 src1_sel:DWORD
	v_and_b32_e32 v20, 0x7f800000, v6
	v_and_b32_e32 v4, 0x7fffff, v6
	v_or_b32_e32 v7, 0x7e, v19
	v_cmp_ne_u64_e32 vcc, s[16:17], v[20:21]
	s_and_saveexec_b64 s[0:1], vcc
	s_xor_b64 s[36:37], exec, s[0:1]
	s_cbranch_execz .LBB61_24
; %bb.11:                               ;   in Loop: Header=BB61_10 Depth=1
	v_and_b32_e32 v20, 0x7fffffff, v6
	v_mov_b32_e32 v21, v5
	v_cmp_gt_u64_e32 vcc, s[20:21], v[20:21]
	s_and_saveexec_b64 s[0:1], vcc
	s_xor_b64 s[38:39], exec, s[0:1]
	s_cbranch_execz .LBB61_23
; %bb.12:                               ;   in Loop: Header=BB61_10 Depth=1
	v_cmp_ne_u32_e32 vcc, 0, v6
	v_mov_b32_e32 v7, 0
	s_and_saveexec_b64 s[40:41], vcc
	s_cbranch_execz .LBB61_22
; %bb.13:                               ;   in Loop: Header=BB61_10 Depth=1
	v_bfe_u32 v6, v6, 23, 8
	v_sub_u32_e32 v20, 0x79, v6
	v_cmp_gt_u32_e32 vcc, s50, v6
	v_cndmask_b32_e32 v20, 0, v20, vcc
	v_cmp_eq_u32_e32 vcc, 0, v6
	v_cndmask_b32_e32 v20, v20, v16, vcc
	v_add_u32_e32 v7, 0xffffff81, v6
	v_or_b32_e32 v21, 0x800000, v4
	v_add_u32_e32 v6, 20, v20
	v_cndmask_b32_e32 v26, v7, v15, vcc
	v_cndmask_b32_e32 v4, v21, v4, vcc
	v_lshlrev_b64 v[6:7], v6, -1
	v_not_b32_e32 v6, v6
	v_lshrrev_b64 v[24:25], v20, v[4:5]
	v_not_b32_e32 v7, v7
	v_and_b32_e32 v6, v4, v6
	v_add_u32_e32 v21, 19, v20
	v_lshrrev_b32_e32 v4, 23, v24
	v_and_b32_e32 v7, 0, v7
	v_lshlrev_b64 v[22:23], v21, 1
	v_add3_u32 v21, v20, v26, v4
	v_bfe_u32 v4, v24, 20, 1
	v_add_u32_e32 v4, -1, v4
	v_cmp_eq_u64_e32 vcc, v[6:7], v[22:23]
	v_cndmask_b32_e32 v4, 0, v4, vcc
	v_add_u32_e32 v4, v4, v24
	v_and_b32_e32 v4, 0xfffff, v4
	v_add_co_u32_e32 v6, vcc, v4, v24
	v_add_u32_e32 v20, 6, v21
	v_addc_co_u32_e32 v7, vcc, 0, v25, vcc
	v_cmp_ne_u32_e32 vcc, 0, v20
                                        ; implicit-def: $vgpr4
	s_and_saveexec_b64 s[0:1], vcc
	s_xor_b64 s[0:1], exec, s[0:1]
; %bb.14:                               ;   in Loop: Header=BB61_10 Depth=1
	v_add_u32_e32 v4, 7, v21
	v_cmp_lt_u64_e32 vcc, s[30:31], v[6:7]
	v_cndmask_b32_e32 v4, v20, v4, vcc
	v_cndmask_b32_e64 v20, 0, 1, vcc
	v_lshrrev_b64 v[6:7], v20, v[6:7]
; %bb.15:                               ;   in Loop: Header=BB61_10 Depth=1
	s_andn2_saveexec_b64 s[0:1], s[0:1]
; %bb.16:                               ;   in Loop: Header=BB61_10 Depth=1
	v_bfe_u32 v4, v6, 23, 1
; %bb.17:                               ;   in Loop: Header=BB61_10 Depth=1
	s_or_b64 exec, exec, s[0:1]
	v_lshrrev_b64 v[6:7], 20, v[6:7]
	v_cmp_gt_i32_e32 vcc, 16, v4
	v_cndmask_b32_e32 v7, 0, v7, vcc
	v_cndmask_b32_e32 v6, 7, v6, vcc
	v_cmp_ne_u32_e32 vcc, 0, v4
	v_cmp_ne_u64_e64 s[0:1], 0, v[6:7]
	s_or_b64 s[0:1], vcc, s[0:1]
                                        ; implicit-def: $vgpr7
	s_and_saveexec_b64 s[52:53], s[0:1]
	s_xor_b64 s[0:1], exec, s[52:53]
; %bb.18:                               ;   in Loop: Header=BB61_10 Depth=1
	v_min_i32_e32 v4, 15, v4
	v_lshl_or_b32 v4, v4, 3, v19
	v_and_or_b32 v7, v6, 7, v4
                                        ; implicit-def: $vgpr19
; %bb.19:                               ;   in Loop: Header=BB61_10 Depth=1
	s_andn2_saveexec_b64 s[0:1], s[0:1]
; %bb.20:                               ;   in Loop: Header=BB61_10 Depth=1
	v_mov_b32_e32 v7, v19
; %bb.21:                               ;   in Loop: Header=BB61_10 Depth=1
	s_or_b64 exec, exec, s[0:1]
.LBB61_22:                              ;   in Loop: Header=BB61_10 Depth=1
	s_or_b64 exec, exec, s[40:41]
.LBB61_23:                              ;   in Loop: Header=BB61_10 Depth=1
	s_andn2_saveexec_b64 s[0:1], s[38:39]
	s_or_b64 exec, exec, s[0:1]
                                        ; implicit-def: $vgpr6
.LBB61_24:                              ;   in Loop: Header=BB61_10 Depth=1
	s_andn2_saveexec_b64 s[0:1], s[36:37]
; %bb.25:                               ;   in Loop: Header=BB61_10 Depth=1
	v_or_b32_sdwa v6, v6, s51 dst_sel:DWORD dst_unused:UNUSED_PAD src0_sel:BYTE_3 src1_sel:DWORD
	v_cmp_eq_u64_e32 vcc, 0, v[4:5]
	v_cndmask_b32_e32 v7, v6, v7, vcc
; %bb.26:                               ;   in Loop: Header=BB61_10 Depth=1
	s_or_b64 exec, exec, s[0:1]
	s_waitcnt lgkmcnt(0)
	v_div_scale_f32 v4, s[0:1], s45, s45, v18
	v_rcp_f32_e32 v6, v4
	global_store_byte v[0:1], v7, off offset:-1
	v_mov_b32_e32 v21, v5
	v_fma_f32 v7, -v4, v6, 1.0
	v_fmac_f32_e32 v6, v7, v6
	v_div_scale_f32 v7, vcc, v18, s45, v18
	v_mul_f32_e32 v19, v7, v6
	v_fma_f32 v20, -v4, v19, v7
	v_fmac_f32_e32 v19, v20, v6
	v_fma_f32 v4, -v4, v19, v7
	v_div_fmas_f32 v4, v4, v6, v19
	v_div_fixup_f32 v6, v4, s45, v18
	v_and_b32_sdwa v18, v6, s49 dst_sel:DWORD dst_unused:UNUSED_PAD src0_sel:BYTE_3 src1_sel:DWORD
	v_and_b32_e32 v20, 0x7f800000, v6
	v_and_b32_e32 v4, 0x7fffff, v6
	v_or_b32_e32 v7, 0x7e, v18
	v_cmp_ne_u64_e32 vcc, s[16:17], v[20:21]
	s_and_saveexec_b64 s[0:1], vcc
	s_xor_b64 s[36:37], exec, s[0:1]
	s_cbranch_execz .LBB61_40
; %bb.27:                               ;   in Loop: Header=BB61_10 Depth=1
	v_and_b32_e32 v20, 0x7fffffff, v6
	v_mov_b32_e32 v21, v5
	v_cmp_gt_u64_e32 vcc, s[20:21], v[20:21]
	s_and_saveexec_b64 s[0:1], vcc
	s_xor_b64 s[38:39], exec, s[0:1]
	s_cbranch_execz .LBB61_39
; %bb.28:                               ;   in Loop: Header=BB61_10 Depth=1
	v_cmp_ne_u32_e32 vcc, 0, v6
	v_mov_b32_e32 v7, 0
	s_and_saveexec_b64 s[40:41], vcc
	s_cbranch_execz .LBB61_38
; %bb.29:                               ;   in Loop: Header=BB61_10 Depth=1
	v_bfe_u32 v6, v6, 23, 8
	v_sub_u32_e32 v19, 0x79, v6
	v_cmp_gt_u32_e32 vcc, s50, v6
	v_cndmask_b32_e32 v19, 0, v19, vcc
	v_cmp_eq_u32_e32 vcc, 0, v6
	v_cndmask_b32_e32 v19, v19, v16, vcc
	v_add_u32_e32 v7, 0xffffff81, v6
	v_or_b32_e32 v20, 0x800000, v4
	v_add_u32_e32 v6, 20, v19
	v_cndmask_b32_e32 v21, v7, v15, vcc
	v_cndmask_b32_e32 v4, v20, v4, vcc
	v_lshlrev_b64 v[6:7], v6, -1
	v_not_b32_e32 v6, v6
	v_lshrrev_b64 v[24:25], v19, v[4:5]
	v_not_b32_e32 v7, v7
	v_and_b32_e32 v6, v4, v6
	v_add_u32_e32 v20, 19, v19
	v_lshrrev_b32_e32 v4, 23, v24
	v_and_b32_e32 v7, 0, v7
	v_lshlrev_b64 v[22:23], v20, 1
	v_add3_u32 v20, v19, v21, v4
	v_bfe_u32 v4, v24, 20, 1
	v_add_u32_e32 v4, -1, v4
	v_cmp_eq_u64_e32 vcc, v[6:7], v[22:23]
	v_cndmask_b32_e32 v4, 0, v4, vcc
	v_add_u32_e32 v4, v4, v24
	v_and_b32_e32 v4, 0xfffff, v4
	v_add_co_u32_e32 v6, vcc, v4, v24
	v_add_u32_e32 v19, 6, v20
	v_addc_co_u32_e32 v7, vcc, 0, v25, vcc
	v_cmp_ne_u32_e32 vcc, 0, v19
                                        ; implicit-def: $vgpr4
	s_and_saveexec_b64 s[0:1], vcc
	s_xor_b64 s[0:1], exec, s[0:1]
; %bb.30:                               ;   in Loop: Header=BB61_10 Depth=1
	v_add_u32_e32 v4, 7, v20
	v_cmp_lt_u64_e32 vcc, s[30:31], v[6:7]
	v_cndmask_b32_e32 v4, v19, v4, vcc
	v_cndmask_b32_e64 v19, 0, 1, vcc
	v_lshrrev_b64 v[6:7], v19, v[6:7]
; %bb.31:                               ;   in Loop: Header=BB61_10 Depth=1
	s_andn2_saveexec_b64 s[0:1], s[0:1]
; %bb.32:                               ;   in Loop: Header=BB61_10 Depth=1
	v_bfe_u32 v4, v6, 23, 1
; %bb.33:                               ;   in Loop: Header=BB61_10 Depth=1
	s_or_b64 exec, exec, s[0:1]
	v_lshrrev_b64 v[6:7], 20, v[6:7]
	v_cmp_gt_i32_e32 vcc, 16, v4
	v_cndmask_b32_e32 v7, 0, v7, vcc
	v_cndmask_b32_e32 v6, 7, v6, vcc
	v_cmp_ne_u32_e32 vcc, 0, v4
	v_cmp_ne_u64_e64 s[0:1], 0, v[6:7]
	s_or_b64 s[0:1], vcc, s[0:1]
                                        ; implicit-def: $vgpr7
	s_and_saveexec_b64 s[52:53], s[0:1]
	s_xor_b64 s[0:1], exec, s[52:53]
; %bb.34:                               ;   in Loop: Header=BB61_10 Depth=1
	v_min_i32_e32 v4, 15, v4
	v_lshl_or_b32 v4, v4, 3, v18
	v_and_or_b32 v7, v6, 7, v4
                                        ; implicit-def: $vgpr18
; %bb.35:                               ;   in Loop: Header=BB61_10 Depth=1
	s_andn2_saveexec_b64 s[0:1], s[0:1]
; %bb.36:                               ;   in Loop: Header=BB61_10 Depth=1
	v_mov_b32_e32 v7, v18
; %bb.37:                               ;   in Loop: Header=BB61_10 Depth=1
	s_or_b64 exec, exec, s[0:1]
.LBB61_38:                              ;   in Loop: Header=BB61_10 Depth=1
	s_or_b64 exec, exec, s[40:41]
.LBB61_39:                              ;   in Loop: Header=BB61_10 Depth=1
	s_andn2_saveexec_b64 s[0:1], s[38:39]
	s_or_b64 exec, exec, s[0:1]
                                        ; implicit-def: $vgpr6
.LBB61_40:                              ;   in Loop: Header=BB61_10 Depth=1
	s_andn2_saveexec_b64 s[0:1], s[36:37]
	s_cbranch_execz .LBB61_9
; %bb.41:                               ;   in Loop: Header=BB61_10 Depth=1
	v_or_b32_sdwa v6, v6, s51 dst_sel:DWORD dst_unused:UNUSED_PAD src0_sel:BYTE_3 src1_sel:DWORD
	v_cmp_eq_u64_e32 vcc, 0, v[4:5]
	v_cndmask_b32_e32 v7, v6, v7, vcc
	s_branch .LBB61_9
.LBB61_42:
	s_or_b64 exec, exec, s[28:29]
	v_cmp_gt_i32_e32 vcc, s14, v2
	s_and_saveexec_b64 s[0:1], vcc
	s_cbranch_execz .LBB61_61
; %bb.43:
	s_mul_i32 s0, s8, s19
	s_mul_hi_u32 s1, s8, s18
	s_add_i32 s1, s1, s0
	s_mul_i32 s0, s8, s18
	s_lshl_b64 s[0:1], s[0:1], 1
	s_add_u32 s18, s22, s0
	s_addc_u32 s0, s23, s1
	s_ashr_i32 s1, s12, 31
	s_mul_i32 s1, s24, s1
	s_add_i32 s1, s42, s1
	s_add_i32 s1, s1, s43
	s_add_u32 s2, s2, s44
	s_addc_u32 s1, s3, s1
	s_ashr_i32 s3, s13, 31
	s_load_dword s4, s[6:7], 0x8c
	s_mul_i32 s9, s9, s3
	s_waitcnt lgkmcnt(0)
	s_load_dword s20, s[26:27], 0x0
	s_add_i32 s3, s33, s9
	s_add_i32 s3, s3, s15
	s_add_u32 s15, s2, s25
	s_addc_u32 s19, s1, s3
	s_and_b32 s21, s4, 0xffff
	s_mov_b64 s[2:3], 0
	v_mov_b32_e32 v6, s0
	v_mov_b32_e32 v1, 0
	s_movk_i32 s22, 0x80
	s_mov_b64 s[4:5], 0x7f800000
	s_mov_b64 s[6:7], 0x43e00001
	s_movk_i32 s23, 0x7a
	s_mov_b64 s[8:9], 0xffffff
	s_movk_i32 s24, 0x7f
	v_mov_b32_e32 v7, 0xffffff82
	v_mov_b32_e32 v8, 0x78
	s_branch .LBB61_45
.LBB61_44:                              ;   in Loop: Header=BB61_45 Depth=1
	s_or_b64 exec, exec, s[0:1]
	v_mov_b32_e32 v0, s19
	v_add_co_u32_e32 v10, vcc, s15, v2
	v_addc_co_u32_e32 v11, vcc, v0, v3, vcc
	v_add_u32_e32 v2, s21, v2
	v_cmp_le_i32_e32 vcc, s14, v2
	s_or_b64 s[2:3], vcc, s[2:3]
	global_store_byte v[10:11], v5, off
	s_andn2_b64 exec, exec, s[2:3]
	s_cbranch_execz .LBB61_61
.LBB61_45:                              ; =>This Inner Loop Header: Depth=1
	v_ashrrev_i32_e32 v3, 31, v2
	v_lshlrev_b64 v[4:5], 1, v[2:3]
	v_add_co_u32_e32 v4, vcc, s18, v4
	v_addc_co_u32_e32 v5, vcc, v6, v5, vcc
	global_load_dword v0, v[4:5], off
	v_mov_b32_e32 v11, v1
	s_waitcnt vmcnt(0) lgkmcnt(0)
	v_div_scale_f32 v4, s[0:1], s20, s20, v0
	v_rcp_f32_e32 v5, v4
	v_div_scale_f32 v9, vcc, v0, s20, v0
	v_fma_f32 v10, -v4, v5, 1.0
	v_fmac_f32_e32 v5, v10, v5
	v_mul_f32_e32 v10, v9, v5
	v_fma_f32 v12, -v4, v10, v9
	v_fmac_f32_e32 v10, v12, v5
	v_fma_f32 v4, -v4, v10, v9
	v_div_fmas_f32 v4, v4, v5, v10
	v_div_fixup_f32 v4, v4, s20, v0
	v_and_b32_sdwa v9, v4, s22 dst_sel:DWORD dst_unused:UNUSED_PAD src0_sel:BYTE_3 src1_sel:DWORD
	v_and_b32_e32 v10, 0x7f800000, v4
	v_and_b32_e32 v0, 0x7fffff, v4
	v_or_b32_e32 v5, 0x7e, v9
	v_cmp_ne_u64_e32 vcc, s[4:5], v[10:11]
	s_and_saveexec_b64 s[0:1], vcc
	s_xor_b64 s[10:11], exec, s[0:1]
	s_cbranch_execz .LBB61_59
; %bb.46:                               ;   in Loop: Header=BB61_45 Depth=1
	v_and_b32_e32 v10, 0x7fffffff, v4
	v_mov_b32_e32 v11, v1
	v_cmp_gt_u64_e32 vcc, s[6:7], v[10:11]
	s_and_saveexec_b64 s[0:1], vcc
	s_xor_b64 s[12:13], exec, s[0:1]
	s_cbranch_execz .LBB61_58
; %bb.47:                               ;   in Loop: Header=BB61_45 Depth=1
	v_cmp_ne_u32_e32 vcc, 0, v4
	v_mov_b32_e32 v5, 0
	s_and_saveexec_b64 s[16:17], vcc
	s_cbranch_execz .LBB61_57
; %bb.48:                               ;   in Loop: Header=BB61_45 Depth=1
	v_bfe_u32 v4, v4, 23, 8
	v_sub_u32_e32 v10, 0x79, v4
	v_cmp_gt_u32_e32 vcc, s23, v4
	v_cndmask_b32_e32 v10, 0, v10, vcc
	v_cmp_eq_u32_e32 vcc, 0, v4
	v_cndmask_b32_e32 v10, v10, v8, vcc
	v_add_u32_e32 v5, 0xffffff81, v4
	v_or_b32_e32 v11, 0x800000, v0
	v_add_u32_e32 v4, 20, v10
	v_cndmask_b32_e32 v16, v5, v7, vcc
	v_cndmask_b32_e32 v0, v11, v0, vcc
	v_lshlrev_b64 v[4:5], v4, -1
	v_not_b32_e32 v4, v4
	v_lshrrev_b64 v[14:15], v10, v[0:1]
	v_not_b32_e32 v5, v5
	v_and_b32_e32 v4, v0, v4
	v_add_u32_e32 v11, 19, v10
	v_lshrrev_b32_e32 v0, 23, v14
	v_and_b32_e32 v5, 0, v5
	v_lshlrev_b64 v[12:13], v11, 1
	v_add3_u32 v11, v10, v16, v0
	v_bfe_u32 v0, v14, 20, 1
	v_add_u32_e32 v0, -1, v0
	v_cmp_eq_u64_e32 vcc, v[4:5], v[12:13]
	v_cndmask_b32_e32 v0, 0, v0, vcc
	v_add_u32_e32 v0, v0, v14
	v_and_b32_e32 v0, 0xfffff, v0
	v_add_co_u32_e32 v4, vcc, v0, v14
	v_add_u32_e32 v10, 6, v11
	v_addc_co_u32_e32 v5, vcc, 0, v15, vcc
	v_cmp_ne_u32_e32 vcc, 0, v10
                                        ; implicit-def: $vgpr0
	s_and_saveexec_b64 s[0:1], vcc
	s_xor_b64 s[0:1], exec, s[0:1]
; %bb.49:                               ;   in Loop: Header=BB61_45 Depth=1
	v_add_u32_e32 v0, 7, v11
	v_cmp_lt_u64_e32 vcc, s[8:9], v[4:5]
	v_cndmask_b32_e32 v0, v10, v0, vcc
	v_cndmask_b32_e64 v10, 0, 1, vcc
	v_lshrrev_b64 v[4:5], v10, v[4:5]
; %bb.50:                               ;   in Loop: Header=BB61_45 Depth=1
	s_andn2_saveexec_b64 s[0:1], s[0:1]
; %bb.51:                               ;   in Loop: Header=BB61_45 Depth=1
	v_bfe_u32 v0, v4, 23, 1
; %bb.52:                               ;   in Loop: Header=BB61_45 Depth=1
	s_or_b64 exec, exec, s[0:1]
	v_lshrrev_b64 v[4:5], 20, v[4:5]
	v_cmp_gt_i32_e32 vcc, 16, v0
	v_cndmask_b32_e32 v5, 0, v5, vcc
	v_cndmask_b32_e32 v4, 7, v4, vcc
	v_cmp_ne_u32_e32 vcc, 0, v0
	v_cmp_ne_u64_e64 s[0:1], 0, v[4:5]
	s_or_b64 s[0:1], vcc, s[0:1]
                                        ; implicit-def: $vgpr5
	s_and_saveexec_b64 s[26:27], s[0:1]
	s_xor_b64 s[0:1], exec, s[26:27]
; %bb.53:                               ;   in Loop: Header=BB61_45 Depth=1
	v_min_i32_e32 v0, 15, v0
	v_lshl_or_b32 v0, v0, 3, v9
	v_and_or_b32 v5, v4, 7, v0
                                        ; implicit-def: $vgpr9
; %bb.54:                               ;   in Loop: Header=BB61_45 Depth=1
	s_andn2_saveexec_b64 s[0:1], s[0:1]
; %bb.55:                               ;   in Loop: Header=BB61_45 Depth=1
	v_mov_b32_e32 v5, v9
; %bb.56:                               ;   in Loop: Header=BB61_45 Depth=1
	s_or_b64 exec, exec, s[0:1]
.LBB61_57:                              ;   in Loop: Header=BB61_45 Depth=1
	s_or_b64 exec, exec, s[16:17]
.LBB61_58:                              ;   in Loop: Header=BB61_45 Depth=1
	s_andn2_saveexec_b64 s[0:1], s[12:13]
	s_or_b64 exec, exec, s[0:1]
                                        ; implicit-def: $vgpr4
.LBB61_59:                              ;   in Loop: Header=BB61_45 Depth=1
	s_andn2_saveexec_b64 s[0:1], s[10:11]
	s_cbranch_execz .LBB61_44
; %bb.60:                               ;   in Loop: Header=BB61_45 Depth=1
	v_or_b32_sdwa v4, v4, s24 dst_sel:DWORD dst_unused:UNUSED_PAD src0_sel:BYTE_3 src1_sel:DWORD
	v_cmp_eq_u64_e32 vcc, 0, v[0:1]
	v_cndmask_b32_e32 v5, v4, v5, vcc
	s_branch .LBB61_44
.LBB61_61:
	s_endpgm
.LBB61_62:
                                        ; implicit-def: $sgpr24_sgpr25
	s_branch .LBB61_6
	.section	.rodata,"a",@progbits
	.p2align	6, 0x0
	.amdhsa_kernel _ZN4vllm38concat_and_cache_mla_rope_fused_kernelIN3c104HalfEfLb0EfhLNS_18Fp8KVCacheDataTypeE1EEEvPKlPT_S7_PKS6_PKT0_illlliPT3_S5_iiiiPKf
		.amdhsa_group_segment_fixed_size 4096
		.amdhsa_private_segment_fixed_size 0
		.amdhsa_kernarg_size 384
		.amdhsa_user_sgpr_count 8
		.amdhsa_user_sgpr_private_segment_buffer 1
		.amdhsa_user_sgpr_dispatch_ptr 1
		.amdhsa_user_sgpr_queue_ptr 0
		.amdhsa_user_sgpr_kernarg_segment_ptr 1
		.amdhsa_user_sgpr_dispatch_id 0
		.amdhsa_user_sgpr_flat_scratch_init 0
		.amdhsa_user_sgpr_kernarg_preload_length 0
		.amdhsa_user_sgpr_kernarg_preload_offset 0
		.amdhsa_user_sgpr_private_segment_size 0
		.amdhsa_uses_dynamic_stack 0
		.amdhsa_system_sgpr_private_segment_wavefront_offset 0
		.amdhsa_system_sgpr_workgroup_id_x 1
		.amdhsa_system_sgpr_workgroup_id_y 0
		.amdhsa_system_sgpr_workgroup_id_z 0
		.amdhsa_system_sgpr_workgroup_info 0
		.amdhsa_system_vgpr_workitem_id 2
		.amdhsa_next_free_vgpr 27
		.amdhsa_next_free_sgpr 54
		.amdhsa_accum_offset 28
		.amdhsa_reserve_vcc 1
		.amdhsa_reserve_flat_scratch 0
		.amdhsa_float_round_mode_32 0
		.amdhsa_float_round_mode_16_64 0
		.amdhsa_float_denorm_mode_32 3
		.amdhsa_float_denorm_mode_16_64 3
		.amdhsa_dx10_clamp 1
		.amdhsa_ieee_mode 1
		.amdhsa_fp16_overflow 0
		.amdhsa_tg_split 0
		.amdhsa_exception_fp_ieee_invalid_op 0
		.amdhsa_exception_fp_denorm_src 0
		.amdhsa_exception_fp_ieee_div_zero 0
		.amdhsa_exception_fp_ieee_overflow 0
		.amdhsa_exception_fp_ieee_underflow 0
		.amdhsa_exception_fp_ieee_inexact 0
		.amdhsa_exception_int_div_zero 0
	.end_amdhsa_kernel
	.section	.text._ZN4vllm38concat_and_cache_mla_rope_fused_kernelIN3c104HalfEfLb0EfhLNS_18Fp8KVCacheDataTypeE1EEEvPKlPT_S7_PKS6_PKT0_illlliPT3_S5_iiiiPKf,"axG",@progbits,_ZN4vllm38concat_and_cache_mla_rope_fused_kernelIN3c104HalfEfLb0EfhLNS_18Fp8KVCacheDataTypeE1EEEvPKlPT_S7_PKS6_PKT0_illlliPT3_S5_iiiiPKf,comdat
.Lfunc_end61:
	.size	_ZN4vllm38concat_and_cache_mla_rope_fused_kernelIN3c104HalfEfLb0EfhLNS_18Fp8KVCacheDataTypeE1EEEvPKlPT_S7_PKS6_PKT0_illlliPT3_S5_iiiiPKf, .Lfunc_end61-_ZN4vllm38concat_and_cache_mla_rope_fused_kernelIN3c104HalfEfLb0EfhLNS_18Fp8KVCacheDataTypeE1EEEvPKlPT_S7_PKS6_PKT0_illlliPT3_S5_iiiiPKf
                                        ; -- End function
	.section	.AMDGPU.csdata,"",@progbits
; Kernel info:
; codeLenInByte = 3768
; NumSgprs: 58
; NumVgprs: 27
; NumAgprs: 0
; TotalNumVgprs: 27
; ScratchSize: 0
; MemoryBound: 0
; FloatMode: 240
; IeeeMode: 1
; LDSByteSize: 4096 bytes/workgroup (compile time only)
; SGPRBlocks: 7
; VGPRBlocks: 3
; NumSGPRsForWavesPerEU: 58
; NumVGPRsForWavesPerEU: 27
; AccumOffset: 28
; Occupancy: 8
; WaveLimiterHint : 1
; COMPUTE_PGM_RSRC2:SCRATCH_EN: 0
; COMPUTE_PGM_RSRC2:USER_SGPR: 8
; COMPUTE_PGM_RSRC2:TRAP_HANDLER: 0
; COMPUTE_PGM_RSRC2:TGID_X_EN: 1
; COMPUTE_PGM_RSRC2:TGID_Y_EN: 0
; COMPUTE_PGM_RSRC2:TGID_Z_EN: 0
; COMPUTE_PGM_RSRC2:TIDIG_COMP_CNT: 2
; COMPUTE_PGM_RSRC3_GFX90A:ACCUM_OFFSET: 6
; COMPUTE_PGM_RSRC3_GFX90A:TG_SPLIT: 0
	.section	.text._ZN4vllm38concat_and_cache_mla_rope_fused_kernelIN3c104HalfES2_Lb1EfhLNS_18Fp8KVCacheDataTypeE1EEEvPKlPT_S7_PKS6_PKT0_illlliPT3_S5_iiiiPKf,"axG",@progbits,_ZN4vllm38concat_and_cache_mla_rope_fused_kernelIN3c104HalfES2_Lb1EfhLNS_18Fp8KVCacheDataTypeE1EEEvPKlPT_S7_PKS6_PKT0_illlliPT3_S5_iiiiPKf,comdat
	.protected	_ZN4vllm38concat_and_cache_mla_rope_fused_kernelIN3c104HalfES2_Lb1EfhLNS_18Fp8KVCacheDataTypeE1EEEvPKlPT_S7_PKS6_PKT0_illlliPT3_S5_iiiiPKf ; -- Begin function _ZN4vllm38concat_and_cache_mla_rope_fused_kernelIN3c104HalfES2_Lb1EfhLNS_18Fp8KVCacheDataTypeE1EEEvPKlPT_S7_PKS6_PKT0_illlliPT3_S5_iiiiPKf
	.globl	_ZN4vllm38concat_and_cache_mla_rope_fused_kernelIN3c104HalfES2_Lb1EfhLNS_18Fp8KVCacheDataTypeE1EEEvPKlPT_S7_PKS6_PKT0_illlliPT3_S5_iiiiPKf
	.p2align	8
	.type	_ZN4vllm38concat_and_cache_mla_rope_fused_kernelIN3c104HalfES2_Lb1EfhLNS_18Fp8KVCacheDataTypeE1EEEvPKlPT_S7_PKS6_PKT0_illlliPT3_S5_iiiiPKf,@function
_ZN4vllm38concat_and_cache_mla_rope_fused_kernelIN3c104HalfES2_Lb1EfhLNS_18Fp8KVCacheDataTypeE1EEEvPKlPT_S7_PKS6_PKT0_illlliPT3_S5_iiiiPKf: ; @_ZN4vllm38concat_and_cache_mla_rope_fused_kernelIN3c104HalfES2_Lb1EfhLNS_18Fp8KVCacheDataTypeE1EEEvPKlPT_S7_PKS6_PKT0_illlliPT3_S5_iiiiPKf
; %bb.0:
	s_load_dwordx2 s[2:3], s[6:7], 0x60
	s_mov_b32 s9, 0
	s_lshl_b64 s[0:1], s[8:9], 3
	s_waitcnt lgkmcnt(0)
	s_add_u32 s2, s2, s0
	s_addc_u32 s3, s3, s1
	s_load_dwordx2 s[28:29], s[2:3], 0x0
	s_waitcnt lgkmcnt(0)
	v_cmp_lt_i64_e64 s[2:3], s[28:29], 0
	s_and_b64 vcc, exec, s[2:3]
	s_cbranch_vccnz .LBB62_61
; %bb.1:
	s_load_dword s24, s[6:7], 0x28
	s_load_dwordx2 s[2:3], s[6:7], 0x0
	s_load_dwordx2 s[30:31], s[6:7], 0x20
	s_load_dwordx4 s[20:23], s[6:7], 0x10
	v_and_b32_e32 v2, 0x3ff, v0
	s_waitcnt lgkmcnt(0)
	s_ashr_i32 s9, s24, 31
	s_add_u32 s0, s2, s0
	s_addc_u32 s1, s3, s1
	s_load_dwordx2 s[10:11], s[0:1], 0x0
	s_load_dwordx8 s[12:19], s[6:7], 0x30
	s_load_dwordx2 s[2:3], s[6:7], 0x58
	s_load_dword s25, s[6:7], 0x50
	s_waitcnt lgkmcnt(0)
	s_mul_i32 s0, s10, s9
	s_mul_hi_u32 s1, s10, s24
	s_add_i32 s0, s1, s0
	s_mul_i32 s1, s11, s24
	s_add_i32 s1, s0, s1
	s_mul_i32 s0, s10, s24
	s_lshl_b64 s[34:35], s[0:1], 1
	s_add_u32 s9, s30, s34
	s_addc_u32 s33, s31, s35
	s_lshr_b32 s0, s24, 31
	s_add_i32 s24, s24, s0
	s_ashr_i32 s10, s24, 1
	s_mul_i32 s26, s10, s25
	v_cmp_gt_i32_e32 vcc, s26, v2
	s_and_saveexec_b64 s[0:1], vcc
	s_cbranch_execz .LBB62_4
; %bb.2:
	s_load_dwordx2 s[24:25], s[6:7], 0x8
	s_load_dword s37, s[6:7], 0x8c
	s_mul_i32 s13, s8, s13
	s_mul_hi_u32 s27, s8, s12
	s_add_i32 s13, s27, s13
	s_mul_i32 s12, s8, s12
	s_ashr_i32 s11, s10, 31
	s_lshl_b64 s[12:13], s[12:13], 1
	s_waitcnt lgkmcnt(0)
	s_add_u32 s27, s24, s12
	s_addc_u32 s39, s25, s13
	s_abs_i32 s36, s10
	v_cvt_f32_u32_e32 v1, s36
	s_sub_i32 s24, 0, s36
	s_mov_b64 s[12:13], 0
	s_and_b32 s37, s37, 0xffff
	v_rcp_iflag_f32_e32 v3, v1
	v_mov_b32_e32 v1, s33
	s_sub_i32 s38, 0, s10
	v_mov_b32_e32 v6, s39
	v_mul_f32_e32 v3, 0x4f7ffffe, v3
	v_cvt_u32_f32_e32 v3, v3
	v_mul_lo_u32 v4, s24, v3
	v_mul_hi_u32 v4, v3, v4
	s_lshl_b64 s[24:25], s[10:11], 1
	v_add_u32_e32 v3, v3, v4
	v_mov_b32_e32 v5, s25
	v_mov_b32_e32 v4, v2
.LBB62_3:                               ; =>This Inner Loop Header: Depth=1
	v_sub_u32_e32 v8, 0, v4
	v_max_i32_e32 v8, v4, v8
	v_mul_hi_u32 v9, v8, v3
	v_mul_lo_u32 v10, v9, s36
	v_sub_u32_e32 v8, v8, v10
	v_add_u32_e32 v11, 1, v9
	v_cmp_le_u32_e32 vcc, s36, v8
	v_subrev_u32_e32 v10, s36, v8
	v_cndmask_b32_e32 v9, v9, v11, vcc
	v_cndmask_b32_e32 v8, v8, v10, vcc
	v_ashrrev_i32_e32 v7, 31, v4
	v_add_u32_e32 v10, 1, v9
	v_cmp_le_u32_e32 vcc, s36, v8
	v_xor_b32_e32 v7, s11, v7
	v_cndmask_b32_e32 v8, v9, v10, vcc
	v_xor_b32_e32 v8, v8, v7
	v_sub_u32_e32 v7, v8, v7
	v_mad_u64_u32 v[8:9], s[40:41], s38, v7, v[4:5]
	v_ashrrev_i32_e32 v9, 31, v8
	v_ashrrev_i32_e32 v12, 31, v7
	v_lshlrev_b64 v[8:9], 1, v[8:9]
	v_mul_lo_u32 v13, v7, s15
	v_mad_u64_u32 v[10:11], s[40:41], v7, s14, 0
	v_mul_lo_u32 v7, v12, s14
	v_add_co_u32_e32 v12, vcc, s9, v8
	v_add3_u32 v11, v11, v13, v7
	v_addc_co_u32_e32 v13, vcc, v1, v9, vcc
	v_add_co_u32_e32 v14, vcc, s24, v12
	v_lshlrev_b64 v[10:11], 1, v[10:11]
	v_addc_co_u32_e32 v15, vcc, v13, v5, vcc
	v_add_co_u32_e32 v7, vcc, s27, v10
	v_addc_co_u32_e32 v10, vcc, v6, v11, vcc
	v_add_co_u32_e32 v8, vcc, v7, v8
	;; [unrolled: 2-line block ×3, first 2 shown]
	global_load_ushort v16, v[12:13], off
	global_load_ushort v17, v[14:15], off
	v_addc_co_u32_e32 v11, vcc, v9, v5, vcc
	global_load_ushort v7, v[8:9], off
	global_load_ushort v12, v[10:11], off
	v_add_u32_e32 v4, s37, v4
	v_cmp_le_i32_e32 vcc, s26, v4
	s_or_b64 s[12:13], vcc, s[12:13]
	s_waitcnt vmcnt(0)
	v_mul_f16_e32 v13, v17, v12
	v_mul_f16_e32 v12, v16, v12
	v_fma_f16 v13, v16, v7, -v13
	v_fma_f16 v7, v17, v7, v12
	global_store_short v[8:9], v13, off
	global_store_short v[10:11], v7, off
	s_andn2_b64 exec, exec, s[12:13]
	s_cbranch_execnz .LBB62_3
.LBB62_4:
	s_or_b64 exec, exec, s[0:1]
	s_load_dwordx4 s[12:15], s[6:7], 0x68
	s_waitcnt lgkmcnt(0)
	s_ashr_i32 s37, s15, 31
	s_mov_b32 s36, s15
	s_or_b64 s[0:1], s[28:29], s[36:37]
	s_mov_b32 s0, 0
	s_cmp_lg_u64 s[0:1], 0
	s_cbranch_scc0 .LBB62_62
; %bb.5:
	s_add_u32 s0, s36, s37
	s_mov_b32 s24, s37
	s_mov_b32 s25, s37
	s_addc_u32 s1, s37, s37
	s_xor_b64 s[38:39], s[0:1], s[24:25]
	v_cvt_f32_u32_e32 v1, s38
	v_cvt_f32_u32_e32 v3, s39
	s_sub_u32 s0, 0, s38
	s_subb_u32 s1, 0, s39
	v_madmk_f32 v1, v3, 0x4f800000, v1
	v_rcp_f32_e32 v1, v1
	v_mul_f32_e32 v1, 0x5f7ffffc, v1
	v_mul_f32_e32 v3, 0x2f800000, v1
	v_trunc_f32_e32 v3, v3
	v_madmk_f32 v1, v3, 0xcf800000, v1
	v_cvt_u32_f32_e32 v3, v3
	v_cvt_u32_f32_e32 v1, v1
	v_readfirstlane_b32 s11, v3
	v_readfirstlane_b32 s15, v1
	s_mul_i32 s40, s0, s11
	s_mul_hi_u32 s42, s0, s15
	s_mul_i32 s41, s1, s15
	s_add_i32 s40, s42, s40
	s_add_i32 s40, s40, s41
	s_mul_i32 s43, s0, s15
	s_mul_hi_u32 s41, s15, s40
	s_mul_i32 s42, s15, s40
	s_mul_hi_u32 s15, s15, s43
	s_add_u32 s15, s15, s42
	s_addc_u32 s41, 0, s41
	s_mul_hi_u32 s44, s11, s43
	s_mul_i32 s43, s11, s43
	s_add_u32 s15, s15, s43
	s_mul_hi_u32 s42, s11, s40
	s_addc_u32 s15, s41, s44
	s_addc_u32 s41, s42, 0
	s_mul_i32 s40, s11, s40
	s_add_u32 s15, s15, s40
	s_addc_u32 s40, 0, s41
	v_add_co_u32_e32 v1, vcc, s15, v1
	s_cmp_lg_u64 vcc, 0
	s_addc_u32 s11, s11, s40
	v_readfirstlane_b32 s40, v1
	s_mul_i32 s15, s0, s11
	s_mul_hi_u32 s41, s0, s40
	s_add_i32 s15, s41, s15
	s_mul_i32 s1, s1, s40
	s_add_i32 s15, s15, s1
	s_mul_i32 s0, s0, s40
	s_mul_hi_u32 s41, s11, s0
	s_mul_i32 s42, s11, s0
	s_mul_i32 s44, s40, s15
	s_mul_hi_u32 s0, s40, s0
	s_mul_hi_u32 s43, s40, s15
	s_add_u32 s0, s0, s44
	s_addc_u32 s40, 0, s43
	s_add_u32 s0, s0, s42
	s_mul_hi_u32 s1, s11, s15
	s_addc_u32 s0, s40, s41
	s_addc_u32 s1, s1, 0
	s_mul_i32 s15, s11, s15
	s_add_u32 s0, s0, s15
	s_addc_u32 s1, 0, s1
	v_add_co_u32_e32 v1, vcc, s0, v1
	s_cmp_lg_u64 vcc, 0
	s_addc_u32 s11, s11, s1
	s_ashr_i32 s40, s29, 31
	s_add_u32 s0, s28, s40
	s_mov_b32 s41, s40
	s_addc_u32 s1, s29, s40
	s_xor_b64 s[42:43], s[0:1], s[40:41]
	v_readfirstlane_b32 s15, v1
	s_mul_i32 s1, s42, s11
	s_mul_hi_u32 s44, s42, s15
	s_mul_hi_u32 s0, s42, s11
	s_add_u32 s1, s44, s1
	s_addc_u32 s0, 0, s0
	s_mul_hi_u32 s45, s43, s15
	s_mul_i32 s15, s43, s15
	s_add_u32 s1, s1, s15
	s_mul_hi_u32 s44, s43, s11
	s_addc_u32 s0, s0, s45
	s_addc_u32 s1, s44, 0
	s_mul_i32 s11, s43, s11
	s_add_u32 s11, s0, s11
	s_addc_u32 s15, 0, s1
	s_mul_i32 s0, s38, s15
	s_mul_hi_u32 s1, s38, s11
	s_add_i32 s0, s1, s0
	s_mul_i32 s1, s39, s11
	s_add_i32 s44, s0, s1
	s_mul_i32 s1, s38, s11
	v_mov_b32_e32 v1, s1
	s_sub_i32 s0, s43, s44
	v_sub_co_u32_e32 v1, vcc, s42, v1
	s_cmp_lg_u64 vcc, 0
	s_subb_u32 s42, s0, s39
	v_subrev_co_u32_e64 v3, s[0:1], s38, v1
	s_cmp_lg_u64 s[0:1], 0
	s_subb_u32 s0, s42, 0
	s_cmp_ge_u32 s0, s39
	v_readfirstlane_b32 s42, v3
	s_cselect_b32 s1, -1, 0
	s_cmp_ge_u32 s42, s38
	s_cselect_b32 s42, -1, 0
	s_cmp_eq_u32 s0, s39
	s_cselect_b32 s0, s42, s1
	s_add_u32 s1, s11, 1
	s_addc_u32 s42, s15, 0
	s_add_u32 s45, s11, 2
	s_addc_u32 s46, s15, 0
	s_cmp_lg_u32 s0, 0
	s_cselect_b32 s0, s45, s1
	s_cselect_b32 s1, s46, s42
	s_cmp_lg_u64 vcc, 0
	s_subb_u32 s42, s43, s44
	s_cmp_ge_u32 s42, s39
	v_readfirstlane_b32 s44, v1
	s_cselect_b32 s43, -1, 0
	s_cmp_ge_u32 s44, s38
	s_cselect_b32 s38, -1, 0
	s_cmp_eq_u32 s42, s39
	s_cselect_b32 s38, s38, s43
	s_cmp_lg_u32 s38, 0
	s_cselect_b32 s1, s1, s15
	s_cselect_b32 s0, s0, s11
	s_xor_b64 s[24:25], s[40:41], s[24:25]
	s_xor_b64 s[0:1], s[0:1], s[24:25]
	s_sub_u32 s24, s0, s24
	s_subb_u32 s25, s1, s25
	s_cbranch_execnz .LBB62_7
.LBB62_6:
	v_cvt_f32_u32_e32 v1, s36
	s_sub_i32 s0, 0, s36
	s_mov_b32 s25, 0
	v_rcp_iflag_f32_e32 v1, v1
	v_mul_f32_e32 v1, 0x4f7ffffe, v1
	v_cvt_u32_f32_e32 v1, v1
	v_readfirstlane_b32 s1, v1
	s_mul_i32 s0, s0, s1
	s_mul_hi_u32 s0, s1, s0
	s_add_i32 s1, s1, s0
	s_mul_hi_u32 s0, s28, s1
	s_mul_i32 s11, s0, s36
	s_sub_i32 s11, s28, s11
	s_add_i32 s1, s0, 1
	s_sub_i32 s15, s11, s36
	s_cmp_ge_u32 s11, s36
	s_cselect_b32 s0, s1, s0
	s_cselect_b32 s11, s15, s11
	s_add_i32 s1, s0, 1
	s_cmp_ge_u32 s11, s36
	s_cselect_b32 s24, s1, s0
.LBB62_7:
	s_mul_i32 s0, s24, s37
	s_mul_hi_u32 s1, s24, s36
	s_load_dwordx2 s[26:27], s[6:7], 0x78
	s_add_i32 s0, s1, s0
	s_mul_i32 s1, s25, s36
	s_add_i32 s0, s0, s1
	s_mul_i32 s1, s24, s36
	s_sub_u32 s15, s28, s1
	s_subb_u32 s0, s29, s0
	v_cmp_gt_i32_e32 vcc, s10, v2
	s_mul_hi_u32 s42, s24, s12
	s_mul_i32 s43, s25, s12
	s_mul_i32 s44, s24, s12
	s_mul_hi_u32 s41, s15, s13
	s_mul_i32 s25, s0, s13
	s_mul_i32 s40, s15, s13
	s_and_saveexec_b64 s[28:29], vcc
	s_cbranch_execz .LBB62_42
; %bb.8:
	s_load_dwordx2 s[0:1], s[4:5], 0x4
	v_bfe_u32 v1, v0, 10, 10
	s_mul_i32 s4, s8, s17
	s_ashr_i32 s11, s10, 31
	s_load_dword s5, s[6:7], 0x8c
	s_waitcnt lgkmcnt(0)
	s_lshr_b32 s0, s0, 16
	s_mul_i32 s0, s0, s1
	v_mul_lo_u32 v3, s0, v2
	s_mul_hi_u32 s0, s8, s16
	v_mad_u32_u24 v1, v1, s1, v3
	s_add_i32 s1, s0, s4
	s_mul_i32 s0, s8, s16
	s_lshl_b64 s[0:1], s[0:1], 1
	s_add_u32 s45, s20, s0
	s_addc_u32 s46, s21, s1
	s_ashr_i32 s4, s12, 31
	s_mul_i32 s4, s24, s4
	s_add_i32 s4, s42, s4
	s_add_i32 s16, s4, s43
	s_ashr_i32 s4, s13, 31
	s_mul_i32 s4, s15, s4
	s_add_i32 s4, s41, s4
	s_and_b32 s48, s5, 0xffff
	s_add_i32 s17, s4, s25
	s_ashr_i32 s36, s14, 31
	s_lshl_b32 s50, s48, 1
	s_lshl_b64 s[4:5], s[10:11], 1
	s_add_u32 s34, s34, s4
	s_addc_u32 s35, s35, s5
	s_add_u32 s51, s30, s34
	s_addc_u32 s52, s31, s35
	;; [unrolled: 2-line block ×5, first 2 shown]
	s_add_u32 s0, s0, s14
	s_load_dword s47, s[26:27], 0x0
	s_addc_u32 s1, s1, s36
	s_add_u32 s0, s2, s0
	v_bfe_u32 v0, v0, 20, 10
	s_addc_u32 s1, s3, s1
	v_add_lshl_u32 v3, v1, v0, 1
	v_mov_b32_e32 v0, s1
	v_add_co_u32_e32 v6, vcc, s0, v2
	v_add_u32_e32 v5, 0x800, v3
	s_mov_b32 s49, 0
	v_mov_b32_e32 v1, 0
	v_lshlrev_b32_e32 v4, 1, v2
	v_addc_co_u32_e32 v7, vcc, 0, v0, vcc
	s_mov_b64 s[4:5], 0
	s_movk_i32 s55, 0x80
	s_mov_b64 s[16:17], 0x7f800000
	s_mov_b64 s[20:21], 0x43e00001
	s_movk_i32 s56, 0x7a
	s_mov_b64 s[30:31], 0xffffff
	s_movk_i32 s57, 0x7f
	v_mov_b32_e32 v10, 0xffffff82
	v_mov_b32_e32 v11, 0x78
	;; [unrolled: 1-line block ×3, first 2 shown]
	s_branch .LBB62_10
.LBB62_9:                               ;   in Loop: Header=BB62_10 Depth=1
	s_or_b64 exec, exec, s[0:1]
	s_add_u32 s9, s9, s50
	s_addc_u32 s33, s33, 0
	s_add_u32 s51, s51, s50
	s_addc_u32 s52, s52, 0
	s_add_u32 s53, s53, s50
	v_mov_b32_e32 v0, s11
	v_add_co_u32_e32 v14, vcc, s10, v6
	s_addc_u32 s54, s54, 0
	v_addc_co_u32_e32 v15, vcc, v7, v0, vcc
	v_add_u32_e32 v12, s48, v12
	s_add_u32 s45, s45, s50
	s_addc_u32 s46, s46, 0
	v_cmp_le_i32_e32 vcc, s10, v12
	v_mov_b32_e32 v0, s49
	s_or_b64 s[4:5], vcc, s[4:5]
	v_add_co_u32_e32 v6, vcc, s48, v6
	v_addc_co_u32_e32 v7, vcc, v7, v0, vcc
	global_store_byte v[14:15], v9, off
	s_andn2_b64 exec, exec, s[4:5]
	s_cbranch_execz .LBB62_42
.LBB62_10:                              ; =>This Inner Loop Header: Depth=1
	v_mov_b32_e32 v0, s33
	v_add_co_u32_e32 v8, vcc, s9, v4
	v_addc_co_u32_e32 v9, vcc, 0, v0, vcc
	global_load_ushort v0, v[8:9], off
	v_mov_b32_e32 v9, s52
	v_add_co_u32_e32 v8, vcc, s51, v4
	v_addc_co_u32_e32 v9, vcc, 0, v9, vcc
	global_load_ushort v13, v[8:9], off
	v_mov_b32_e32 v9, s54
	v_add_co_u32_e32 v8, vcc, s53, v4
	v_addc_co_u32_e32 v9, vcc, 0, v9, vcc
	v_mov_b32_e32 v15, s46
	v_add_co_u32_e32 v14, vcc, s45, v4
	global_load_ushort v16, v[8:9], off
	v_addc_co_u32_e32 v15, vcc, 0, v15, vcc
	global_load_ushort v18, v[14:15], off
	v_mov_b32_e32 v17, v1
	s_waitcnt vmcnt(1)
	v_mul_f16_e32 v19, v13, v16
	v_mul_f16_e32 v16, v0, v16
	s_waitcnt vmcnt(0)
	v_fma_f16 v0, v0, v18, -v19
	ds_write_b16 v5, v0
	v_fma_f16 v13, v13, v18, v16
	ds_read_b32 v16, v5
	ds_write_b16 v3, v13
	global_store_short v[14:15], v0, off
	global_store_short v[8:9], v13, off
	ds_read_b32 v13, v3
	s_waitcnt lgkmcnt(0)
	v_div_scale_f32 v0, s[0:1], s47, s47, v16
	v_rcp_f32_e32 v8, v0
	v_div_scale_f32 v9, vcc, v16, s47, v16
	v_fma_f32 v14, -v0, v8, 1.0
	v_fmac_f32_e32 v8, v14, v8
	v_mul_f32_e32 v14, v9, v8
	v_fma_f32 v15, -v0, v14, v9
	v_fmac_f32_e32 v14, v15, v8
	v_fma_f32 v0, -v0, v14, v9
	v_div_fmas_f32 v0, v0, v8, v14
	v_div_fixup_f32 v8, v0, s47, v16
	v_and_b32_sdwa v14, v8, s55 dst_sel:DWORD dst_unused:UNUSED_PAD src0_sel:BYTE_3 src1_sel:DWORD
	v_and_b32_e32 v16, 0x7f800000, v8
	v_and_b32_e32 v0, 0x7fffff, v8
	v_or_b32_e32 v9, 0x7e, v14
	v_cmp_ne_u64_e32 vcc, s[16:17], v[16:17]
	s_and_saveexec_b64 s[0:1], vcc
	s_xor_b64 s[34:35], exec, s[0:1]
	s_cbranch_execz .LBB62_24
; %bb.11:                               ;   in Loop: Header=BB62_10 Depth=1
	v_and_b32_e32 v16, 0x7fffffff, v8
	v_mov_b32_e32 v17, v1
	v_cmp_gt_u64_e32 vcc, s[20:21], v[16:17]
	s_and_saveexec_b64 s[0:1], vcc
	s_xor_b64 s[36:37], exec, s[0:1]
	s_cbranch_execz .LBB62_23
; %bb.12:                               ;   in Loop: Header=BB62_10 Depth=1
	v_cmp_ne_u32_e32 vcc, 0, v8
	v_mov_b32_e32 v9, 0
	s_and_saveexec_b64 s[38:39], vcc
	s_cbranch_execz .LBB62_22
; %bb.13:                               ;   in Loop: Header=BB62_10 Depth=1
	v_bfe_u32 v8, v8, 23, 8
	v_sub_u32_e32 v15, 0x79, v8
	v_cmp_gt_u32_e32 vcc, s56, v8
	v_cndmask_b32_e32 v15, 0, v15, vcc
	v_cmp_eq_u32_e32 vcc, 0, v8
	v_cndmask_b32_e32 v15, v15, v11, vcc
	v_add_u32_e32 v9, 0xffffff81, v8
	v_or_b32_e32 v16, 0x800000, v0
	v_add_u32_e32 v8, 20, v15
	v_cndmask_b32_e32 v17, v9, v10, vcc
	v_cndmask_b32_e32 v0, v16, v0, vcc
	v_lshlrev_b64 v[8:9], v8, -1
	v_not_b32_e32 v8, v8
	v_lshrrev_b64 v[20:21], v15, v[0:1]
	v_not_b32_e32 v9, v9
	v_and_b32_e32 v8, v0, v8
	v_add_u32_e32 v16, 19, v15
	v_lshrrev_b32_e32 v0, 23, v20
	v_and_b32_e32 v9, 0, v9
	v_lshlrev_b64 v[18:19], v16, 1
	v_add3_u32 v16, v15, v17, v0
	v_bfe_u32 v0, v20, 20, 1
	v_add_u32_e32 v0, -1, v0
	v_cmp_eq_u64_e32 vcc, v[8:9], v[18:19]
	v_cndmask_b32_e32 v0, 0, v0, vcc
	v_add_u32_e32 v0, v0, v20
	v_and_b32_e32 v0, 0xfffff, v0
	v_add_co_u32_e32 v8, vcc, v0, v20
	v_add_u32_e32 v15, 6, v16
	v_addc_co_u32_e32 v9, vcc, 0, v21, vcc
	v_cmp_ne_u32_e32 vcc, 0, v15
                                        ; implicit-def: $vgpr0
	s_and_saveexec_b64 s[0:1], vcc
	s_xor_b64 s[0:1], exec, s[0:1]
; %bb.14:                               ;   in Loop: Header=BB62_10 Depth=1
	v_add_u32_e32 v0, 7, v16
	v_cmp_lt_u64_e32 vcc, s[30:31], v[8:9]
	v_cndmask_b32_e32 v0, v15, v0, vcc
	v_cndmask_b32_e64 v15, 0, 1, vcc
	v_lshrrev_b64 v[8:9], v15, v[8:9]
; %bb.15:                               ;   in Loop: Header=BB62_10 Depth=1
	s_andn2_saveexec_b64 s[0:1], s[0:1]
; %bb.16:                               ;   in Loop: Header=BB62_10 Depth=1
	v_bfe_u32 v0, v8, 23, 1
; %bb.17:                               ;   in Loop: Header=BB62_10 Depth=1
	s_or_b64 exec, exec, s[0:1]
	v_lshrrev_b64 v[8:9], 20, v[8:9]
	v_cmp_gt_i32_e32 vcc, 16, v0
	v_cndmask_b32_e32 v9, 0, v9, vcc
	v_cndmask_b32_e32 v8, 7, v8, vcc
	v_cmp_ne_u32_e32 vcc, 0, v0
	v_cmp_ne_u64_e64 s[0:1], 0, v[8:9]
	s_or_b64 s[0:1], vcc, s[0:1]
                                        ; implicit-def: $vgpr9
	s_and_saveexec_b64 s[58:59], s[0:1]
	s_xor_b64 s[0:1], exec, s[58:59]
; %bb.18:                               ;   in Loop: Header=BB62_10 Depth=1
	v_min_i32_e32 v0, 15, v0
	v_lshl_or_b32 v0, v0, 3, v14
	v_and_or_b32 v9, v8, 7, v0
                                        ; implicit-def: $vgpr14
; %bb.19:                               ;   in Loop: Header=BB62_10 Depth=1
	s_andn2_saveexec_b64 s[0:1], s[0:1]
; %bb.20:                               ;   in Loop: Header=BB62_10 Depth=1
	v_mov_b32_e32 v9, v14
; %bb.21:                               ;   in Loop: Header=BB62_10 Depth=1
	s_or_b64 exec, exec, s[0:1]
.LBB62_22:                              ;   in Loop: Header=BB62_10 Depth=1
	s_or_b64 exec, exec, s[38:39]
.LBB62_23:                              ;   in Loop: Header=BB62_10 Depth=1
	s_andn2_saveexec_b64 s[0:1], s[36:37]
	s_or_b64 exec, exec, s[0:1]
                                        ; implicit-def: $vgpr8
.LBB62_24:                              ;   in Loop: Header=BB62_10 Depth=1
	s_andn2_saveexec_b64 s[0:1], s[34:35]
; %bb.25:                               ;   in Loop: Header=BB62_10 Depth=1
	v_or_b32_sdwa v8, v8, s57 dst_sel:DWORD dst_unused:UNUSED_PAD src0_sel:BYTE_3 src1_sel:DWORD
	v_cmp_eq_u64_e32 vcc, 0, v[0:1]
	v_cndmask_b32_e32 v9, v8, v9, vcc
; %bb.26:                               ;   in Loop: Header=BB62_10 Depth=1
	s_or_b64 exec, exec, s[0:1]
	v_div_scale_f32 v0, s[0:1], s47, s47, v13
	v_rcp_f32_e32 v8, v0
	global_store_byte v[6:7], v9, off
	v_fma_f32 v9, -v0, v8, 1.0
	v_fmac_f32_e32 v8, v9, v8
	v_div_scale_f32 v9, vcc, v13, s47, v13
	v_mul_f32_e32 v14, v9, v8
	v_fma_f32 v15, -v0, v14, v9
	v_fmac_f32_e32 v14, v15, v8
	v_fma_f32 v0, -v0, v14, v9
	v_div_fmas_f32 v0, v0, v8, v14
	v_div_fixup_f32 v8, v0, s47, v13
	v_and_b32_sdwa v13, v8, s55 dst_sel:DWORD dst_unused:UNUSED_PAD src0_sel:BYTE_3 src1_sel:DWORD
	v_and_b32_e32 v14, 0x7f800000, v8
	v_mov_b32_e32 v15, v1
	v_and_b32_e32 v0, 0x7fffff, v8
	v_or_b32_e32 v9, 0x7e, v13
	v_cmp_ne_u64_e32 vcc, s[16:17], v[14:15]
	s_and_saveexec_b64 s[0:1], vcc
	s_xor_b64 s[34:35], exec, s[0:1]
	s_cbranch_execz .LBB62_40
; %bb.27:                               ;   in Loop: Header=BB62_10 Depth=1
	v_and_b32_e32 v14, 0x7fffffff, v8
	v_mov_b32_e32 v15, v1
	v_cmp_gt_u64_e32 vcc, s[20:21], v[14:15]
	s_and_saveexec_b64 s[0:1], vcc
	s_xor_b64 s[36:37], exec, s[0:1]
	s_cbranch_execz .LBB62_39
; %bb.28:                               ;   in Loop: Header=BB62_10 Depth=1
	v_cmp_ne_u32_e32 vcc, 0, v8
	v_mov_b32_e32 v9, 0
	s_and_saveexec_b64 s[38:39], vcc
	s_cbranch_execz .LBB62_38
; %bb.29:                               ;   in Loop: Header=BB62_10 Depth=1
	v_bfe_u32 v8, v8, 23, 8
	v_sub_u32_e32 v14, 0x79, v8
	v_cmp_gt_u32_e32 vcc, s56, v8
	v_cndmask_b32_e32 v14, 0, v14, vcc
	v_cmp_eq_u32_e32 vcc, 0, v8
	v_cndmask_b32_e32 v14, v14, v11, vcc
	v_add_u32_e32 v9, 0xffffff81, v8
	v_or_b32_e32 v15, 0x800000, v0
	v_add_u32_e32 v8, 20, v14
	v_cndmask_b32_e32 v20, v9, v10, vcc
	v_cndmask_b32_e32 v0, v15, v0, vcc
	v_lshlrev_b64 v[8:9], v8, -1
	v_not_b32_e32 v8, v8
	v_lshrrev_b64 v[18:19], v14, v[0:1]
	v_not_b32_e32 v9, v9
	v_and_b32_e32 v8, v0, v8
	v_add_u32_e32 v15, 19, v14
	v_lshrrev_b32_e32 v0, 23, v18
	v_and_b32_e32 v9, 0, v9
	v_lshlrev_b64 v[16:17], v15, 1
	v_add3_u32 v15, v14, v20, v0
	v_bfe_u32 v0, v18, 20, 1
	v_add_u32_e32 v0, -1, v0
	v_cmp_eq_u64_e32 vcc, v[8:9], v[16:17]
	v_cndmask_b32_e32 v0, 0, v0, vcc
	v_add_u32_e32 v0, v0, v18
	v_and_b32_e32 v0, 0xfffff, v0
	v_add_co_u32_e32 v8, vcc, v0, v18
	v_add_u32_e32 v14, 6, v15
	v_addc_co_u32_e32 v9, vcc, 0, v19, vcc
	v_cmp_ne_u32_e32 vcc, 0, v14
                                        ; implicit-def: $vgpr0
	s_and_saveexec_b64 s[0:1], vcc
	s_xor_b64 s[0:1], exec, s[0:1]
; %bb.30:                               ;   in Loop: Header=BB62_10 Depth=1
	v_add_u32_e32 v0, 7, v15
	v_cmp_lt_u64_e32 vcc, s[30:31], v[8:9]
	v_cndmask_b32_e32 v0, v14, v0, vcc
	v_cndmask_b32_e64 v14, 0, 1, vcc
	v_lshrrev_b64 v[8:9], v14, v[8:9]
; %bb.31:                               ;   in Loop: Header=BB62_10 Depth=1
	s_andn2_saveexec_b64 s[0:1], s[0:1]
; %bb.32:                               ;   in Loop: Header=BB62_10 Depth=1
	v_bfe_u32 v0, v8, 23, 1
; %bb.33:                               ;   in Loop: Header=BB62_10 Depth=1
	s_or_b64 exec, exec, s[0:1]
	v_lshrrev_b64 v[8:9], 20, v[8:9]
	v_cmp_gt_i32_e32 vcc, 16, v0
	v_cndmask_b32_e32 v9, 0, v9, vcc
	v_cndmask_b32_e32 v8, 7, v8, vcc
	v_cmp_ne_u32_e32 vcc, 0, v0
	v_cmp_ne_u64_e64 s[0:1], 0, v[8:9]
	s_or_b64 s[0:1], vcc, s[0:1]
                                        ; implicit-def: $vgpr9
	s_and_saveexec_b64 s[58:59], s[0:1]
	s_xor_b64 s[0:1], exec, s[58:59]
; %bb.34:                               ;   in Loop: Header=BB62_10 Depth=1
	v_min_i32_e32 v0, 15, v0
	v_lshl_or_b32 v0, v0, 3, v13
	v_and_or_b32 v9, v8, 7, v0
                                        ; implicit-def: $vgpr13
; %bb.35:                               ;   in Loop: Header=BB62_10 Depth=1
	s_andn2_saveexec_b64 s[0:1], s[0:1]
; %bb.36:                               ;   in Loop: Header=BB62_10 Depth=1
	v_mov_b32_e32 v9, v13
; %bb.37:                               ;   in Loop: Header=BB62_10 Depth=1
	s_or_b64 exec, exec, s[0:1]
.LBB62_38:                              ;   in Loop: Header=BB62_10 Depth=1
	s_or_b64 exec, exec, s[38:39]
.LBB62_39:                              ;   in Loop: Header=BB62_10 Depth=1
	s_andn2_saveexec_b64 s[0:1], s[36:37]
	s_or_b64 exec, exec, s[0:1]
                                        ; implicit-def: $vgpr8
.LBB62_40:                              ;   in Loop: Header=BB62_10 Depth=1
	s_andn2_saveexec_b64 s[0:1], s[34:35]
	s_cbranch_execz .LBB62_9
; %bb.41:                               ;   in Loop: Header=BB62_10 Depth=1
	v_or_b32_sdwa v8, v8, s57 dst_sel:DWORD dst_unused:UNUSED_PAD src0_sel:BYTE_3 src1_sel:DWORD
	v_cmp_eq_u64_e32 vcc, 0, v[0:1]
	v_cndmask_b32_e32 v9, v8, v9, vcc
	s_branch .LBB62_9
.LBB62_42:
	s_or_b64 exec, exec, s[28:29]
	v_cmp_gt_i32_e32 vcc, s14, v2
	s_and_saveexec_b64 s[0:1], vcc
	s_cbranch_execz .LBB62_61
; %bb.43:
	s_mul_i32 s0, s8, s19
	s_mul_hi_u32 s1, s8, s18
	s_add_i32 s1, s1, s0
	s_mul_i32 s0, s8, s18
	s_lshl_b64 s[0:1], s[0:1], 1
	s_add_u32 s18, s22, s0
	s_addc_u32 s0, s23, s1
	s_ashr_i32 s1, s12, 31
	s_mul_i32 s1, s24, s1
	s_add_i32 s1, s42, s1
	s_add_i32 s1, s1, s43
	s_add_u32 s2, s2, s44
	s_addc_u32 s1, s3, s1
	s_ashr_i32 s3, s13, 31
	s_load_dword s4, s[6:7], 0x8c
	s_mul_i32 s15, s15, s3
	s_waitcnt lgkmcnt(0)
	s_load_dword s20, s[26:27], 0x0
	s_add_i32 s3, s41, s15
	s_add_i32 s3, s3, s25
	s_add_u32 s15, s2, s40
	s_addc_u32 s19, s1, s3
	s_and_b32 s21, s4, 0xffff
	s_mov_b64 s[2:3], 0
	v_mov_b32_e32 v6, s0
	v_mov_b32_e32 v1, 0
	s_movk_i32 s22, 0x80
	s_mov_b64 s[4:5], 0x7f800000
	s_mov_b64 s[6:7], 0x43e00001
	s_movk_i32 s23, 0x7a
	s_mov_b64 s[8:9], 0xffffff
	s_movk_i32 s24, 0x7f
	v_mov_b32_e32 v7, 0xffffff82
	v_mov_b32_e32 v8, 0x78
	s_branch .LBB62_45
.LBB62_44:                              ;   in Loop: Header=BB62_45 Depth=1
	s_or_b64 exec, exec, s[0:1]
	v_mov_b32_e32 v0, s19
	v_add_co_u32_e32 v10, vcc, s15, v2
	v_addc_co_u32_e32 v11, vcc, v0, v3, vcc
	v_add_u32_e32 v2, s21, v2
	v_cmp_le_i32_e32 vcc, s14, v2
	s_or_b64 s[2:3], vcc, s[2:3]
	global_store_byte v[10:11], v5, off
	s_andn2_b64 exec, exec, s[2:3]
	s_cbranch_execz .LBB62_61
.LBB62_45:                              ; =>This Inner Loop Header: Depth=1
	v_ashrrev_i32_e32 v3, 31, v2
	v_lshlrev_b64 v[4:5], 1, v[2:3]
	v_add_co_u32_e32 v4, vcc, s18, v4
	v_addc_co_u32_e32 v5, vcc, v6, v5, vcc
	global_load_dword v0, v[4:5], off
	v_mov_b32_e32 v11, v1
	s_waitcnt vmcnt(0) lgkmcnt(0)
	v_div_scale_f32 v4, s[0:1], s20, s20, v0
	v_rcp_f32_e32 v5, v4
	v_div_scale_f32 v9, vcc, v0, s20, v0
	v_fma_f32 v10, -v4, v5, 1.0
	v_fmac_f32_e32 v5, v10, v5
	v_mul_f32_e32 v10, v9, v5
	v_fma_f32 v12, -v4, v10, v9
	v_fmac_f32_e32 v10, v12, v5
	v_fma_f32 v4, -v4, v10, v9
	v_div_fmas_f32 v4, v4, v5, v10
	v_div_fixup_f32 v4, v4, s20, v0
	v_and_b32_sdwa v9, v4, s22 dst_sel:DWORD dst_unused:UNUSED_PAD src0_sel:BYTE_3 src1_sel:DWORD
	v_and_b32_e32 v10, 0x7f800000, v4
	v_and_b32_e32 v0, 0x7fffff, v4
	v_or_b32_e32 v5, 0x7e, v9
	v_cmp_ne_u64_e32 vcc, s[4:5], v[10:11]
	s_and_saveexec_b64 s[0:1], vcc
	s_xor_b64 s[10:11], exec, s[0:1]
	s_cbranch_execz .LBB62_59
; %bb.46:                               ;   in Loop: Header=BB62_45 Depth=1
	v_and_b32_e32 v10, 0x7fffffff, v4
	v_mov_b32_e32 v11, v1
	v_cmp_gt_u64_e32 vcc, s[6:7], v[10:11]
	s_and_saveexec_b64 s[0:1], vcc
	s_xor_b64 s[12:13], exec, s[0:1]
	s_cbranch_execz .LBB62_58
; %bb.47:                               ;   in Loop: Header=BB62_45 Depth=1
	v_cmp_ne_u32_e32 vcc, 0, v4
	v_mov_b32_e32 v5, 0
	s_and_saveexec_b64 s[16:17], vcc
	s_cbranch_execz .LBB62_57
; %bb.48:                               ;   in Loop: Header=BB62_45 Depth=1
	v_bfe_u32 v4, v4, 23, 8
	v_sub_u32_e32 v10, 0x79, v4
	v_cmp_gt_u32_e32 vcc, s23, v4
	v_cndmask_b32_e32 v10, 0, v10, vcc
	v_cmp_eq_u32_e32 vcc, 0, v4
	v_cndmask_b32_e32 v10, v10, v8, vcc
	v_add_u32_e32 v5, 0xffffff81, v4
	v_or_b32_e32 v11, 0x800000, v0
	v_add_u32_e32 v4, 20, v10
	v_cndmask_b32_e32 v16, v5, v7, vcc
	v_cndmask_b32_e32 v0, v11, v0, vcc
	v_lshlrev_b64 v[4:5], v4, -1
	v_not_b32_e32 v4, v4
	v_lshrrev_b64 v[14:15], v10, v[0:1]
	v_not_b32_e32 v5, v5
	v_and_b32_e32 v4, v0, v4
	v_add_u32_e32 v11, 19, v10
	v_lshrrev_b32_e32 v0, 23, v14
	v_and_b32_e32 v5, 0, v5
	v_lshlrev_b64 v[12:13], v11, 1
	v_add3_u32 v11, v10, v16, v0
	v_bfe_u32 v0, v14, 20, 1
	v_add_u32_e32 v0, -1, v0
	v_cmp_eq_u64_e32 vcc, v[4:5], v[12:13]
	v_cndmask_b32_e32 v0, 0, v0, vcc
	v_add_u32_e32 v0, v0, v14
	v_and_b32_e32 v0, 0xfffff, v0
	v_add_co_u32_e32 v4, vcc, v0, v14
	v_add_u32_e32 v10, 6, v11
	v_addc_co_u32_e32 v5, vcc, 0, v15, vcc
	v_cmp_ne_u32_e32 vcc, 0, v10
                                        ; implicit-def: $vgpr0
	s_and_saveexec_b64 s[0:1], vcc
	s_xor_b64 s[0:1], exec, s[0:1]
; %bb.49:                               ;   in Loop: Header=BB62_45 Depth=1
	v_add_u32_e32 v0, 7, v11
	v_cmp_lt_u64_e32 vcc, s[8:9], v[4:5]
	v_cndmask_b32_e32 v0, v10, v0, vcc
	v_cndmask_b32_e64 v10, 0, 1, vcc
	v_lshrrev_b64 v[4:5], v10, v[4:5]
; %bb.50:                               ;   in Loop: Header=BB62_45 Depth=1
	s_andn2_saveexec_b64 s[0:1], s[0:1]
; %bb.51:                               ;   in Loop: Header=BB62_45 Depth=1
	v_bfe_u32 v0, v4, 23, 1
; %bb.52:                               ;   in Loop: Header=BB62_45 Depth=1
	s_or_b64 exec, exec, s[0:1]
	v_lshrrev_b64 v[4:5], 20, v[4:5]
	v_cmp_gt_i32_e32 vcc, 16, v0
	v_cndmask_b32_e32 v5, 0, v5, vcc
	v_cndmask_b32_e32 v4, 7, v4, vcc
	v_cmp_ne_u32_e32 vcc, 0, v0
	v_cmp_ne_u64_e64 s[0:1], 0, v[4:5]
	s_or_b64 s[0:1], vcc, s[0:1]
                                        ; implicit-def: $vgpr5
	s_and_saveexec_b64 s[26:27], s[0:1]
	s_xor_b64 s[0:1], exec, s[26:27]
; %bb.53:                               ;   in Loop: Header=BB62_45 Depth=1
	v_min_i32_e32 v0, 15, v0
	v_lshl_or_b32 v0, v0, 3, v9
	v_and_or_b32 v5, v4, 7, v0
                                        ; implicit-def: $vgpr9
; %bb.54:                               ;   in Loop: Header=BB62_45 Depth=1
	s_andn2_saveexec_b64 s[0:1], s[0:1]
; %bb.55:                               ;   in Loop: Header=BB62_45 Depth=1
	v_mov_b32_e32 v5, v9
; %bb.56:                               ;   in Loop: Header=BB62_45 Depth=1
	s_or_b64 exec, exec, s[0:1]
.LBB62_57:                              ;   in Loop: Header=BB62_45 Depth=1
	s_or_b64 exec, exec, s[16:17]
.LBB62_58:                              ;   in Loop: Header=BB62_45 Depth=1
	s_andn2_saveexec_b64 s[0:1], s[12:13]
	s_or_b64 exec, exec, s[0:1]
                                        ; implicit-def: $vgpr4
.LBB62_59:                              ;   in Loop: Header=BB62_45 Depth=1
	s_andn2_saveexec_b64 s[0:1], s[10:11]
	s_cbranch_execz .LBB62_44
; %bb.60:                               ;   in Loop: Header=BB62_45 Depth=1
	v_or_b32_sdwa v4, v4, s24 dst_sel:DWORD dst_unused:UNUSED_PAD src0_sel:BYTE_3 src1_sel:DWORD
	v_cmp_eq_u64_e32 vcc, 0, v[0:1]
	v_cndmask_b32_e32 v5, v4, v5, vcc
	s_branch .LBB62_44
.LBB62_61:
	s_endpgm
.LBB62_62:
                                        ; implicit-def: $sgpr24_sgpr25
	s_branch .LBB62_6
	.section	.rodata,"a",@progbits
	.p2align	6, 0x0
	.amdhsa_kernel _ZN4vllm38concat_and_cache_mla_rope_fused_kernelIN3c104HalfES2_Lb1EfhLNS_18Fp8KVCacheDataTypeE1EEEvPKlPT_S7_PKS6_PKT0_illlliPT3_S5_iiiiPKf
		.amdhsa_group_segment_fixed_size 4096
		.amdhsa_private_segment_fixed_size 0
		.amdhsa_kernarg_size 384
		.amdhsa_user_sgpr_count 8
		.amdhsa_user_sgpr_private_segment_buffer 1
		.amdhsa_user_sgpr_dispatch_ptr 1
		.amdhsa_user_sgpr_queue_ptr 0
		.amdhsa_user_sgpr_kernarg_segment_ptr 1
		.amdhsa_user_sgpr_dispatch_id 0
		.amdhsa_user_sgpr_flat_scratch_init 0
		.amdhsa_user_sgpr_kernarg_preload_length 0
		.amdhsa_user_sgpr_kernarg_preload_offset 0
		.amdhsa_user_sgpr_private_segment_size 0
		.amdhsa_uses_dynamic_stack 0
		.amdhsa_system_sgpr_private_segment_wavefront_offset 0
		.amdhsa_system_sgpr_workgroup_id_x 1
		.amdhsa_system_sgpr_workgroup_id_y 0
		.amdhsa_system_sgpr_workgroup_id_z 0
		.amdhsa_system_sgpr_workgroup_info 0
		.amdhsa_system_vgpr_workitem_id 2
		.amdhsa_next_free_vgpr 22
		.amdhsa_next_free_sgpr 60
		.amdhsa_accum_offset 24
		.amdhsa_reserve_vcc 1
		.amdhsa_reserve_flat_scratch 0
		.amdhsa_float_round_mode_32 0
		.amdhsa_float_round_mode_16_64 0
		.amdhsa_float_denorm_mode_32 3
		.amdhsa_float_denorm_mode_16_64 3
		.amdhsa_dx10_clamp 1
		.amdhsa_ieee_mode 1
		.amdhsa_fp16_overflow 0
		.amdhsa_tg_split 0
		.amdhsa_exception_fp_ieee_invalid_op 0
		.amdhsa_exception_fp_denorm_src 0
		.amdhsa_exception_fp_ieee_div_zero 0
		.amdhsa_exception_fp_ieee_overflow 0
		.amdhsa_exception_fp_ieee_underflow 0
		.amdhsa_exception_fp_ieee_inexact 0
		.amdhsa_exception_int_div_zero 0
	.end_amdhsa_kernel
	.section	.text._ZN4vllm38concat_and_cache_mla_rope_fused_kernelIN3c104HalfES2_Lb1EfhLNS_18Fp8KVCacheDataTypeE1EEEvPKlPT_S7_PKS6_PKT0_illlliPT3_S5_iiiiPKf,"axG",@progbits,_ZN4vllm38concat_and_cache_mla_rope_fused_kernelIN3c104HalfES2_Lb1EfhLNS_18Fp8KVCacheDataTypeE1EEEvPKlPT_S7_PKS6_PKT0_illlliPT3_S5_iiiiPKf,comdat
.Lfunc_end62:
	.size	_ZN4vllm38concat_and_cache_mla_rope_fused_kernelIN3c104HalfES2_Lb1EfhLNS_18Fp8KVCacheDataTypeE1EEEvPKlPT_S7_PKS6_PKT0_illlliPT3_S5_iiiiPKf, .Lfunc_end62-_ZN4vllm38concat_and_cache_mla_rope_fused_kernelIN3c104HalfES2_Lb1EfhLNS_18Fp8KVCacheDataTypeE1EEEvPKlPT_S7_PKS6_PKT0_illlliPT3_S5_iiiiPKf
                                        ; -- End function
	.section	.AMDGPU.csdata,"",@progbits
; Kernel info:
; codeLenInByte = 3720
; NumSgprs: 64
; NumVgprs: 22
; NumAgprs: 0
; TotalNumVgprs: 22
; ScratchSize: 0
; MemoryBound: 0
; FloatMode: 240
; IeeeMode: 1
; LDSByteSize: 4096 bytes/workgroup (compile time only)
; SGPRBlocks: 7
; VGPRBlocks: 2
; NumSGPRsForWavesPerEU: 64
; NumVGPRsForWavesPerEU: 22
; AccumOffset: 24
; Occupancy: 8
; WaveLimiterHint : 1
; COMPUTE_PGM_RSRC2:SCRATCH_EN: 0
; COMPUTE_PGM_RSRC2:USER_SGPR: 8
; COMPUTE_PGM_RSRC2:TRAP_HANDLER: 0
; COMPUTE_PGM_RSRC2:TGID_X_EN: 1
; COMPUTE_PGM_RSRC2:TGID_Y_EN: 0
; COMPUTE_PGM_RSRC2:TGID_Z_EN: 0
; COMPUTE_PGM_RSRC2:TIDIG_COMP_CNT: 2
; COMPUTE_PGM_RSRC3_GFX90A:ACCUM_OFFSET: 5
; COMPUTE_PGM_RSRC3_GFX90A:TG_SPLIT: 0
	.section	.text._ZN4vllm38concat_and_cache_mla_rope_fused_kernelIN3c104HalfES2_Lb0EfhLNS_18Fp8KVCacheDataTypeE1EEEvPKlPT_S7_PKS6_PKT0_illlliPT3_S5_iiiiPKf,"axG",@progbits,_ZN4vllm38concat_and_cache_mla_rope_fused_kernelIN3c104HalfES2_Lb0EfhLNS_18Fp8KVCacheDataTypeE1EEEvPKlPT_S7_PKS6_PKT0_illlliPT3_S5_iiiiPKf,comdat
	.protected	_ZN4vllm38concat_and_cache_mla_rope_fused_kernelIN3c104HalfES2_Lb0EfhLNS_18Fp8KVCacheDataTypeE1EEEvPKlPT_S7_PKS6_PKT0_illlliPT3_S5_iiiiPKf ; -- Begin function _ZN4vllm38concat_and_cache_mla_rope_fused_kernelIN3c104HalfES2_Lb0EfhLNS_18Fp8KVCacheDataTypeE1EEEvPKlPT_S7_PKS6_PKT0_illlliPT3_S5_iiiiPKf
	.globl	_ZN4vllm38concat_and_cache_mla_rope_fused_kernelIN3c104HalfES2_Lb0EfhLNS_18Fp8KVCacheDataTypeE1EEEvPKlPT_S7_PKS6_PKT0_illlliPT3_S5_iiiiPKf
	.p2align	8
	.type	_ZN4vllm38concat_and_cache_mla_rope_fused_kernelIN3c104HalfES2_Lb0EfhLNS_18Fp8KVCacheDataTypeE1EEEvPKlPT_S7_PKS6_PKT0_illlliPT3_S5_iiiiPKf,@function
_ZN4vllm38concat_and_cache_mla_rope_fused_kernelIN3c104HalfES2_Lb0EfhLNS_18Fp8KVCacheDataTypeE1EEEvPKlPT_S7_PKS6_PKT0_illlliPT3_S5_iiiiPKf: ; @_ZN4vllm38concat_and_cache_mla_rope_fused_kernelIN3c104HalfES2_Lb0EfhLNS_18Fp8KVCacheDataTypeE1EEEvPKlPT_S7_PKS6_PKT0_illlliPT3_S5_iiiiPKf
; %bb.0:
	s_load_dwordx2 s[2:3], s[6:7], 0x60
	s_mov_b32 s9, 0
	s_lshl_b64 s[0:1], s[8:9], 3
	s_waitcnt lgkmcnt(0)
	s_add_u32 s2, s2, s0
	s_addc_u32 s3, s3, s1
	s_load_dwordx2 s[28:29], s[2:3], 0x0
	s_waitcnt lgkmcnt(0)
	v_cmp_lt_i64_e64 s[2:3], s[28:29], 0
	s_and_b64 vcc, exec, s[2:3]
	s_cbranch_vccnz .LBB63_61
; %bb.1:
	s_load_dword s9, s[6:7], 0x28
	s_load_dwordx2 s[2:3], s[6:7], 0x0
	s_load_dwordx2 s[30:31], s[6:7], 0x20
	s_load_dwordx4 s[20:23], s[6:7], 0x10
	v_and_b32_e32 v2, 0x3ff, v0
	s_waitcnt lgkmcnt(0)
	s_ashr_i32 s24, s9, 31
	s_add_u32 s0, s2, s0
	s_addc_u32 s1, s3, s1
	s_load_dwordx2 s[10:11], s[0:1], 0x0
	s_load_dwordx8 s[12:19], s[6:7], 0x30
	s_load_dwordx2 s[2:3], s[6:7], 0x58
	s_load_dword s25, s[6:7], 0x50
	v_lshlrev_b32_e32 v1, 1, v2
	s_waitcnt lgkmcnt(0)
	s_mul_i32 s0, s10, s24
	s_mul_hi_u32 s1, s10, s9
	s_add_i32 s0, s1, s0
	s_mul_i32 s1, s11, s9
	s_add_i32 s35, s0, s1
	s_lshr_b32 s0, s9, 31
	s_mul_i32 s34, s10, s9
	s_add_i32 s9, s9, s0
	s_ashr_i32 s10, s9, 1
	s_mul_i32 s9, s10, s25
	v_cmp_gt_i32_e32 vcc, s9, v2
	s_and_saveexec_b64 s[0:1], vcc
	s_cbranch_execz .LBB63_4
; %bb.2:
	s_lshl_b64 s[24:25], s[34:35], 1
	s_add_u32 s26, s30, s24
	s_addc_u32 s40, s31, s25
	s_load_dwordx2 s[24:25], s[6:7], 0x8
	s_load_dword s36, s[6:7], 0x8c
	s_mul_i32 s13, s8, s13
	s_mul_hi_u32 s27, s8, s12
	s_add_i32 s13, s27, s13
	s_mul_i32 s12, s8, s12
	s_ashr_i32 s11, s10, 31
	s_lshl_b64 s[12:13], s[12:13], 1
	s_waitcnt lgkmcnt(0)
	s_add_u32 s27, s24, s12
	s_addc_u32 s41, s25, s13
	s_abs_i32 s33, s10
	v_cvt_f32_u32_e32 v3, s33
	s_sub_i32 s12, 0, s33
	s_and_b32 s36, s36, 0xffff
	s_lshl_b64 s[24:25], s[10:11], 1
	v_rcp_iflag_f32_e32 v3, v3
	s_sub_i32 s37, 0, s10
	s_lshl_b32 s39, s36, 1
	v_mov_b32_e32 v5, s40
	v_mul_f32_e32 v3, 0x4f7ffffe, v3
	v_cvt_u32_f32_e32 v3, v3
	v_mov_b32_e32 v7, s25
	v_mov_b32_e32 v8, s41
	;; [unrolled: 1-line block ×3, first 2 shown]
	v_mul_lo_u32 v4, s12, v3
	v_mul_hi_u32 v4, v3, v4
	s_lshl_b32 s12, s10, 1
	v_add_u32_e32 v3, v3, v4
	s_sub_i32 s38, 0, s12
	s_mov_b64 s[12:13], 0
	v_mov_b32_e32 v4, v1
.LBB63_3:                               ; =>This Inner Loop Header: Depth=1
	v_sub_u32_e32 v10, 0, v6
	v_max_i32_e32 v10, v6, v10
	v_mul_hi_u32 v11, v10, v3
	v_mul_lo_u32 v12, v11, s33
	v_sub_u32_e32 v10, v10, v12
	v_add_u32_e32 v13, 1, v11
	v_cmp_le_u32_e32 vcc, s33, v10
	v_subrev_u32_e32 v12, s33, v10
	v_cndmask_b32_e32 v11, v11, v13, vcc
	v_cndmask_b32_e32 v10, v10, v12, vcc
	v_ashrrev_i32_e32 v9, 31, v6
	v_add_u32_e32 v12, 1, v11
	v_cmp_le_u32_e32 vcc, s33, v10
	v_xor_b32_e32 v9, s11, v9
	v_cndmask_b32_e32 v10, v11, v12, vcc
	v_xor_b32_e32 v10, v10, v9
	v_sub_u32_e32 v9, v10, v9
	v_mad_u64_u32 v[10:11], s[40:41], s37, v9, v[6:7]
	v_ashrrev_i32_e32 v11, 31, v10
	v_lshlrev_b64 v[10:11], 1, v[10:11]
	v_ashrrev_i32_e32 v16, 31, v9
	v_add_co_u32_e32 v10, vcc, s26, v10
	v_mul_lo_u32 v17, v9, s15
	v_mad_u64_u32 v[12:13], s[40:41], v9, s14, 0
	v_mad_u64_u32 v[14:15], s[40:41], s38, v9, v[4:5]
	v_mul_lo_u32 v9, v16, s14
	v_addc_co_u32_e32 v11, vcc, v5, v11, vcc
	v_add3_u32 v13, v13, v17, v9
	v_add_co_u32_e32 v16, vcc, s24, v10
	v_lshlrev_b64 v[12:13], 1, v[12:13]
	v_addc_co_u32_e32 v17, vcc, v11, v7, vcc
	v_ashrrev_i32_e32 v15, 31, v14
	v_add_co_u32_e32 v9, vcc, s27, v12
	v_lshlrev_b64 v[14:15], 1, v[14:15]
	v_addc_co_u32_e32 v12, vcc, v8, v13, vcc
	global_load_ushort v13, v[10:11], off
	global_load_ushort v18, v[16:17], off
	v_add_co_u32_e32 v10, vcc, v9, v14
	v_addc_co_u32_e32 v11, vcc, v12, v15, vcc
	global_load_dword v9, v[10:11], off
	v_add_u32_e32 v6, s36, v6
	v_cmp_le_i32_e32 vcc, s9, v6
	v_add_u32_e32 v4, s39, v4
	s_or_b64 s[12:13], vcc, s[12:13]
	s_waitcnt vmcnt(0)
	v_mul_f16_sdwa v12, v18, v9 dst_sel:DWORD dst_unused:UNUSED_PAD src0_sel:DWORD src1_sel:WORD_1
	v_mul_f16_sdwa v14, v13, v9 dst_sel:DWORD dst_unused:UNUSED_PAD src0_sel:DWORD src1_sel:WORD_1
	v_fma_f16 v12, v13, v9, -v12
	v_fma_f16 v9, v18, v9, v14
	v_pack_b32_f16 v9, v12, v9
	global_store_dword v[10:11], v9, off
	s_andn2_b64 exec, exec, s[12:13]
	s_cbranch_execnz .LBB63_3
.LBB63_4:
	s_or_b64 exec, exec, s[0:1]
	s_load_dwordx4 s[12:15], s[6:7], 0x68
	s_waitcnt lgkmcnt(0)
	s_ashr_i32 s37, s15, 31
	s_mov_b32 s36, s15
	s_or_b64 s[0:1], s[28:29], s[36:37]
	s_mov_b32 s0, 0
	s_cmp_lg_u64 s[0:1], 0
	s_cbranch_scc0 .LBB63_62
; %bb.5:
	s_add_u32 s0, s36, s37
	s_mov_b32 s24, s37
	s_mov_b32 s25, s37
	s_addc_u32 s1, s37, s37
	s_xor_b64 s[38:39], s[0:1], s[24:25]
	v_cvt_f32_u32_e32 v3, s38
	v_cvt_f32_u32_e32 v4, s39
	s_sub_u32 s0, 0, s38
	s_subb_u32 s1, 0, s39
	v_madmk_f32 v3, v4, 0x4f800000, v3
	v_rcp_f32_e32 v3, v3
	v_mul_f32_e32 v3, 0x5f7ffffc, v3
	v_mul_f32_e32 v4, 0x2f800000, v3
	v_trunc_f32_e32 v4, v4
	v_madmk_f32 v3, v4, 0xcf800000, v3
	v_cvt_u32_f32_e32 v4, v4
	v_cvt_u32_f32_e32 v3, v3
	v_readfirstlane_b32 s9, v4
	v_readfirstlane_b32 s11, v3
	s_mul_i32 s15, s0, s9
	s_mul_hi_u32 s40, s0, s11
	s_mul_i32 s33, s1, s11
	s_add_i32 s15, s40, s15
	s_add_i32 s15, s15, s33
	s_mul_i32 s41, s0, s11
	s_mul_hi_u32 s33, s11, s15
	s_mul_i32 s40, s11, s15
	s_mul_hi_u32 s11, s11, s41
	s_add_u32 s11, s11, s40
	s_addc_u32 s33, 0, s33
	s_mul_hi_u32 s42, s9, s41
	s_mul_i32 s41, s9, s41
	s_add_u32 s11, s11, s41
	s_mul_hi_u32 s40, s9, s15
	s_addc_u32 s11, s33, s42
	s_addc_u32 s33, s40, 0
	s_mul_i32 s15, s9, s15
	s_add_u32 s11, s11, s15
	s_addc_u32 s15, 0, s33
	v_add_co_u32_e32 v3, vcc, s11, v3
	s_cmp_lg_u64 vcc, 0
	s_addc_u32 s9, s9, s15
	v_readfirstlane_b32 s15, v3
	s_mul_i32 s11, s0, s9
	s_mul_hi_u32 s33, s0, s15
	s_add_i32 s11, s33, s11
	s_mul_i32 s1, s1, s15
	s_add_i32 s11, s11, s1
	s_mul_i32 s0, s0, s15
	s_mul_hi_u32 s33, s9, s0
	s_mul_i32 s40, s9, s0
	s_mul_i32 s42, s15, s11
	s_mul_hi_u32 s0, s15, s0
	s_mul_hi_u32 s41, s15, s11
	s_add_u32 s0, s0, s42
	s_addc_u32 s15, 0, s41
	s_add_u32 s0, s0, s40
	s_mul_hi_u32 s1, s9, s11
	s_addc_u32 s0, s15, s33
	s_addc_u32 s1, s1, 0
	s_mul_i32 s11, s9, s11
	s_add_u32 s0, s0, s11
	s_addc_u32 s1, 0, s1
	v_add_co_u32_e32 v3, vcc, s0, v3
	s_cmp_lg_u64 vcc, 0
	s_addc_u32 s9, s9, s1
	s_ashr_i32 s40, s29, 31
	s_add_u32 s0, s28, s40
	s_mov_b32 s41, s40
	s_addc_u32 s1, s29, s40
	s_xor_b64 s[42:43], s[0:1], s[40:41]
	v_readfirstlane_b32 s11, v3
	s_mul_i32 s1, s42, s9
	s_mul_hi_u32 s15, s42, s11
	s_mul_hi_u32 s0, s42, s9
	s_add_u32 s1, s15, s1
	s_addc_u32 s0, 0, s0
	s_mul_hi_u32 s33, s43, s11
	s_mul_i32 s11, s43, s11
	s_add_u32 s1, s1, s11
	s_mul_hi_u32 s15, s43, s9
	s_addc_u32 s0, s0, s33
	s_addc_u32 s1, s15, 0
	s_mul_i32 s9, s43, s9
	s_add_u32 s9, s0, s9
	s_addc_u32 s11, 0, s1
	s_mul_i32 s0, s38, s11
	s_mul_hi_u32 s1, s38, s9
	s_add_i32 s0, s1, s0
	s_mul_i32 s1, s39, s9
	s_add_i32 s15, s0, s1
	s_mul_i32 s1, s38, s9
	v_mov_b32_e32 v3, s1
	s_sub_i32 s0, s43, s15
	v_sub_co_u32_e32 v3, vcc, s42, v3
	s_cmp_lg_u64 vcc, 0
	s_subb_u32 s33, s0, s39
	v_subrev_co_u32_e64 v4, s[0:1], s38, v3
	s_cmp_lg_u64 s[0:1], 0
	s_subb_u32 s0, s33, 0
	s_cmp_ge_u32 s0, s39
	v_readfirstlane_b32 s33, v4
	s_cselect_b32 s1, -1, 0
	s_cmp_ge_u32 s33, s38
	s_cselect_b32 s33, -1, 0
	s_cmp_eq_u32 s0, s39
	s_cselect_b32 s0, s33, s1
	s_add_u32 s1, s9, 1
	s_addc_u32 s33, s11, 0
	s_add_u32 s42, s9, 2
	s_addc_u32 s44, s11, 0
	s_cmp_lg_u32 s0, 0
	s_cselect_b32 s0, s42, s1
	s_cselect_b32 s1, s44, s33
	s_cmp_lg_u64 vcc, 0
	s_subb_u32 s15, s43, s15
	s_cmp_ge_u32 s15, s39
	v_readfirstlane_b32 s42, v3
	s_cselect_b32 s33, -1, 0
	s_cmp_ge_u32 s42, s38
	s_cselect_b32 s38, -1, 0
	s_cmp_eq_u32 s15, s39
	s_cselect_b32 s15, s38, s33
	s_cmp_lg_u32 s15, 0
	s_cselect_b32 s1, s1, s11
	s_cselect_b32 s0, s0, s9
	s_xor_b64 s[24:25], s[40:41], s[24:25]
	s_xor_b64 s[0:1], s[0:1], s[24:25]
	s_sub_u32 s24, s0, s24
	s_subb_u32 s25, s1, s25
	s_cbranch_execnz .LBB63_7
.LBB63_6:
	v_cvt_f32_u32_e32 v3, s36
	s_sub_i32 s0, 0, s36
	s_mov_b32 s25, 0
	v_rcp_iflag_f32_e32 v3, v3
	v_mul_f32_e32 v3, 0x4f7ffffe, v3
	v_cvt_u32_f32_e32 v3, v3
	v_readfirstlane_b32 s1, v3
	s_mul_i32 s0, s0, s1
	s_mul_hi_u32 s0, s1, s0
	s_add_i32 s1, s1, s0
	s_mul_hi_u32 s0, s28, s1
	s_mul_i32 s9, s0, s36
	s_sub_i32 s9, s28, s9
	s_add_i32 s1, s0, 1
	s_sub_i32 s11, s9, s36
	s_cmp_ge_u32 s9, s36
	s_cselect_b32 s0, s1, s0
	s_cselect_b32 s9, s11, s9
	s_add_i32 s1, s0, 1
	s_cmp_ge_u32 s9, s36
	s_cselect_b32 s24, s1, s0
.LBB63_7:
	s_mul_i32 s0, s24, s37
	s_mul_hi_u32 s1, s24, s36
	s_load_dwordx2 s[26:27], s[6:7], 0x78
	s_add_i32 s0, s1, s0
	s_mul_i32 s1, s25, s36
	s_add_i32 s0, s0, s1
	s_mul_i32 s1, s24, s36
	s_sub_u32 s9, s28, s1
	s_subb_u32 s15, s29, s0
	v_cmp_gt_i32_e32 vcc, s10, v2
	s_mul_hi_u32 s42, s24, s12
	s_mul_i32 s43, s25, s12
	s_mul_i32 s44, s24, s12
	s_mul_hi_u32 s33, s9, s13
	s_mul_i32 s15, s15, s13
	s_mul_i32 s25, s9, s13
	s_and_saveexec_b64 s[28:29], vcc
	s_cbranch_execz .LBB63_42
; %bb.8:
	s_load_dwordx2 s[0:1], s[4:5], 0x4
	v_bfe_u32 v3, v0, 10, 10
	s_ashr_i32 s4, s12, 31
	s_ashr_i32 s11, s10, 31
	;; [unrolled: 1-line block ×3, first 2 shown]
	s_waitcnt lgkmcnt(0)
	s_lshr_b32 s0, s0, 16
	s_mul_i32 s0, s0, s1
	v_mul_lo_u32 v4, s0, v2
	v_mad_u32_u24 v3, v3, s1, v4
	s_mul_i32 s0, s24, s4
	s_load_dword s1, s[6:7], 0x8c
	s_add_i32 s0, s42, s0
	s_add_i32 s4, s0, s43
	s_ashr_i32 s0, s13, 31
	s_mul_i32 s0, s9, s0
	s_add_i32 s0, s33, s0
	s_add_i32 s5, s0, s15
	s_waitcnt lgkmcnt(0)
	s_and_b32 s46, s1, 0xffff
	s_lshl_b64 s[0:1], s[34:35], 1
	s_add_u32 s0, s30, s0
	v_bfe_u32 v0, v0, 20, 10
	s_addc_u32 s1, s31, s1
	v_add_lshl_u32 v3, v3, v0, 1
	v_mov_b32_e32 v0, s1
	v_add_co_u32_e32 v11, vcc, s0, v1
	v_addc_co_u32_e32 v12, vcc, 0, v0, vcc
	s_lshl_b32 s48, s46, 1
	s_lshl_b64 s[0:1], s[10:11], 1
	v_add_co_u32_e32 v13, vcc, s0, v11
	s_add_u32 s0, s44, s25
	v_mov_b32_e32 v0, s1
	s_addc_u32 s1, s4, s5
	s_add_u32 s4, s2, s14
	s_addc_u32 s5, s3, s36
	s_add_u32 s0, s4, s0
	v_addc_co_u32_e32 v14, vcc, v12, v0, vcc
	s_addc_u32 s1, s5, s1
	v_mov_b32_e32 v0, s1
	v_add_co_u32_e32 v1, vcc, s0, v1
	s_mul_i32 s0, s17, s8
	s_mul_hi_u32 s1, s16, s8
	s_add_i32 s1, s1, s0
	s_mul_i32 s0, s16, s8
	v_addc_co_u32_e32 v0, vcc, 0, v0, vcc
	s_lshl_b64 s[0:1], s[0:1], 1
	v_add_co_u32_e32 v15, vcc, 1, v1
	s_add_u32 s0, s20, s0
	s_load_dword s45, s[26:27], 0x0
	v_addc_co_u32_e32 v16, vcc, 0, v0, vcc
	v_lshlrev_b32_e32 v0, 2, v2
	s_addc_u32 s1, s21, s1
	v_mov_b32_e32 v1, s1
	v_add_co_u32_e32 v0, vcc, s0, v0
	v_addc_co_u32_e32 v1, vcc, 0, v1, vcc
	v_add_co_u32_e32 v0, vcc, 2, v0
	v_add_u32_e32 v10, 0x800, v3
	s_mov_b32 s47, 0
	v_addc_co_u32_e32 v1, vcc, 0, v1, vcc
	s_lshl_b32 s11, s46, 2
	s_mov_b64 s[4:5], 0
	v_mov_b32_e32 v5, 0
	s_movk_i32 s49, 0x80
	s_mov_b64 s[16:17], 0x7f800000
	s_mov_b64 s[20:21], 0x43e00001
	s_movk_i32 s50, 0x7a
	s_mov_b64 s[30:31], 0xffffff
	s_movk_i32 s51, 0x7f
	v_mov_b32_e32 v17, 0xffffff82
	v_mov_b32_e32 v18, 0x78
	s_mov_b64 s[34:35], 0
	v_mov_b32_e32 v19, v2
	s_branch .LBB63_10
.LBB63_9:                               ;   in Loop: Header=BB63_10 Depth=1
	s_or_b64 exec, exec, s[0:1]
	v_add_u32_e32 v19, s46, v19
	s_add_u32 s34, s34, s48
	s_addc_u32 s35, s35, 0
	v_cmp_le_i32_e32 vcc, s10, v19
	v_mov_b32_e32 v4, s47
	s_or_b64 s[4:5], vcc, s[4:5]
	v_add_co_u32_e32 v0, vcc, s11, v0
	v_addc_co_u32_e32 v1, vcc, v1, v4, vcc
	global_store_byte v[6:7], v9, off
	s_andn2_b64 exec, exec, s[4:5]
	s_cbranch_execz .LBB63_42
.LBB63_10:                              ; =>This Inner Loop Header: Depth=1
	v_mov_b32_e32 v4, s35
	v_add_co_u32_e32 v6, vcc, s34, v11
	v_addc_co_u32_e32 v7, vcc, v12, v4, vcc
	v_add_co_u32_e32 v8, vcc, s34, v13
	v_addc_co_u32_e32 v9, vcc, v14, v4, vcc
	global_load_ushort v4, v[8:9], off
	global_load_dword v20, v[0:1], off offset:-2
	global_load_ushort v21, v[6:7], off
	v_mov_b32_e32 v23, v5
	s_waitcnt vmcnt(1)
	v_mul_f16_sdwa v6, v4, v20 dst_sel:DWORD dst_unused:UNUSED_PAD src0_sel:DWORD src1_sel:WORD_1
	s_waitcnt vmcnt(0)
	v_fma_f16 v6, v21, v20, -v6
	v_mul_f16_sdwa v7, v21, v20 dst_sel:DWORD dst_unused:UNUSED_PAD src0_sel:DWORD src1_sel:WORD_1
	ds_write_b16 v10, v6
	v_fma_f16 v4, v4, v20, v7
	ds_read_b32 v7, v10
	ds_write_b16 v3, v4
	v_pack_b32_f16 v4, v6, v4
	global_store_dword v[0:1], v4, off offset:-2
	ds_read_b32 v8, v3
	s_waitcnt lgkmcnt(0)
	v_div_scale_f32 v4, s[0:1], s45, s45, v7
	v_rcp_f32_e32 v6, v4
	v_div_scale_f32 v9, vcc, v7, s45, v7
	v_fma_f32 v20, -v4, v6, 1.0
	v_fmac_f32_e32 v6, v20, v6
	v_mul_f32_e32 v20, v9, v6
	v_fma_f32 v21, -v4, v20, v9
	v_fmac_f32_e32 v20, v21, v6
	v_fma_f32 v4, -v4, v20, v9
	v_div_fmas_f32 v4, v4, v6, v20
	v_div_fixup_f32 v6, v4, s45, v7
	v_and_b32_sdwa v9, v6, s49 dst_sel:DWORD dst_unused:UNUSED_PAD src0_sel:BYTE_3 src1_sel:DWORD
	v_and_b32_e32 v22, 0x7f800000, v6
	v_and_b32_e32 v4, 0x7fffff, v6
	v_or_b32_e32 v20, 0x7e, v9
	v_cmp_ne_u64_e32 vcc, s[16:17], v[22:23]
	s_and_saveexec_b64 s[0:1], vcc
	s_xor_b64 s[36:37], exec, s[0:1]
	s_cbranch_execz .LBB63_24
; %bb.11:                               ;   in Loop: Header=BB63_10 Depth=1
	v_and_b32_e32 v22, 0x7fffffff, v6
	v_mov_b32_e32 v23, v5
	v_cmp_gt_u64_e32 vcc, s[20:21], v[22:23]
	s_and_saveexec_b64 s[0:1], vcc
	s_xor_b64 s[38:39], exec, s[0:1]
	s_cbranch_execz .LBB63_23
; %bb.12:                               ;   in Loop: Header=BB63_10 Depth=1
	v_cmp_ne_u32_e32 vcc, 0, v6
	v_mov_b32_e32 v20, 0
	s_and_saveexec_b64 s[40:41], vcc
	s_cbranch_execz .LBB63_22
; %bb.13:                               ;   in Loop: Header=BB63_10 Depth=1
	v_bfe_u32 v6, v6, 23, 8
	v_sub_u32_e32 v20, 0x79, v6
	v_cmp_gt_u32_e32 vcc, s50, v6
	v_cndmask_b32_e32 v20, 0, v20, vcc
	v_cmp_eq_u32_e32 vcc, 0, v6
	v_cndmask_b32_e32 v20, v20, v18, vcc
	v_add_u32_e32 v7, 0xffffff81, v6
	v_or_b32_e32 v21, 0x800000, v4
	v_add_u32_e32 v6, 20, v20
	v_cndmask_b32_e32 v26, v7, v17, vcc
	v_cndmask_b32_e32 v4, v21, v4, vcc
	v_lshlrev_b64 v[6:7], v6, -1
	v_not_b32_e32 v6, v6
	v_lshrrev_b64 v[24:25], v20, v[4:5]
	v_not_b32_e32 v7, v7
	v_and_b32_e32 v6, v4, v6
	v_add_u32_e32 v21, 19, v20
	v_lshrrev_b32_e32 v4, 23, v24
	v_and_b32_e32 v7, 0, v7
	v_lshlrev_b64 v[22:23], v21, 1
	v_add3_u32 v21, v20, v26, v4
	v_bfe_u32 v4, v24, 20, 1
	v_add_u32_e32 v4, -1, v4
	v_cmp_eq_u64_e32 vcc, v[6:7], v[22:23]
	v_cndmask_b32_e32 v4, 0, v4, vcc
	v_add_u32_e32 v4, v4, v24
	v_and_b32_e32 v4, 0xfffff, v4
	v_add_co_u32_e32 v6, vcc, v4, v24
	v_add_u32_e32 v20, 6, v21
	v_addc_co_u32_e32 v7, vcc, 0, v25, vcc
	v_cmp_ne_u32_e32 vcc, 0, v20
                                        ; implicit-def: $vgpr4
	s_and_saveexec_b64 s[0:1], vcc
	s_xor_b64 s[0:1], exec, s[0:1]
; %bb.14:                               ;   in Loop: Header=BB63_10 Depth=1
	v_add_u32_e32 v4, 7, v21
	v_cmp_lt_u64_e32 vcc, s[30:31], v[6:7]
	v_cndmask_b32_e32 v4, v20, v4, vcc
	v_cndmask_b32_e64 v20, 0, 1, vcc
	v_lshrrev_b64 v[6:7], v20, v[6:7]
; %bb.15:                               ;   in Loop: Header=BB63_10 Depth=1
	s_andn2_saveexec_b64 s[0:1], s[0:1]
; %bb.16:                               ;   in Loop: Header=BB63_10 Depth=1
	v_bfe_u32 v4, v6, 23, 1
; %bb.17:                               ;   in Loop: Header=BB63_10 Depth=1
	s_or_b64 exec, exec, s[0:1]
	v_lshrrev_b64 v[6:7], 20, v[6:7]
	v_cmp_gt_i32_e32 vcc, 16, v4
	v_cndmask_b32_e32 v7, 0, v7, vcc
	v_cndmask_b32_e32 v6, 7, v6, vcc
	v_cmp_ne_u32_e32 vcc, 0, v4
	v_cmp_ne_u64_e64 s[0:1], 0, v[6:7]
	s_or_b64 s[0:1], vcc, s[0:1]
                                        ; implicit-def: $vgpr20
	s_and_saveexec_b64 s[52:53], s[0:1]
	s_xor_b64 s[0:1], exec, s[52:53]
; %bb.18:                               ;   in Loop: Header=BB63_10 Depth=1
	v_min_i32_e32 v4, 15, v4
	v_lshl_or_b32 v4, v4, 3, v9
	v_and_or_b32 v20, v6, 7, v4
                                        ; implicit-def: $vgpr9
; %bb.19:                               ;   in Loop: Header=BB63_10 Depth=1
	s_andn2_saveexec_b64 s[0:1], s[0:1]
; %bb.20:                               ;   in Loop: Header=BB63_10 Depth=1
	v_mov_b32_e32 v20, v9
; %bb.21:                               ;   in Loop: Header=BB63_10 Depth=1
	s_or_b64 exec, exec, s[0:1]
.LBB63_22:                              ;   in Loop: Header=BB63_10 Depth=1
	s_or_b64 exec, exec, s[40:41]
.LBB63_23:                              ;   in Loop: Header=BB63_10 Depth=1
	s_andn2_saveexec_b64 s[0:1], s[38:39]
	s_or_b64 exec, exec, s[0:1]
                                        ; implicit-def: $vgpr6
.LBB63_24:                              ;   in Loop: Header=BB63_10 Depth=1
	s_andn2_saveexec_b64 s[0:1], s[36:37]
; %bb.25:                               ;   in Loop: Header=BB63_10 Depth=1
	v_or_b32_sdwa v6, v6, s51 dst_sel:DWORD dst_unused:UNUSED_PAD src0_sel:BYTE_3 src1_sel:DWORD
	v_cmp_eq_u64_e32 vcc, 0, v[4:5]
	v_cndmask_b32_e32 v20, v6, v20, vcc
; %bb.26:                               ;   in Loop: Header=BB63_10 Depth=1
	s_or_b64 exec, exec, s[0:1]
	v_div_scale_f32 v9, s[0:1], s45, s45, v8
	v_rcp_f32_e32 v21, v9
	v_mov_b32_e32 v4, s35
	v_add_co_u32_e32 v6, vcc, s34, v15
	v_addc_co_u32_e32 v7, vcc, v16, v4, vcc
	v_fma_f32 v4, -v9, v21, 1.0
	v_fmac_f32_e32 v21, v4, v21
	v_div_scale_f32 v4, vcc, v8, s45, v8
	global_store_byte v[6:7], v20, off offset:-1
	v_mul_f32_e32 v20, v4, v21
	v_fma_f32 v22, -v9, v20, v4
	v_fmac_f32_e32 v20, v22, v21
	v_fma_f32 v4, -v9, v20, v4
	v_div_fmas_f32 v4, v4, v21, v20
	v_div_fixup_f32 v8, v4, s45, v8
	v_and_b32_sdwa v20, v8, s49 dst_sel:DWORD dst_unused:UNUSED_PAD src0_sel:BYTE_3 src1_sel:DWORD
	v_and_b32_e32 v22, 0x7f800000, v8
	v_mov_b32_e32 v23, v5
	v_and_b32_e32 v4, 0x7fffff, v8
	v_or_b32_e32 v9, 0x7e, v20
	v_cmp_ne_u64_e32 vcc, s[16:17], v[22:23]
	s_and_saveexec_b64 s[0:1], vcc
	s_xor_b64 s[36:37], exec, s[0:1]
	s_cbranch_execz .LBB63_40
; %bb.27:                               ;   in Loop: Header=BB63_10 Depth=1
	v_and_b32_e32 v22, 0x7fffffff, v8
	v_mov_b32_e32 v23, v5
	v_cmp_gt_u64_e32 vcc, s[20:21], v[22:23]
	s_and_saveexec_b64 s[0:1], vcc
	s_xor_b64 s[38:39], exec, s[0:1]
	s_cbranch_execz .LBB63_39
; %bb.28:                               ;   in Loop: Header=BB63_10 Depth=1
	v_cmp_ne_u32_e32 vcc, 0, v8
	v_mov_b32_e32 v9, 0
	s_and_saveexec_b64 s[40:41], vcc
	s_cbranch_execz .LBB63_38
; %bb.29:                               ;   in Loop: Header=BB63_10 Depth=1
	v_bfe_u32 v8, v8, 23, 8
	v_sub_u32_e32 v21, 0x79, v8
	v_cmp_gt_u32_e32 vcc, s50, v8
	v_cndmask_b32_e32 v21, 0, v21, vcc
	v_cmp_eq_u32_e32 vcc, 0, v8
	v_cndmask_b32_e32 v21, v21, v18, vcc
	v_add_u32_e32 v9, 0xffffff81, v8
	v_or_b32_e32 v22, 0x800000, v4
	v_add_u32_e32 v8, 20, v21
	v_cndmask_b32_e32 v23, v9, v17, vcc
	v_cndmask_b32_e32 v4, v22, v4, vcc
	v_lshlrev_b64 v[8:9], v8, -1
	v_not_b32_e32 v8, v8
	v_lshrrev_b64 v[26:27], v21, v[4:5]
	v_not_b32_e32 v9, v9
	v_and_b32_e32 v8, v4, v8
	v_add_u32_e32 v22, 19, v21
	v_lshrrev_b32_e32 v4, 23, v26
	v_and_b32_e32 v9, 0, v9
	v_lshlrev_b64 v[24:25], v22, 1
	v_add3_u32 v22, v21, v23, v4
	v_bfe_u32 v4, v26, 20, 1
	v_add_u32_e32 v4, -1, v4
	v_cmp_eq_u64_e32 vcc, v[8:9], v[24:25]
	v_cndmask_b32_e32 v4, 0, v4, vcc
	v_add_u32_e32 v4, v4, v26
	v_and_b32_e32 v4, 0xfffff, v4
	v_add_co_u32_e32 v8, vcc, v4, v26
	v_add_u32_e32 v21, 6, v22
	v_addc_co_u32_e32 v9, vcc, 0, v27, vcc
	v_cmp_ne_u32_e32 vcc, 0, v21
                                        ; implicit-def: $vgpr4
	s_and_saveexec_b64 s[0:1], vcc
	s_xor_b64 s[0:1], exec, s[0:1]
; %bb.30:                               ;   in Loop: Header=BB63_10 Depth=1
	v_add_u32_e32 v4, 7, v22
	v_cmp_lt_u64_e32 vcc, s[30:31], v[8:9]
	v_cndmask_b32_e32 v4, v21, v4, vcc
	v_cndmask_b32_e64 v21, 0, 1, vcc
	v_lshrrev_b64 v[8:9], v21, v[8:9]
; %bb.31:                               ;   in Loop: Header=BB63_10 Depth=1
	s_andn2_saveexec_b64 s[0:1], s[0:1]
; %bb.32:                               ;   in Loop: Header=BB63_10 Depth=1
	v_bfe_u32 v4, v8, 23, 1
; %bb.33:                               ;   in Loop: Header=BB63_10 Depth=1
	s_or_b64 exec, exec, s[0:1]
	v_lshrrev_b64 v[8:9], 20, v[8:9]
	v_cmp_gt_i32_e32 vcc, 16, v4
	v_cndmask_b32_e32 v9, 0, v9, vcc
	v_cndmask_b32_e32 v8, 7, v8, vcc
	v_cmp_ne_u32_e32 vcc, 0, v4
	v_cmp_ne_u64_e64 s[0:1], 0, v[8:9]
	s_or_b64 s[0:1], vcc, s[0:1]
                                        ; implicit-def: $vgpr9
	s_and_saveexec_b64 s[52:53], s[0:1]
	s_xor_b64 s[0:1], exec, s[52:53]
; %bb.34:                               ;   in Loop: Header=BB63_10 Depth=1
	v_min_i32_e32 v4, 15, v4
	v_lshl_or_b32 v4, v4, 3, v20
	v_and_or_b32 v9, v8, 7, v4
                                        ; implicit-def: $vgpr20
; %bb.35:                               ;   in Loop: Header=BB63_10 Depth=1
	s_andn2_saveexec_b64 s[0:1], s[0:1]
; %bb.36:                               ;   in Loop: Header=BB63_10 Depth=1
	v_mov_b32_e32 v9, v20
; %bb.37:                               ;   in Loop: Header=BB63_10 Depth=1
	s_or_b64 exec, exec, s[0:1]
.LBB63_38:                              ;   in Loop: Header=BB63_10 Depth=1
	s_or_b64 exec, exec, s[40:41]
.LBB63_39:                              ;   in Loop: Header=BB63_10 Depth=1
	s_andn2_saveexec_b64 s[0:1], s[38:39]
	s_or_b64 exec, exec, s[0:1]
                                        ; implicit-def: $vgpr8
.LBB63_40:                              ;   in Loop: Header=BB63_10 Depth=1
	s_andn2_saveexec_b64 s[0:1], s[36:37]
	s_cbranch_execz .LBB63_9
; %bb.41:                               ;   in Loop: Header=BB63_10 Depth=1
	v_or_b32_sdwa v8, v8, s51 dst_sel:DWORD dst_unused:UNUSED_PAD src0_sel:BYTE_3 src1_sel:DWORD
	v_cmp_eq_u64_e32 vcc, 0, v[4:5]
	v_cndmask_b32_e32 v9, v8, v9, vcc
	s_branch .LBB63_9
.LBB63_42:
	s_or_b64 exec, exec, s[28:29]
	v_cmp_gt_i32_e32 vcc, s14, v2
	s_and_saveexec_b64 s[0:1], vcc
	s_cbranch_execz .LBB63_61
; %bb.43:
	s_mul_i32 s0, s8, s19
	s_mul_hi_u32 s1, s8, s18
	s_add_i32 s1, s1, s0
	s_mul_i32 s0, s8, s18
	s_lshl_b64 s[0:1], s[0:1], 1
	s_add_u32 s18, s22, s0
	s_addc_u32 s0, s23, s1
	s_ashr_i32 s1, s12, 31
	s_mul_i32 s1, s24, s1
	s_add_i32 s1, s42, s1
	s_add_i32 s1, s1, s43
	s_add_u32 s2, s2, s44
	s_addc_u32 s1, s3, s1
	s_ashr_i32 s3, s13, 31
	s_load_dword s4, s[6:7], 0x8c
	s_mul_i32 s9, s9, s3
	s_waitcnt lgkmcnt(0)
	s_load_dword s20, s[26:27], 0x0
	s_add_i32 s3, s33, s9
	s_add_i32 s3, s3, s15
	s_add_u32 s15, s2, s25
	s_addc_u32 s19, s1, s3
	s_and_b32 s21, s4, 0xffff
	s_mov_b64 s[2:3], 0
	v_mov_b32_e32 v6, s0
	v_mov_b32_e32 v1, 0
	s_movk_i32 s22, 0x80
	s_mov_b64 s[4:5], 0x7f800000
	s_mov_b64 s[6:7], 0x43e00001
	s_movk_i32 s23, 0x7a
	s_mov_b64 s[8:9], 0xffffff
	s_movk_i32 s24, 0x7f
	v_mov_b32_e32 v7, 0xffffff82
	v_mov_b32_e32 v8, 0x78
	s_branch .LBB63_45
.LBB63_44:                              ;   in Loop: Header=BB63_45 Depth=1
	s_or_b64 exec, exec, s[0:1]
	v_mov_b32_e32 v0, s19
	v_add_co_u32_e32 v10, vcc, s15, v2
	v_addc_co_u32_e32 v11, vcc, v0, v3, vcc
	v_add_u32_e32 v2, s21, v2
	v_cmp_le_i32_e32 vcc, s14, v2
	s_or_b64 s[2:3], vcc, s[2:3]
	global_store_byte v[10:11], v5, off
	s_andn2_b64 exec, exec, s[2:3]
	s_cbranch_execz .LBB63_61
.LBB63_45:                              ; =>This Inner Loop Header: Depth=1
	v_ashrrev_i32_e32 v3, 31, v2
	v_lshlrev_b64 v[4:5], 1, v[2:3]
	v_add_co_u32_e32 v4, vcc, s18, v4
	v_addc_co_u32_e32 v5, vcc, v6, v5, vcc
	global_load_dword v0, v[4:5], off
	v_mov_b32_e32 v11, v1
	s_waitcnt vmcnt(0) lgkmcnt(0)
	v_div_scale_f32 v4, s[0:1], s20, s20, v0
	v_rcp_f32_e32 v5, v4
	v_div_scale_f32 v9, vcc, v0, s20, v0
	v_fma_f32 v10, -v4, v5, 1.0
	v_fmac_f32_e32 v5, v10, v5
	v_mul_f32_e32 v10, v9, v5
	v_fma_f32 v12, -v4, v10, v9
	v_fmac_f32_e32 v10, v12, v5
	v_fma_f32 v4, -v4, v10, v9
	v_div_fmas_f32 v4, v4, v5, v10
	v_div_fixup_f32 v4, v4, s20, v0
	v_and_b32_sdwa v9, v4, s22 dst_sel:DWORD dst_unused:UNUSED_PAD src0_sel:BYTE_3 src1_sel:DWORD
	v_and_b32_e32 v10, 0x7f800000, v4
	v_and_b32_e32 v0, 0x7fffff, v4
	v_or_b32_e32 v5, 0x7e, v9
	v_cmp_ne_u64_e32 vcc, s[4:5], v[10:11]
	s_and_saveexec_b64 s[0:1], vcc
	s_xor_b64 s[10:11], exec, s[0:1]
	s_cbranch_execz .LBB63_59
; %bb.46:                               ;   in Loop: Header=BB63_45 Depth=1
	v_and_b32_e32 v10, 0x7fffffff, v4
	v_mov_b32_e32 v11, v1
	v_cmp_gt_u64_e32 vcc, s[6:7], v[10:11]
	s_and_saveexec_b64 s[0:1], vcc
	s_xor_b64 s[12:13], exec, s[0:1]
	s_cbranch_execz .LBB63_58
; %bb.47:                               ;   in Loop: Header=BB63_45 Depth=1
	v_cmp_ne_u32_e32 vcc, 0, v4
	v_mov_b32_e32 v5, 0
	s_and_saveexec_b64 s[16:17], vcc
	s_cbranch_execz .LBB63_57
; %bb.48:                               ;   in Loop: Header=BB63_45 Depth=1
	v_bfe_u32 v4, v4, 23, 8
	v_sub_u32_e32 v10, 0x79, v4
	v_cmp_gt_u32_e32 vcc, s23, v4
	v_cndmask_b32_e32 v10, 0, v10, vcc
	v_cmp_eq_u32_e32 vcc, 0, v4
	v_cndmask_b32_e32 v10, v10, v8, vcc
	v_add_u32_e32 v5, 0xffffff81, v4
	v_or_b32_e32 v11, 0x800000, v0
	v_add_u32_e32 v4, 20, v10
	v_cndmask_b32_e32 v16, v5, v7, vcc
	v_cndmask_b32_e32 v0, v11, v0, vcc
	v_lshlrev_b64 v[4:5], v4, -1
	v_not_b32_e32 v4, v4
	v_lshrrev_b64 v[14:15], v10, v[0:1]
	v_not_b32_e32 v5, v5
	v_and_b32_e32 v4, v0, v4
	v_add_u32_e32 v11, 19, v10
	v_lshrrev_b32_e32 v0, 23, v14
	v_and_b32_e32 v5, 0, v5
	v_lshlrev_b64 v[12:13], v11, 1
	v_add3_u32 v11, v10, v16, v0
	v_bfe_u32 v0, v14, 20, 1
	v_add_u32_e32 v0, -1, v0
	v_cmp_eq_u64_e32 vcc, v[4:5], v[12:13]
	v_cndmask_b32_e32 v0, 0, v0, vcc
	v_add_u32_e32 v0, v0, v14
	v_and_b32_e32 v0, 0xfffff, v0
	v_add_co_u32_e32 v4, vcc, v0, v14
	v_add_u32_e32 v10, 6, v11
	v_addc_co_u32_e32 v5, vcc, 0, v15, vcc
	v_cmp_ne_u32_e32 vcc, 0, v10
                                        ; implicit-def: $vgpr0
	s_and_saveexec_b64 s[0:1], vcc
	s_xor_b64 s[0:1], exec, s[0:1]
; %bb.49:                               ;   in Loop: Header=BB63_45 Depth=1
	v_add_u32_e32 v0, 7, v11
	v_cmp_lt_u64_e32 vcc, s[8:9], v[4:5]
	v_cndmask_b32_e32 v0, v10, v0, vcc
	v_cndmask_b32_e64 v10, 0, 1, vcc
	v_lshrrev_b64 v[4:5], v10, v[4:5]
; %bb.50:                               ;   in Loop: Header=BB63_45 Depth=1
	s_andn2_saveexec_b64 s[0:1], s[0:1]
; %bb.51:                               ;   in Loop: Header=BB63_45 Depth=1
	v_bfe_u32 v0, v4, 23, 1
; %bb.52:                               ;   in Loop: Header=BB63_45 Depth=1
	s_or_b64 exec, exec, s[0:1]
	v_lshrrev_b64 v[4:5], 20, v[4:5]
	v_cmp_gt_i32_e32 vcc, 16, v0
	v_cndmask_b32_e32 v5, 0, v5, vcc
	v_cndmask_b32_e32 v4, 7, v4, vcc
	v_cmp_ne_u32_e32 vcc, 0, v0
	v_cmp_ne_u64_e64 s[0:1], 0, v[4:5]
	s_or_b64 s[0:1], vcc, s[0:1]
                                        ; implicit-def: $vgpr5
	s_and_saveexec_b64 s[26:27], s[0:1]
	s_xor_b64 s[0:1], exec, s[26:27]
; %bb.53:                               ;   in Loop: Header=BB63_45 Depth=1
	v_min_i32_e32 v0, 15, v0
	v_lshl_or_b32 v0, v0, 3, v9
	v_and_or_b32 v5, v4, 7, v0
                                        ; implicit-def: $vgpr9
; %bb.54:                               ;   in Loop: Header=BB63_45 Depth=1
	s_andn2_saveexec_b64 s[0:1], s[0:1]
; %bb.55:                               ;   in Loop: Header=BB63_45 Depth=1
	v_mov_b32_e32 v5, v9
; %bb.56:                               ;   in Loop: Header=BB63_45 Depth=1
	s_or_b64 exec, exec, s[0:1]
.LBB63_57:                              ;   in Loop: Header=BB63_45 Depth=1
	s_or_b64 exec, exec, s[16:17]
.LBB63_58:                              ;   in Loop: Header=BB63_45 Depth=1
	s_andn2_saveexec_b64 s[0:1], s[12:13]
	s_or_b64 exec, exec, s[0:1]
                                        ; implicit-def: $vgpr4
.LBB63_59:                              ;   in Loop: Header=BB63_45 Depth=1
	s_andn2_saveexec_b64 s[0:1], s[10:11]
	s_cbranch_execz .LBB63_44
; %bb.60:                               ;   in Loop: Header=BB63_45 Depth=1
	v_or_b32_sdwa v4, v4, s24 dst_sel:DWORD dst_unused:UNUSED_PAD src0_sel:BYTE_3 src1_sel:DWORD
	v_cmp_eq_u64_e32 vcc, 0, v[0:1]
	v_cndmask_b32_e32 v5, v4, v5, vcc
	s_branch .LBB63_44
.LBB63_61:
	s_endpgm
.LBB63_62:
                                        ; implicit-def: $sgpr24_sgpr25
	s_branch .LBB63_6
	.section	.rodata,"a",@progbits
	.p2align	6, 0x0
	.amdhsa_kernel _ZN4vllm38concat_and_cache_mla_rope_fused_kernelIN3c104HalfES2_Lb0EfhLNS_18Fp8KVCacheDataTypeE1EEEvPKlPT_S7_PKS6_PKT0_illlliPT3_S5_iiiiPKf
		.amdhsa_group_segment_fixed_size 4096
		.amdhsa_private_segment_fixed_size 0
		.amdhsa_kernarg_size 384
		.amdhsa_user_sgpr_count 8
		.amdhsa_user_sgpr_private_segment_buffer 1
		.amdhsa_user_sgpr_dispatch_ptr 1
		.amdhsa_user_sgpr_queue_ptr 0
		.amdhsa_user_sgpr_kernarg_segment_ptr 1
		.amdhsa_user_sgpr_dispatch_id 0
		.amdhsa_user_sgpr_flat_scratch_init 0
		.amdhsa_user_sgpr_kernarg_preload_length 0
		.amdhsa_user_sgpr_kernarg_preload_offset 0
		.amdhsa_user_sgpr_private_segment_size 0
		.amdhsa_uses_dynamic_stack 0
		.amdhsa_system_sgpr_private_segment_wavefront_offset 0
		.amdhsa_system_sgpr_workgroup_id_x 1
		.amdhsa_system_sgpr_workgroup_id_y 0
		.amdhsa_system_sgpr_workgroup_id_z 0
		.amdhsa_system_sgpr_workgroup_info 0
		.amdhsa_system_vgpr_workitem_id 2
		.amdhsa_next_free_vgpr 28
		.amdhsa_next_free_sgpr 54
		.amdhsa_accum_offset 28
		.amdhsa_reserve_vcc 1
		.amdhsa_reserve_flat_scratch 0
		.amdhsa_float_round_mode_32 0
		.amdhsa_float_round_mode_16_64 0
		.amdhsa_float_denorm_mode_32 3
		.amdhsa_float_denorm_mode_16_64 3
		.amdhsa_dx10_clamp 1
		.amdhsa_ieee_mode 1
		.amdhsa_fp16_overflow 0
		.amdhsa_tg_split 0
		.amdhsa_exception_fp_ieee_invalid_op 0
		.amdhsa_exception_fp_denorm_src 0
		.amdhsa_exception_fp_ieee_div_zero 0
		.amdhsa_exception_fp_ieee_overflow 0
		.amdhsa_exception_fp_ieee_underflow 0
		.amdhsa_exception_fp_ieee_inexact 0
		.amdhsa_exception_int_div_zero 0
	.end_amdhsa_kernel
	.section	.text._ZN4vllm38concat_and_cache_mla_rope_fused_kernelIN3c104HalfES2_Lb0EfhLNS_18Fp8KVCacheDataTypeE1EEEvPKlPT_S7_PKS6_PKT0_illlliPT3_S5_iiiiPKf,"axG",@progbits,_ZN4vllm38concat_and_cache_mla_rope_fused_kernelIN3c104HalfES2_Lb0EfhLNS_18Fp8KVCacheDataTypeE1EEEvPKlPT_S7_PKS6_PKT0_illlliPT3_S5_iiiiPKf,comdat
.Lfunc_end63:
	.size	_ZN4vllm38concat_and_cache_mla_rope_fused_kernelIN3c104HalfES2_Lb0EfhLNS_18Fp8KVCacheDataTypeE1EEEvPKlPT_S7_PKS6_PKT0_illlliPT3_S5_iiiiPKf, .Lfunc_end63-_ZN4vllm38concat_and_cache_mla_rope_fused_kernelIN3c104HalfES2_Lb0EfhLNS_18Fp8KVCacheDataTypeE1EEEvPKlPT_S7_PKS6_PKT0_illlliPT3_S5_iiiiPKf
                                        ; -- End function
	.section	.AMDGPU.csdata,"",@progbits
; Kernel info:
; codeLenInByte = 3748
; NumSgprs: 58
; NumVgprs: 28
; NumAgprs: 0
; TotalNumVgprs: 28
; ScratchSize: 0
; MemoryBound: 0
; FloatMode: 240
; IeeeMode: 1
; LDSByteSize: 4096 bytes/workgroup (compile time only)
; SGPRBlocks: 7
; VGPRBlocks: 3
; NumSGPRsForWavesPerEU: 58
; NumVGPRsForWavesPerEU: 28
; AccumOffset: 28
; Occupancy: 8
; WaveLimiterHint : 1
; COMPUTE_PGM_RSRC2:SCRATCH_EN: 0
; COMPUTE_PGM_RSRC2:USER_SGPR: 8
; COMPUTE_PGM_RSRC2:TRAP_HANDLER: 0
; COMPUTE_PGM_RSRC2:TGID_X_EN: 1
; COMPUTE_PGM_RSRC2:TGID_Y_EN: 0
; COMPUTE_PGM_RSRC2:TGID_Z_EN: 0
; COMPUTE_PGM_RSRC2:TIDIG_COMP_CNT: 2
; COMPUTE_PGM_RSRC3_GFX90A:ACCUM_OFFSET: 6
; COMPUTE_PGM_RSRC3_GFX90A:TG_SPLIT: 0
	.section	.text._ZN4vllm38concat_and_cache_mla_rope_fused_kernelIN3c104HalfENS1_8BFloat16ELb1EfhLNS_18Fp8KVCacheDataTypeE1EEEvPKlPT_S8_PKS7_PKT0_illlliPT3_S6_iiiiPKf,"axG",@progbits,_ZN4vllm38concat_and_cache_mla_rope_fused_kernelIN3c104HalfENS1_8BFloat16ELb1EfhLNS_18Fp8KVCacheDataTypeE1EEEvPKlPT_S8_PKS7_PKT0_illlliPT3_S6_iiiiPKf,comdat
	.protected	_ZN4vllm38concat_and_cache_mla_rope_fused_kernelIN3c104HalfENS1_8BFloat16ELb1EfhLNS_18Fp8KVCacheDataTypeE1EEEvPKlPT_S8_PKS7_PKT0_illlliPT3_S6_iiiiPKf ; -- Begin function _ZN4vllm38concat_and_cache_mla_rope_fused_kernelIN3c104HalfENS1_8BFloat16ELb1EfhLNS_18Fp8KVCacheDataTypeE1EEEvPKlPT_S8_PKS7_PKT0_illlliPT3_S6_iiiiPKf
	.globl	_ZN4vllm38concat_and_cache_mla_rope_fused_kernelIN3c104HalfENS1_8BFloat16ELb1EfhLNS_18Fp8KVCacheDataTypeE1EEEvPKlPT_S8_PKS7_PKT0_illlliPT3_S6_iiiiPKf
	.p2align	8
	.type	_ZN4vllm38concat_and_cache_mla_rope_fused_kernelIN3c104HalfENS1_8BFloat16ELb1EfhLNS_18Fp8KVCacheDataTypeE1EEEvPKlPT_S8_PKS7_PKT0_illlliPT3_S6_iiiiPKf,@function
_ZN4vllm38concat_and_cache_mla_rope_fused_kernelIN3c104HalfENS1_8BFloat16ELb1EfhLNS_18Fp8KVCacheDataTypeE1EEEvPKlPT_S8_PKS7_PKT0_illlliPT3_S6_iiiiPKf: ; @_ZN4vllm38concat_and_cache_mla_rope_fused_kernelIN3c104HalfENS1_8BFloat16ELb1EfhLNS_18Fp8KVCacheDataTypeE1EEEvPKlPT_S8_PKS7_PKT0_illlliPT3_S6_iiiiPKf
; %bb.0:
	s_load_dwordx2 s[2:3], s[6:7], 0x60
	s_mov_b32 s9, 0
	s_lshl_b64 s[0:1], s[8:9], 3
	s_waitcnt lgkmcnt(0)
	s_add_u32 s2, s2, s0
	s_addc_u32 s3, s3, s1
	s_load_dwordx2 s[28:29], s[2:3], 0x0
	s_waitcnt lgkmcnt(0)
	v_cmp_lt_i64_e64 s[2:3], s[28:29], 0
	s_and_b64 vcc, exec, s[2:3]
	s_cbranch_vccnz .LBB64_61
; %bb.1:
	s_load_dword s24, s[6:7], 0x28
	s_load_dwordx2 s[2:3], s[6:7], 0x0
	s_load_dwordx2 s[30:31], s[6:7], 0x20
	s_load_dwordx4 s[20:23], s[6:7], 0x10
	v_and_b32_e32 v2, 0x3ff, v0
	s_waitcnt lgkmcnt(0)
	s_ashr_i32 s9, s24, 31
	s_add_u32 s0, s2, s0
	s_addc_u32 s1, s3, s1
	s_load_dwordx2 s[10:11], s[0:1], 0x0
	s_load_dwordx8 s[12:19], s[6:7], 0x30
	s_load_dwordx2 s[2:3], s[6:7], 0x58
	s_load_dword s25, s[6:7], 0x50
	s_waitcnt lgkmcnt(0)
	s_mul_i32 s0, s10, s9
	s_mul_hi_u32 s1, s10, s24
	s_add_i32 s0, s1, s0
	s_mul_i32 s1, s11, s24
	s_add_i32 s1, s0, s1
	s_mul_i32 s0, s10, s24
	s_lshl_b64 s[34:35], s[0:1], 1
	s_add_u32 s9, s30, s34
	s_addc_u32 s33, s31, s35
	s_lshr_b32 s0, s24, 31
	s_add_i32 s24, s24, s0
	s_ashr_i32 s10, s24, 1
	s_mul_i32 s26, s10, s25
	v_cmp_gt_i32_e32 vcc, s26, v2
	s_and_saveexec_b64 s[0:1], vcc
	s_cbranch_execz .LBB64_4
; %bb.2:
	s_load_dwordx2 s[24:25], s[6:7], 0x8
	s_load_dword s37, s[6:7], 0x8c
	s_mul_i32 s13, s8, s13
	s_mul_hi_u32 s27, s8, s12
	s_add_i32 s13, s27, s13
	s_mul_i32 s12, s8, s12
	s_ashr_i32 s11, s10, 31
	s_lshl_b64 s[12:13], s[12:13], 1
	s_waitcnt lgkmcnt(0)
	s_add_u32 s27, s24, s12
	s_addc_u32 s39, s25, s13
	s_abs_i32 s36, s10
	v_cvt_f32_u32_e32 v1, s36
	s_sub_i32 s24, 0, s36
	s_mov_b64 s[12:13], 0
	s_and_b32 s37, s37, 0xffff
	v_rcp_iflag_f32_e32 v3, v1
	v_mov_b32_e32 v1, s33
	s_sub_i32 s38, 0, s10
	v_mov_b32_e32 v6, s39
	v_mul_f32_e32 v3, 0x4f7ffffe, v3
	v_cvt_u32_f32_e32 v3, v3
	v_mul_lo_u32 v4, s24, v3
	v_mul_hi_u32 v4, v3, v4
	s_lshl_b64 s[24:25], s[10:11], 1
	v_add_u32_e32 v3, v3, v4
	v_mov_b32_e32 v5, s25
	v_mov_b32_e32 v4, v2
.LBB64_3:                               ; =>This Inner Loop Header: Depth=1
	v_sub_u32_e32 v8, 0, v4
	v_max_i32_e32 v8, v4, v8
	v_mul_hi_u32 v9, v8, v3
	v_mul_lo_u32 v10, v9, s36
	v_sub_u32_e32 v8, v8, v10
	v_add_u32_e32 v11, 1, v9
	v_cmp_le_u32_e32 vcc, s36, v8
	v_subrev_u32_e32 v10, s36, v8
	v_cndmask_b32_e32 v9, v9, v11, vcc
	v_cndmask_b32_e32 v8, v8, v10, vcc
	v_ashrrev_i32_e32 v7, 31, v4
	v_add_u32_e32 v10, 1, v9
	v_cmp_le_u32_e32 vcc, s36, v8
	v_xor_b32_e32 v7, s11, v7
	v_cndmask_b32_e32 v8, v9, v10, vcc
	v_xor_b32_e32 v8, v8, v7
	v_sub_u32_e32 v7, v8, v7
	v_mad_u64_u32 v[8:9], s[40:41], s38, v7, v[4:5]
	v_ashrrev_i32_e32 v9, 31, v8
	v_ashrrev_i32_e32 v12, 31, v7
	v_lshlrev_b64 v[8:9], 1, v[8:9]
	v_mul_lo_u32 v13, v7, s15
	v_mad_u64_u32 v[10:11], s[40:41], v7, s14, 0
	v_mul_lo_u32 v7, v12, s14
	v_add_co_u32_e32 v12, vcc, s9, v8
	v_add3_u32 v11, v11, v13, v7
	v_addc_co_u32_e32 v13, vcc, v1, v9, vcc
	v_add_co_u32_e32 v14, vcc, s24, v12
	v_lshlrev_b64 v[10:11], 1, v[10:11]
	v_addc_co_u32_e32 v15, vcc, v13, v5, vcc
	v_add_co_u32_e32 v7, vcc, s27, v10
	global_load_ushort v16, v[12:13], off
	global_load_ushort v17, v[14:15], off
	v_addc_co_u32_e32 v10, vcc, v6, v11, vcc
	v_add_co_u32_e32 v8, vcc, v7, v8
	v_addc_co_u32_e32 v9, vcc, v10, v9, vcc
	v_add_co_u32_e32 v10, vcc, s24, v8
	v_addc_co_u32_e32 v11, vcc, v9, v5, vcc
	global_load_ushort v7, v[8:9], off
	global_load_ushort v12, v[10:11], off
	v_add_u32_e32 v4, s37, v4
	v_cmp_le_i32_e32 vcc, s26, v4
	s_or_b64 s[12:13], vcc, s[12:13]
	s_waitcnt vmcnt(3)
	v_lshlrev_b32_e32 v13, 16, v16
	s_waitcnt vmcnt(2)
	v_lshlrev_b32_e32 v14, 16, v17
	v_cvt_f16_f32_e32 v14, v14
	v_cvt_f16_f32_e32 v13, v13
	s_waitcnt vmcnt(0)
	v_mul_f16_e32 v15, v12, v14
	v_mul_f16_e32 v14, v7, v14
	v_fma_f16 v7, v7, v13, -v15
	v_fma_f16 v12, v12, v13, v14
	global_store_short v[8:9], v7, off
	global_store_short v[10:11], v12, off
	s_andn2_b64 exec, exec, s[12:13]
	s_cbranch_execnz .LBB64_3
.LBB64_4:
	s_or_b64 exec, exec, s[0:1]
	s_load_dwordx4 s[12:15], s[6:7], 0x68
	s_waitcnt lgkmcnt(0)
	s_ashr_i32 s37, s15, 31
	s_mov_b32 s36, s15
	s_or_b64 s[0:1], s[28:29], s[36:37]
	s_mov_b32 s0, 0
	s_cmp_lg_u64 s[0:1], 0
	s_cbranch_scc0 .LBB64_62
; %bb.5:
	s_add_u32 s0, s36, s37
	s_mov_b32 s24, s37
	s_mov_b32 s25, s37
	s_addc_u32 s1, s37, s37
	s_xor_b64 s[38:39], s[0:1], s[24:25]
	v_cvt_f32_u32_e32 v1, s38
	v_cvt_f32_u32_e32 v3, s39
	s_sub_u32 s0, 0, s38
	s_subb_u32 s1, 0, s39
	v_madmk_f32 v1, v3, 0x4f800000, v1
	v_rcp_f32_e32 v1, v1
	v_mul_f32_e32 v1, 0x5f7ffffc, v1
	v_mul_f32_e32 v3, 0x2f800000, v1
	v_trunc_f32_e32 v3, v3
	v_madmk_f32 v1, v3, 0xcf800000, v1
	v_cvt_u32_f32_e32 v3, v3
	v_cvt_u32_f32_e32 v1, v1
	v_readfirstlane_b32 s11, v3
	v_readfirstlane_b32 s15, v1
	s_mul_i32 s40, s0, s11
	s_mul_hi_u32 s42, s0, s15
	s_mul_i32 s41, s1, s15
	s_add_i32 s40, s42, s40
	s_add_i32 s40, s40, s41
	s_mul_i32 s43, s0, s15
	s_mul_hi_u32 s41, s15, s40
	s_mul_i32 s42, s15, s40
	s_mul_hi_u32 s15, s15, s43
	s_add_u32 s15, s15, s42
	s_addc_u32 s41, 0, s41
	s_mul_hi_u32 s44, s11, s43
	s_mul_i32 s43, s11, s43
	s_add_u32 s15, s15, s43
	s_mul_hi_u32 s42, s11, s40
	s_addc_u32 s15, s41, s44
	s_addc_u32 s41, s42, 0
	s_mul_i32 s40, s11, s40
	s_add_u32 s15, s15, s40
	s_addc_u32 s40, 0, s41
	v_add_co_u32_e32 v1, vcc, s15, v1
	s_cmp_lg_u64 vcc, 0
	s_addc_u32 s11, s11, s40
	v_readfirstlane_b32 s40, v1
	s_mul_i32 s15, s0, s11
	s_mul_hi_u32 s41, s0, s40
	s_add_i32 s15, s41, s15
	s_mul_i32 s1, s1, s40
	s_add_i32 s15, s15, s1
	s_mul_i32 s0, s0, s40
	s_mul_hi_u32 s41, s11, s0
	s_mul_i32 s42, s11, s0
	s_mul_i32 s44, s40, s15
	s_mul_hi_u32 s0, s40, s0
	s_mul_hi_u32 s43, s40, s15
	s_add_u32 s0, s0, s44
	s_addc_u32 s40, 0, s43
	s_add_u32 s0, s0, s42
	s_mul_hi_u32 s1, s11, s15
	s_addc_u32 s0, s40, s41
	s_addc_u32 s1, s1, 0
	s_mul_i32 s15, s11, s15
	s_add_u32 s0, s0, s15
	s_addc_u32 s1, 0, s1
	v_add_co_u32_e32 v1, vcc, s0, v1
	s_cmp_lg_u64 vcc, 0
	s_addc_u32 s11, s11, s1
	s_ashr_i32 s40, s29, 31
	s_add_u32 s0, s28, s40
	s_mov_b32 s41, s40
	s_addc_u32 s1, s29, s40
	s_xor_b64 s[42:43], s[0:1], s[40:41]
	v_readfirstlane_b32 s15, v1
	s_mul_i32 s1, s42, s11
	s_mul_hi_u32 s44, s42, s15
	s_mul_hi_u32 s0, s42, s11
	s_add_u32 s1, s44, s1
	s_addc_u32 s0, 0, s0
	s_mul_hi_u32 s45, s43, s15
	s_mul_i32 s15, s43, s15
	s_add_u32 s1, s1, s15
	s_mul_hi_u32 s44, s43, s11
	s_addc_u32 s0, s0, s45
	s_addc_u32 s1, s44, 0
	s_mul_i32 s11, s43, s11
	s_add_u32 s11, s0, s11
	s_addc_u32 s15, 0, s1
	s_mul_i32 s0, s38, s15
	s_mul_hi_u32 s1, s38, s11
	s_add_i32 s0, s1, s0
	s_mul_i32 s1, s39, s11
	s_add_i32 s44, s0, s1
	s_mul_i32 s1, s38, s11
	v_mov_b32_e32 v1, s1
	s_sub_i32 s0, s43, s44
	v_sub_co_u32_e32 v1, vcc, s42, v1
	s_cmp_lg_u64 vcc, 0
	s_subb_u32 s42, s0, s39
	v_subrev_co_u32_e64 v3, s[0:1], s38, v1
	s_cmp_lg_u64 s[0:1], 0
	s_subb_u32 s0, s42, 0
	s_cmp_ge_u32 s0, s39
	v_readfirstlane_b32 s42, v3
	s_cselect_b32 s1, -1, 0
	s_cmp_ge_u32 s42, s38
	s_cselect_b32 s42, -1, 0
	s_cmp_eq_u32 s0, s39
	s_cselect_b32 s0, s42, s1
	s_add_u32 s1, s11, 1
	s_addc_u32 s42, s15, 0
	s_add_u32 s45, s11, 2
	s_addc_u32 s46, s15, 0
	s_cmp_lg_u32 s0, 0
	s_cselect_b32 s0, s45, s1
	s_cselect_b32 s1, s46, s42
	s_cmp_lg_u64 vcc, 0
	s_subb_u32 s42, s43, s44
	s_cmp_ge_u32 s42, s39
	v_readfirstlane_b32 s44, v1
	s_cselect_b32 s43, -1, 0
	s_cmp_ge_u32 s44, s38
	s_cselect_b32 s38, -1, 0
	s_cmp_eq_u32 s42, s39
	s_cselect_b32 s38, s38, s43
	s_cmp_lg_u32 s38, 0
	s_cselect_b32 s1, s1, s15
	s_cselect_b32 s0, s0, s11
	s_xor_b64 s[24:25], s[40:41], s[24:25]
	s_xor_b64 s[0:1], s[0:1], s[24:25]
	s_sub_u32 s24, s0, s24
	s_subb_u32 s25, s1, s25
	s_cbranch_execnz .LBB64_7
.LBB64_6:
	v_cvt_f32_u32_e32 v1, s36
	s_sub_i32 s0, 0, s36
	s_mov_b32 s25, 0
	v_rcp_iflag_f32_e32 v1, v1
	v_mul_f32_e32 v1, 0x4f7ffffe, v1
	v_cvt_u32_f32_e32 v1, v1
	v_readfirstlane_b32 s1, v1
	s_mul_i32 s0, s0, s1
	s_mul_hi_u32 s0, s1, s0
	s_add_i32 s1, s1, s0
	s_mul_hi_u32 s0, s28, s1
	s_mul_i32 s11, s0, s36
	s_sub_i32 s11, s28, s11
	s_add_i32 s1, s0, 1
	s_sub_i32 s15, s11, s36
	s_cmp_ge_u32 s11, s36
	s_cselect_b32 s0, s1, s0
	s_cselect_b32 s11, s15, s11
	s_add_i32 s1, s0, 1
	s_cmp_ge_u32 s11, s36
	s_cselect_b32 s24, s1, s0
.LBB64_7:
	s_mul_i32 s0, s24, s37
	s_mul_hi_u32 s1, s24, s36
	s_load_dwordx2 s[26:27], s[6:7], 0x78
	s_add_i32 s0, s1, s0
	s_mul_i32 s1, s25, s36
	s_add_i32 s0, s0, s1
	s_mul_i32 s1, s24, s36
	s_sub_u32 s15, s28, s1
	s_subb_u32 s0, s29, s0
	v_cmp_gt_i32_e32 vcc, s10, v2
	s_mul_hi_u32 s42, s24, s12
	s_mul_i32 s43, s25, s12
	s_mul_i32 s44, s24, s12
	s_mul_hi_u32 s41, s15, s13
	s_mul_i32 s25, s0, s13
	s_mul_i32 s40, s15, s13
	s_and_saveexec_b64 s[28:29], vcc
	s_cbranch_execz .LBB64_42
; %bb.8:
	s_load_dwordx2 s[0:1], s[4:5], 0x4
	v_bfe_u32 v1, v0, 10, 10
	s_mul_i32 s4, s8, s17
	s_ashr_i32 s11, s10, 31
	s_load_dword s5, s[6:7], 0x8c
	s_waitcnt lgkmcnt(0)
	s_lshr_b32 s0, s0, 16
	s_mul_i32 s0, s0, s1
	v_mul_lo_u32 v3, s0, v2
	s_mul_hi_u32 s0, s8, s16
	v_mad_u32_u24 v1, v1, s1, v3
	s_add_i32 s1, s0, s4
	s_mul_i32 s0, s8, s16
	s_lshl_b64 s[0:1], s[0:1], 1
	s_add_u32 s45, s20, s0
	s_addc_u32 s46, s21, s1
	s_ashr_i32 s4, s12, 31
	s_mul_i32 s4, s24, s4
	s_add_i32 s4, s42, s4
	s_add_i32 s16, s4, s43
	s_ashr_i32 s4, s13, 31
	s_mul_i32 s4, s15, s4
	s_add_i32 s4, s41, s4
	s_and_b32 s48, s5, 0xffff
	s_add_i32 s17, s4, s25
	s_ashr_i32 s36, s14, 31
	s_lshl_b32 s50, s48, 1
	s_lshl_b64 s[4:5], s[10:11], 1
	s_add_u32 s34, s34, s4
	s_addc_u32 s35, s35, s5
	s_add_u32 s51, s30, s34
	s_addc_u32 s52, s31, s35
	;; [unrolled: 2-line block ×5, first 2 shown]
	s_add_u32 s0, s0, s14
	s_load_dword s47, s[26:27], 0x0
	s_addc_u32 s1, s1, s36
	s_add_u32 s0, s2, s0
	v_bfe_u32 v0, v0, 20, 10
	s_addc_u32 s1, s3, s1
	v_add_lshl_u32 v3, v1, v0, 1
	v_mov_b32_e32 v0, s1
	v_add_co_u32_e32 v6, vcc, s0, v2
	v_add_u32_e32 v5, 0x800, v3
	s_mov_b32 s49, 0
	v_mov_b32_e32 v1, 0
	v_lshlrev_b32_e32 v4, 1, v2
	v_addc_co_u32_e32 v7, vcc, 0, v0, vcc
	s_mov_b64 s[4:5], 0
	s_movk_i32 s55, 0x80
	s_mov_b64 s[16:17], 0x7f800000
	s_mov_b64 s[20:21], 0x43e00001
	s_movk_i32 s56, 0x7a
	s_mov_b64 s[30:31], 0xffffff
	s_movk_i32 s57, 0x7f
	v_mov_b32_e32 v10, 0xffffff82
	v_mov_b32_e32 v11, 0x78
	;; [unrolled: 1-line block ×3, first 2 shown]
	s_branch .LBB64_10
.LBB64_9:                               ;   in Loop: Header=BB64_10 Depth=1
	s_or_b64 exec, exec, s[0:1]
	s_add_u32 s9, s9, s50
	s_addc_u32 s33, s33, 0
	s_add_u32 s51, s51, s50
	s_addc_u32 s52, s52, 0
	s_add_u32 s53, s53, s50
	v_mov_b32_e32 v0, s11
	v_add_co_u32_e32 v14, vcc, s10, v6
	s_addc_u32 s54, s54, 0
	v_addc_co_u32_e32 v15, vcc, v7, v0, vcc
	v_add_u32_e32 v12, s48, v12
	s_add_u32 s45, s45, s50
	s_addc_u32 s46, s46, 0
	v_cmp_le_i32_e32 vcc, s10, v12
	v_mov_b32_e32 v0, s49
	s_or_b64 s[4:5], vcc, s[4:5]
	v_add_co_u32_e32 v6, vcc, s48, v6
	v_addc_co_u32_e32 v7, vcc, v7, v0, vcc
	global_store_byte v[14:15], v9, off
	s_andn2_b64 exec, exec, s[4:5]
	s_cbranch_execz .LBB64_42
.LBB64_10:                              ; =>This Inner Loop Header: Depth=1
	v_mov_b32_e32 v0, s33
	v_add_co_u32_e32 v8, vcc, s9, v4
	v_addc_co_u32_e32 v9, vcc, 0, v0, vcc
	global_load_ushort v0, v[8:9], off
	v_mov_b32_e32 v9, s52
	v_add_co_u32_e32 v8, vcc, s51, v4
	v_addc_co_u32_e32 v9, vcc, 0, v9, vcc
	global_load_ushort v13, v[8:9], off
	v_mov_b32_e32 v9, s46
	v_add_co_u32_e32 v8, vcc, s45, v4
	v_addc_co_u32_e32 v9, vcc, 0, v9, vcc
	v_mov_b32_e32 v15, s54
	v_add_co_u32_e32 v14, vcc, s53, v4
	v_addc_co_u32_e32 v15, vcc, 0, v15, vcc
	global_load_ushort v16, v[14:15], off
	global_load_ushort v18, v[8:9], off
	v_mov_b32_e32 v17, v1
	s_waitcnt vmcnt(3)
	v_lshlrev_b32_e32 v0, 16, v0
	v_cvt_f16_f32_e32 v0, v0
	s_waitcnt vmcnt(2)
	v_lshlrev_b32_e32 v13, 16, v13
	v_cvt_f16_f32_e32 v13, v13
	s_waitcnt vmcnt(1)
	v_mul_f16_e32 v19, v16, v13
	s_waitcnt vmcnt(0)
	v_mul_f16_e32 v13, v18, v13
	v_fma_f16 v18, v18, v0, -v19
	ds_write_b16 v5, v18
	v_fma_f16 v0, v16, v0, v13
	ds_read_b32 v16, v5
	ds_write_b16 v3, v0
	global_store_short v[8:9], v18, off
	global_store_short v[14:15], v0, off
	ds_read_b32 v13, v3
	s_waitcnt lgkmcnt(0)
	v_div_scale_f32 v0, s[0:1], s47, s47, v16
	v_rcp_f32_e32 v8, v0
	v_div_scale_f32 v9, vcc, v16, s47, v16
	v_fma_f32 v14, -v0, v8, 1.0
	v_fmac_f32_e32 v8, v14, v8
	v_mul_f32_e32 v14, v9, v8
	v_fma_f32 v15, -v0, v14, v9
	v_fmac_f32_e32 v14, v15, v8
	v_fma_f32 v0, -v0, v14, v9
	v_div_fmas_f32 v0, v0, v8, v14
	v_div_fixup_f32 v8, v0, s47, v16
	v_and_b32_sdwa v14, v8, s55 dst_sel:DWORD dst_unused:UNUSED_PAD src0_sel:BYTE_3 src1_sel:DWORD
	v_and_b32_e32 v16, 0x7f800000, v8
	v_and_b32_e32 v0, 0x7fffff, v8
	v_or_b32_e32 v9, 0x7e, v14
	v_cmp_ne_u64_e32 vcc, s[16:17], v[16:17]
	s_and_saveexec_b64 s[0:1], vcc
	s_xor_b64 s[34:35], exec, s[0:1]
	s_cbranch_execz .LBB64_24
; %bb.11:                               ;   in Loop: Header=BB64_10 Depth=1
	v_and_b32_e32 v16, 0x7fffffff, v8
	v_mov_b32_e32 v17, v1
	v_cmp_gt_u64_e32 vcc, s[20:21], v[16:17]
	s_and_saveexec_b64 s[0:1], vcc
	s_xor_b64 s[36:37], exec, s[0:1]
	s_cbranch_execz .LBB64_23
; %bb.12:                               ;   in Loop: Header=BB64_10 Depth=1
	v_cmp_ne_u32_e32 vcc, 0, v8
	v_mov_b32_e32 v9, 0
	s_and_saveexec_b64 s[38:39], vcc
	s_cbranch_execz .LBB64_22
; %bb.13:                               ;   in Loop: Header=BB64_10 Depth=1
	v_bfe_u32 v8, v8, 23, 8
	v_sub_u32_e32 v15, 0x79, v8
	v_cmp_gt_u32_e32 vcc, s56, v8
	v_cndmask_b32_e32 v15, 0, v15, vcc
	v_cmp_eq_u32_e32 vcc, 0, v8
	v_cndmask_b32_e32 v15, v15, v11, vcc
	v_add_u32_e32 v9, 0xffffff81, v8
	v_or_b32_e32 v16, 0x800000, v0
	v_add_u32_e32 v8, 20, v15
	v_cndmask_b32_e32 v17, v9, v10, vcc
	v_cndmask_b32_e32 v0, v16, v0, vcc
	v_lshlrev_b64 v[8:9], v8, -1
	v_not_b32_e32 v8, v8
	v_lshrrev_b64 v[20:21], v15, v[0:1]
	v_not_b32_e32 v9, v9
	v_and_b32_e32 v8, v0, v8
	v_add_u32_e32 v16, 19, v15
	v_lshrrev_b32_e32 v0, 23, v20
	v_and_b32_e32 v9, 0, v9
	v_lshlrev_b64 v[18:19], v16, 1
	v_add3_u32 v16, v15, v17, v0
	v_bfe_u32 v0, v20, 20, 1
	v_add_u32_e32 v0, -1, v0
	v_cmp_eq_u64_e32 vcc, v[8:9], v[18:19]
	v_cndmask_b32_e32 v0, 0, v0, vcc
	v_add_u32_e32 v0, v0, v20
	v_and_b32_e32 v0, 0xfffff, v0
	v_add_co_u32_e32 v8, vcc, v0, v20
	v_add_u32_e32 v15, 6, v16
	v_addc_co_u32_e32 v9, vcc, 0, v21, vcc
	v_cmp_ne_u32_e32 vcc, 0, v15
                                        ; implicit-def: $vgpr0
	s_and_saveexec_b64 s[0:1], vcc
	s_xor_b64 s[0:1], exec, s[0:1]
; %bb.14:                               ;   in Loop: Header=BB64_10 Depth=1
	v_add_u32_e32 v0, 7, v16
	v_cmp_lt_u64_e32 vcc, s[30:31], v[8:9]
	v_cndmask_b32_e32 v0, v15, v0, vcc
	v_cndmask_b32_e64 v15, 0, 1, vcc
	v_lshrrev_b64 v[8:9], v15, v[8:9]
; %bb.15:                               ;   in Loop: Header=BB64_10 Depth=1
	s_andn2_saveexec_b64 s[0:1], s[0:1]
; %bb.16:                               ;   in Loop: Header=BB64_10 Depth=1
	v_bfe_u32 v0, v8, 23, 1
; %bb.17:                               ;   in Loop: Header=BB64_10 Depth=1
	s_or_b64 exec, exec, s[0:1]
	v_lshrrev_b64 v[8:9], 20, v[8:9]
	v_cmp_gt_i32_e32 vcc, 16, v0
	v_cndmask_b32_e32 v9, 0, v9, vcc
	v_cndmask_b32_e32 v8, 7, v8, vcc
	v_cmp_ne_u32_e32 vcc, 0, v0
	v_cmp_ne_u64_e64 s[0:1], 0, v[8:9]
	s_or_b64 s[0:1], vcc, s[0:1]
                                        ; implicit-def: $vgpr9
	s_and_saveexec_b64 s[58:59], s[0:1]
	s_xor_b64 s[0:1], exec, s[58:59]
; %bb.18:                               ;   in Loop: Header=BB64_10 Depth=1
	v_min_i32_e32 v0, 15, v0
	v_lshl_or_b32 v0, v0, 3, v14
	v_and_or_b32 v9, v8, 7, v0
                                        ; implicit-def: $vgpr14
; %bb.19:                               ;   in Loop: Header=BB64_10 Depth=1
	s_andn2_saveexec_b64 s[0:1], s[0:1]
; %bb.20:                               ;   in Loop: Header=BB64_10 Depth=1
	v_mov_b32_e32 v9, v14
; %bb.21:                               ;   in Loop: Header=BB64_10 Depth=1
	s_or_b64 exec, exec, s[0:1]
.LBB64_22:                              ;   in Loop: Header=BB64_10 Depth=1
	s_or_b64 exec, exec, s[38:39]
.LBB64_23:                              ;   in Loop: Header=BB64_10 Depth=1
	s_andn2_saveexec_b64 s[0:1], s[36:37]
	s_or_b64 exec, exec, s[0:1]
                                        ; implicit-def: $vgpr8
.LBB64_24:                              ;   in Loop: Header=BB64_10 Depth=1
	s_andn2_saveexec_b64 s[0:1], s[34:35]
; %bb.25:                               ;   in Loop: Header=BB64_10 Depth=1
	v_or_b32_sdwa v8, v8, s57 dst_sel:DWORD dst_unused:UNUSED_PAD src0_sel:BYTE_3 src1_sel:DWORD
	v_cmp_eq_u64_e32 vcc, 0, v[0:1]
	v_cndmask_b32_e32 v9, v8, v9, vcc
; %bb.26:                               ;   in Loop: Header=BB64_10 Depth=1
	s_or_b64 exec, exec, s[0:1]
	v_div_scale_f32 v0, s[0:1], s47, s47, v13
	v_rcp_f32_e32 v8, v0
	global_store_byte v[6:7], v9, off
	v_fma_f32 v9, -v0, v8, 1.0
	v_fmac_f32_e32 v8, v9, v8
	v_div_scale_f32 v9, vcc, v13, s47, v13
	v_mul_f32_e32 v14, v9, v8
	v_fma_f32 v15, -v0, v14, v9
	v_fmac_f32_e32 v14, v15, v8
	v_fma_f32 v0, -v0, v14, v9
	v_div_fmas_f32 v0, v0, v8, v14
	v_div_fixup_f32 v8, v0, s47, v13
	v_and_b32_sdwa v13, v8, s55 dst_sel:DWORD dst_unused:UNUSED_PAD src0_sel:BYTE_3 src1_sel:DWORD
	v_and_b32_e32 v14, 0x7f800000, v8
	v_mov_b32_e32 v15, v1
	v_and_b32_e32 v0, 0x7fffff, v8
	v_or_b32_e32 v9, 0x7e, v13
	v_cmp_ne_u64_e32 vcc, s[16:17], v[14:15]
	s_and_saveexec_b64 s[0:1], vcc
	s_xor_b64 s[34:35], exec, s[0:1]
	s_cbranch_execz .LBB64_40
; %bb.27:                               ;   in Loop: Header=BB64_10 Depth=1
	v_and_b32_e32 v14, 0x7fffffff, v8
	v_mov_b32_e32 v15, v1
	v_cmp_gt_u64_e32 vcc, s[20:21], v[14:15]
	s_and_saveexec_b64 s[0:1], vcc
	s_xor_b64 s[36:37], exec, s[0:1]
	s_cbranch_execz .LBB64_39
; %bb.28:                               ;   in Loop: Header=BB64_10 Depth=1
	v_cmp_ne_u32_e32 vcc, 0, v8
	v_mov_b32_e32 v9, 0
	s_and_saveexec_b64 s[38:39], vcc
	s_cbranch_execz .LBB64_38
; %bb.29:                               ;   in Loop: Header=BB64_10 Depth=1
	v_bfe_u32 v8, v8, 23, 8
	v_sub_u32_e32 v14, 0x79, v8
	v_cmp_gt_u32_e32 vcc, s56, v8
	v_cndmask_b32_e32 v14, 0, v14, vcc
	v_cmp_eq_u32_e32 vcc, 0, v8
	v_cndmask_b32_e32 v14, v14, v11, vcc
	v_add_u32_e32 v9, 0xffffff81, v8
	v_or_b32_e32 v15, 0x800000, v0
	v_add_u32_e32 v8, 20, v14
	v_cndmask_b32_e32 v20, v9, v10, vcc
	v_cndmask_b32_e32 v0, v15, v0, vcc
	v_lshlrev_b64 v[8:9], v8, -1
	v_not_b32_e32 v8, v8
	v_lshrrev_b64 v[18:19], v14, v[0:1]
	v_not_b32_e32 v9, v9
	v_and_b32_e32 v8, v0, v8
	v_add_u32_e32 v15, 19, v14
	v_lshrrev_b32_e32 v0, 23, v18
	v_and_b32_e32 v9, 0, v9
	v_lshlrev_b64 v[16:17], v15, 1
	v_add3_u32 v15, v14, v20, v0
	v_bfe_u32 v0, v18, 20, 1
	v_add_u32_e32 v0, -1, v0
	v_cmp_eq_u64_e32 vcc, v[8:9], v[16:17]
	v_cndmask_b32_e32 v0, 0, v0, vcc
	v_add_u32_e32 v0, v0, v18
	v_and_b32_e32 v0, 0xfffff, v0
	v_add_co_u32_e32 v8, vcc, v0, v18
	v_add_u32_e32 v14, 6, v15
	v_addc_co_u32_e32 v9, vcc, 0, v19, vcc
	v_cmp_ne_u32_e32 vcc, 0, v14
                                        ; implicit-def: $vgpr0
	s_and_saveexec_b64 s[0:1], vcc
	s_xor_b64 s[0:1], exec, s[0:1]
; %bb.30:                               ;   in Loop: Header=BB64_10 Depth=1
	v_add_u32_e32 v0, 7, v15
	v_cmp_lt_u64_e32 vcc, s[30:31], v[8:9]
	v_cndmask_b32_e32 v0, v14, v0, vcc
	v_cndmask_b32_e64 v14, 0, 1, vcc
	v_lshrrev_b64 v[8:9], v14, v[8:9]
; %bb.31:                               ;   in Loop: Header=BB64_10 Depth=1
	s_andn2_saveexec_b64 s[0:1], s[0:1]
; %bb.32:                               ;   in Loop: Header=BB64_10 Depth=1
	v_bfe_u32 v0, v8, 23, 1
; %bb.33:                               ;   in Loop: Header=BB64_10 Depth=1
	s_or_b64 exec, exec, s[0:1]
	v_lshrrev_b64 v[8:9], 20, v[8:9]
	v_cmp_gt_i32_e32 vcc, 16, v0
	v_cndmask_b32_e32 v9, 0, v9, vcc
	v_cndmask_b32_e32 v8, 7, v8, vcc
	v_cmp_ne_u32_e32 vcc, 0, v0
	v_cmp_ne_u64_e64 s[0:1], 0, v[8:9]
	s_or_b64 s[0:1], vcc, s[0:1]
                                        ; implicit-def: $vgpr9
	s_and_saveexec_b64 s[58:59], s[0:1]
	s_xor_b64 s[0:1], exec, s[58:59]
; %bb.34:                               ;   in Loop: Header=BB64_10 Depth=1
	v_min_i32_e32 v0, 15, v0
	v_lshl_or_b32 v0, v0, 3, v13
	v_and_or_b32 v9, v8, 7, v0
                                        ; implicit-def: $vgpr13
; %bb.35:                               ;   in Loop: Header=BB64_10 Depth=1
	s_andn2_saveexec_b64 s[0:1], s[0:1]
; %bb.36:                               ;   in Loop: Header=BB64_10 Depth=1
	v_mov_b32_e32 v9, v13
; %bb.37:                               ;   in Loop: Header=BB64_10 Depth=1
	s_or_b64 exec, exec, s[0:1]
.LBB64_38:                              ;   in Loop: Header=BB64_10 Depth=1
	s_or_b64 exec, exec, s[38:39]
.LBB64_39:                              ;   in Loop: Header=BB64_10 Depth=1
	s_andn2_saveexec_b64 s[0:1], s[36:37]
	s_or_b64 exec, exec, s[0:1]
                                        ; implicit-def: $vgpr8
.LBB64_40:                              ;   in Loop: Header=BB64_10 Depth=1
	s_andn2_saveexec_b64 s[0:1], s[34:35]
	s_cbranch_execz .LBB64_9
; %bb.41:                               ;   in Loop: Header=BB64_10 Depth=1
	v_or_b32_sdwa v8, v8, s57 dst_sel:DWORD dst_unused:UNUSED_PAD src0_sel:BYTE_3 src1_sel:DWORD
	v_cmp_eq_u64_e32 vcc, 0, v[0:1]
	v_cndmask_b32_e32 v9, v8, v9, vcc
	s_branch .LBB64_9
.LBB64_42:
	s_or_b64 exec, exec, s[28:29]
	v_cmp_gt_i32_e32 vcc, s14, v2
	s_and_saveexec_b64 s[0:1], vcc
	s_cbranch_execz .LBB64_61
; %bb.43:
	s_mul_i32 s0, s8, s19
	s_mul_hi_u32 s1, s8, s18
	s_add_i32 s1, s1, s0
	s_mul_i32 s0, s8, s18
	s_lshl_b64 s[0:1], s[0:1], 1
	s_add_u32 s18, s22, s0
	s_addc_u32 s0, s23, s1
	s_ashr_i32 s1, s12, 31
	s_mul_i32 s1, s24, s1
	s_add_i32 s1, s42, s1
	s_add_i32 s1, s1, s43
	s_add_u32 s2, s2, s44
	s_addc_u32 s1, s3, s1
	s_ashr_i32 s3, s13, 31
	s_load_dword s4, s[6:7], 0x8c
	s_mul_i32 s15, s15, s3
	s_waitcnt lgkmcnt(0)
	s_load_dword s20, s[26:27], 0x0
	s_add_i32 s3, s41, s15
	s_add_i32 s3, s3, s25
	s_add_u32 s15, s2, s40
	s_addc_u32 s19, s1, s3
	s_and_b32 s21, s4, 0xffff
	s_mov_b64 s[2:3], 0
	v_mov_b32_e32 v6, s0
	v_mov_b32_e32 v1, 0
	s_movk_i32 s22, 0x80
	s_mov_b64 s[4:5], 0x7f800000
	s_mov_b64 s[6:7], 0x43e00001
	s_movk_i32 s23, 0x7a
	s_mov_b64 s[8:9], 0xffffff
	s_movk_i32 s24, 0x7f
	v_mov_b32_e32 v7, 0xffffff82
	v_mov_b32_e32 v8, 0x78
	s_branch .LBB64_45
.LBB64_44:                              ;   in Loop: Header=BB64_45 Depth=1
	s_or_b64 exec, exec, s[0:1]
	v_mov_b32_e32 v0, s19
	v_add_co_u32_e32 v10, vcc, s15, v2
	v_addc_co_u32_e32 v11, vcc, v0, v3, vcc
	v_add_u32_e32 v2, s21, v2
	v_cmp_le_i32_e32 vcc, s14, v2
	s_or_b64 s[2:3], vcc, s[2:3]
	global_store_byte v[10:11], v5, off
	s_andn2_b64 exec, exec, s[2:3]
	s_cbranch_execz .LBB64_61
.LBB64_45:                              ; =>This Inner Loop Header: Depth=1
	v_ashrrev_i32_e32 v3, 31, v2
	v_lshlrev_b64 v[4:5], 1, v[2:3]
	v_add_co_u32_e32 v4, vcc, s18, v4
	v_addc_co_u32_e32 v5, vcc, v6, v5, vcc
	global_load_dword v0, v[4:5], off
	v_mov_b32_e32 v11, v1
	s_waitcnt vmcnt(0) lgkmcnt(0)
	v_div_scale_f32 v4, s[0:1], s20, s20, v0
	v_rcp_f32_e32 v5, v4
	v_div_scale_f32 v9, vcc, v0, s20, v0
	v_fma_f32 v10, -v4, v5, 1.0
	v_fmac_f32_e32 v5, v10, v5
	v_mul_f32_e32 v10, v9, v5
	v_fma_f32 v12, -v4, v10, v9
	v_fmac_f32_e32 v10, v12, v5
	v_fma_f32 v4, -v4, v10, v9
	v_div_fmas_f32 v4, v4, v5, v10
	v_div_fixup_f32 v4, v4, s20, v0
	v_and_b32_sdwa v9, v4, s22 dst_sel:DWORD dst_unused:UNUSED_PAD src0_sel:BYTE_3 src1_sel:DWORD
	v_and_b32_e32 v10, 0x7f800000, v4
	v_and_b32_e32 v0, 0x7fffff, v4
	v_or_b32_e32 v5, 0x7e, v9
	v_cmp_ne_u64_e32 vcc, s[4:5], v[10:11]
	s_and_saveexec_b64 s[0:1], vcc
	s_xor_b64 s[10:11], exec, s[0:1]
	s_cbranch_execz .LBB64_59
; %bb.46:                               ;   in Loop: Header=BB64_45 Depth=1
	v_and_b32_e32 v10, 0x7fffffff, v4
	v_mov_b32_e32 v11, v1
	v_cmp_gt_u64_e32 vcc, s[6:7], v[10:11]
	s_and_saveexec_b64 s[0:1], vcc
	s_xor_b64 s[12:13], exec, s[0:1]
	s_cbranch_execz .LBB64_58
; %bb.47:                               ;   in Loop: Header=BB64_45 Depth=1
	v_cmp_ne_u32_e32 vcc, 0, v4
	v_mov_b32_e32 v5, 0
	s_and_saveexec_b64 s[16:17], vcc
	s_cbranch_execz .LBB64_57
; %bb.48:                               ;   in Loop: Header=BB64_45 Depth=1
	v_bfe_u32 v4, v4, 23, 8
	v_sub_u32_e32 v10, 0x79, v4
	v_cmp_gt_u32_e32 vcc, s23, v4
	v_cndmask_b32_e32 v10, 0, v10, vcc
	v_cmp_eq_u32_e32 vcc, 0, v4
	v_cndmask_b32_e32 v10, v10, v8, vcc
	v_add_u32_e32 v5, 0xffffff81, v4
	v_or_b32_e32 v11, 0x800000, v0
	v_add_u32_e32 v4, 20, v10
	v_cndmask_b32_e32 v16, v5, v7, vcc
	v_cndmask_b32_e32 v0, v11, v0, vcc
	v_lshlrev_b64 v[4:5], v4, -1
	v_not_b32_e32 v4, v4
	v_lshrrev_b64 v[14:15], v10, v[0:1]
	v_not_b32_e32 v5, v5
	v_and_b32_e32 v4, v0, v4
	v_add_u32_e32 v11, 19, v10
	v_lshrrev_b32_e32 v0, 23, v14
	v_and_b32_e32 v5, 0, v5
	v_lshlrev_b64 v[12:13], v11, 1
	v_add3_u32 v11, v10, v16, v0
	v_bfe_u32 v0, v14, 20, 1
	v_add_u32_e32 v0, -1, v0
	v_cmp_eq_u64_e32 vcc, v[4:5], v[12:13]
	v_cndmask_b32_e32 v0, 0, v0, vcc
	v_add_u32_e32 v0, v0, v14
	v_and_b32_e32 v0, 0xfffff, v0
	v_add_co_u32_e32 v4, vcc, v0, v14
	v_add_u32_e32 v10, 6, v11
	v_addc_co_u32_e32 v5, vcc, 0, v15, vcc
	v_cmp_ne_u32_e32 vcc, 0, v10
                                        ; implicit-def: $vgpr0
	s_and_saveexec_b64 s[0:1], vcc
	s_xor_b64 s[0:1], exec, s[0:1]
; %bb.49:                               ;   in Loop: Header=BB64_45 Depth=1
	v_add_u32_e32 v0, 7, v11
	v_cmp_lt_u64_e32 vcc, s[8:9], v[4:5]
	v_cndmask_b32_e32 v0, v10, v0, vcc
	v_cndmask_b32_e64 v10, 0, 1, vcc
	v_lshrrev_b64 v[4:5], v10, v[4:5]
; %bb.50:                               ;   in Loop: Header=BB64_45 Depth=1
	s_andn2_saveexec_b64 s[0:1], s[0:1]
; %bb.51:                               ;   in Loop: Header=BB64_45 Depth=1
	v_bfe_u32 v0, v4, 23, 1
; %bb.52:                               ;   in Loop: Header=BB64_45 Depth=1
	s_or_b64 exec, exec, s[0:1]
	v_lshrrev_b64 v[4:5], 20, v[4:5]
	v_cmp_gt_i32_e32 vcc, 16, v0
	v_cndmask_b32_e32 v5, 0, v5, vcc
	v_cndmask_b32_e32 v4, 7, v4, vcc
	v_cmp_ne_u32_e32 vcc, 0, v0
	v_cmp_ne_u64_e64 s[0:1], 0, v[4:5]
	s_or_b64 s[0:1], vcc, s[0:1]
                                        ; implicit-def: $vgpr5
	s_and_saveexec_b64 s[26:27], s[0:1]
	s_xor_b64 s[0:1], exec, s[26:27]
; %bb.53:                               ;   in Loop: Header=BB64_45 Depth=1
	v_min_i32_e32 v0, 15, v0
	v_lshl_or_b32 v0, v0, 3, v9
	v_and_or_b32 v5, v4, 7, v0
                                        ; implicit-def: $vgpr9
; %bb.54:                               ;   in Loop: Header=BB64_45 Depth=1
	s_andn2_saveexec_b64 s[0:1], s[0:1]
; %bb.55:                               ;   in Loop: Header=BB64_45 Depth=1
	v_mov_b32_e32 v5, v9
; %bb.56:                               ;   in Loop: Header=BB64_45 Depth=1
	s_or_b64 exec, exec, s[0:1]
.LBB64_57:                              ;   in Loop: Header=BB64_45 Depth=1
	s_or_b64 exec, exec, s[16:17]
.LBB64_58:                              ;   in Loop: Header=BB64_45 Depth=1
	s_andn2_saveexec_b64 s[0:1], s[12:13]
	s_or_b64 exec, exec, s[0:1]
                                        ; implicit-def: $vgpr4
.LBB64_59:                              ;   in Loop: Header=BB64_45 Depth=1
	s_andn2_saveexec_b64 s[0:1], s[10:11]
	s_cbranch_execz .LBB64_44
; %bb.60:                               ;   in Loop: Header=BB64_45 Depth=1
	v_or_b32_sdwa v4, v4, s24 dst_sel:DWORD dst_unused:UNUSED_PAD src0_sel:BYTE_3 src1_sel:DWORD
	v_cmp_eq_u64_e32 vcc, 0, v[0:1]
	v_cndmask_b32_e32 v5, v4, v5, vcc
	s_branch .LBB64_44
.LBB64_61:
	s_endpgm
.LBB64_62:
                                        ; implicit-def: $sgpr24_sgpr25
	s_branch .LBB64_6
	.section	.rodata,"a",@progbits
	.p2align	6, 0x0
	.amdhsa_kernel _ZN4vllm38concat_and_cache_mla_rope_fused_kernelIN3c104HalfENS1_8BFloat16ELb1EfhLNS_18Fp8KVCacheDataTypeE1EEEvPKlPT_S8_PKS7_PKT0_illlliPT3_S6_iiiiPKf
		.amdhsa_group_segment_fixed_size 4096
		.amdhsa_private_segment_fixed_size 0
		.amdhsa_kernarg_size 384
		.amdhsa_user_sgpr_count 8
		.amdhsa_user_sgpr_private_segment_buffer 1
		.amdhsa_user_sgpr_dispatch_ptr 1
		.amdhsa_user_sgpr_queue_ptr 0
		.amdhsa_user_sgpr_kernarg_segment_ptr 1
		.amdhsa_user_sgpr_dispatch_id 0
		.amdhsa_user_sgpr_flat_scratch_init 0
		.amdhsa_user_sgpr_kernarg_preload_length 0
		.amdhsa_user_sgpr_kernarg_preload_offset 0
		.amdhsa_user_sgpr_private_segment_size 0
		.amdhsa_uses_dynamic_stack 0
		.amdhsa_system_sgpr_private_segment_wavefront_offset 0
		.amdhsa_system_sgpr_workgroup_id_x 1
		.amdhsa_system_sgpr_workgroup_id_y 0
		.amdhsa_system_sgpr_workgroup_id_z 0
		.amdhsa_system_sgpr_workgroup_info 0
		.amdhsa_system_vgpr_workitem_id 2
		.amdhsa_next_free_vgpr 22
		.amdhsa_next_free_sgpr 60
		.amdhsa_accum_offset 24
		.amdhsa_reserve_vcc 1
		.amdhsa_reserve_flat_scratch 0
		.amdhsa_float_round_mode_32 0
		.amdhsa_float_round_mode_16_64 0
		.amdhsa_float_denorm_mode_32 3
		.amdhsa_float_denorm_mode_16_64 3
		.amdhsa_dx10_clamp 1
		.amdhsa_ieee_mode 1
		.amdhsa_fp16_overflow 0
		.amdhsa_tg_split 0
		.amdhsa_exception_fp_ieee_invalid_op 0
		.amdhsa_exception_fp_denorm_src 0
		.amdhsa_exception_fp_ieee_div_zero 0
		.amdhsa_exception_fp_ieee_overflow 0
		.amdhsa_exception_fp_ieee_underflow 0
		.amdhsa_exception_fp_ieee_inexact 0
		.amdhsa_exception_int_div_zero 0
	.end_amdhsa_kernel
	.section	.text._ZN4vllm38concat_and_cache_mla_rope_fused_kernelIN3c104HalfENS1_8BFloat16ELb1EfhLNS_18Fp8KVCacheDataTypeE1EEEvPKlPT_S8_PKS7_PKT0_illlliPT3_S6_iiiiPKf,"axG",@progbits,_ZN4vllm38concat_and_cache_mla_rope_fused_kernelIN3c104HalfENS1_8BFloat16ELb1EfhLNS_18Fp8KVCacheDataTypeE1EEEvPKlPT_S8_PKS7_PKT0_illlliPT3_S6_iiiiPKf,comdat
.Lfunc_end64:
	.size	_ZN4vllm38concat_and_cache_mla_rope_fused_kernelIN3c104HalfENS1_8BFloat16ELb1EfhLNS_18Fp8KVCacheDataTypeE1EEEvPKlPT_S8_PKS7_PKT0_illlliPT3_S6_iiiiPKf, .Lfunc_end64-_ZN4vllm38concat_and_cache_mla_rope_fused_kernelIN3c104HalfENS1_8BFloat16ELb1EfhLNS_18Fp8KVCacheDataTypeE1EEEvPKlPT_S8_PKS7_PKT0_illlliPT3_S6_iiiiPKf
                                        ; -- End function
	.section	.AMDGPU.csdata,"",@progbits
; Kernel info:
; codeLenInByte = 3768
; NumSgprs: 64
; NumVgprs: 22
; NumAgprs: 0
; TotalNumVgprs: 22
; ScratchSize: 0
; MemoryBound: 0
; FloatMode: 240
; IeeeMode: 1
; LDSByteSize: 4096 bytes/workgroup (compile time only)
; SGPRBlocks: 7
; VGPRBlocks: 2
; NumSGPRsForWavesPerEU: 64
; NumVGPRsForWavesPerEU: 22
; AccumOffset: 24
; Occupancy: 8
; WaveLimiterHint : 1
; COMPUTE_PGM_RSRC2:SCRATCH_EN: 0
; COMPUTE_PGM_RSRC2:USER_SGPR: 8
; COMPUTE_PGM_RSRC2:TRAP_HANDLER: 0
; COMPUTE_PGM_RSRC2:TGID_X_EN: 1
; COMPUTE_PGM_RSRC2:TGID_Y_EN: 0
; COMPUTE_PGM_RSRC2:TGID_Z_EN: 0
; COMPUTE_PGM_RSRC2:TIDIG_COMP_CNT: 2
; COMPUTE_PGM_RSRC3_GFX90A:ACCUM_OFFSET: 5
; COMPUTE_PGM_RSRC3_GFX90A:TG_SPLIT: 0
	.section	.text._ZN4vllm38concat_and_cache_mla_rope_fused_kernelIN3c104HalfENS1_8BFloat16ELb0EfhLNS_18Fp8KVCacheDataTypeE1EEEvPKlPT_S8_PKS7_PKT0_illlliPT3_S6_iiiiPKf,"axG",@progbits,_ZN4vllm38concat_and_cache_mla_rope_fused_kernelIN3c104HalfENS1_8BFloat16ELb0EfhLNS_18Fp8KVCacheDataTypeE1EEEvPKlPT_S8_PKS7_PKT0_illlliPT3_S6_iiiiPKf,comdat
	.protected	_ZN4vllm38concat_and_cache_mla_rope_fused_kernelIN3c104HalfENS1_8BFloat16ELb0EfhLNS_18Fp8KVCacheDataTypeE1EEEvPKlPT_S8_PKS7_PKT0_illlliPT3_S6_iiiiPKf ; -- Begin function _ZN4vllm38concat_and_cache_mla_rope_fused_kernelIN3c104HalfENS1_8BFloat16ELb0EfhLNS_18Fp8KVCacheDataTypeE1EEEvPKlPT_S8_PKS7_PKT0_illlliPT3_S6_iiiiPKf
	.globl	_ZN4vllm38concat_and_cache_mla_rope_fused_kernelIN3c104HalfENS1_8BFloat16ELb0EfhLNS_18Fp8KVCacheDataTypeE1EEEvPKlPT_S8_PKS7_PKT0_illlliPT3_S6_iiiiPKf
	.p2align	8
	.type	_ZN4vllm38concat_and_cache_mla_rope_fused_kernelIN3c104HalfENS1_8BFloat16ELb0EfhLNS_18Fp8KVCacheDataTypeE1EEEvPKlPT_S8_PKS7_PKT0_illlliPT3_S6_iiiiPKf,@function
_ZN4vllm38concat_and_cache_mla_rope_fused_kernelIN3c104HalfENS1_8BFloat16ELb0EfhLNS_18Fp8KVCacheDataTypeE1EEEvPKlPT_S8_PKS7_PKT0_illlliPT3_S6_iiiiPKf: ; @_ZN4vllm38concat_and_cache_mla_rope_fused_kernelIN3c104HalfENS1_8BFloat16ELb0EfhLNS_18Fp8KVCacheDataTypeE1EEEvPKlPT_S8_PKS7_PKT0_illlliPT3_S6_iiiiPKf
; %bb.0:
	s_load_dwordx2 s[2:3], s[6:7], 0x60
	s_mov_b32 s9, 0
	s_lshl_b64 s[0:1], s[8:9], 3
	s_waitcnt lgkmcnt(0)
	s_add_u32 s2, s2, s0
	s_addc_u32 s3, s3, s1
	s_load_dwordx2 s[28:29], s[2:3], 0x0
	s_waitcnt lgkmcnt(0)
	v_cmp_lt_i64_e64 s[2:3], s[28:29], 0
	s_and_b64 vcc, exec, s[2:3]
	s_cbranch_vccnz .LBB65_61
; %bb.1:
	s_load_dword s9, s[6:7], 0x28
	s_load_dwordx2 s[2:3], s[6:7], 0x0
	s_load_dwordx2 s[30:31], s[6:7], 0x20
	s_load_dwordx4 s[20:23], s[6:7], 0x10
	v_and_b32_e32 v2, 0x3ff, v0
	s_waitcnt lgkmcnt(0)
	s_ashr_i32 s24, s9, 31
	s_add_u32 s0, s2, s0
	s_addc_u32 s1, s3, s1
	s_load_dwordx2 s[10:11], s[0:1], 0x0
	s_load_dwordx8 s[12:19], s[6:7], 0x30
	s_load_dwordx2 s[2:3], s[6:7], 0x58
	s_load_dword s25, s[6:7], 0x50
	v_lshlrev_b32_e32 v1, 1, v2
	s_waitcnt lgkmcnt(0)
	s_mul_i32 s0, s10, s24
	s_mul_hi_u32 s1, s10, s9
	s_add_i32 s0, s1, s0
	s_mul_i32 s1, s11, s9
	s_add_i32 s35, s0, s1
	s_lshr_b32 s0, s9, 31
	s_mul_i32 s34, s10, s9
	s_add_i32 s9, s9, s0
	s_ashr_i32 s10, s9, 1
	s_mul_i32 s9, s10, s25
	v_cmp_gt_i32_e32 vcc, s9, v2
	s_and_saveexec_b64 s[0:1], vcc
	s_cbranch_execz .LBB65_4
; %bb.2:
	s_lshl_b64 s[24:25], s[34:35], 1
	s_add_u32 s26, s30, s24
	s_addc_u32 s40, s31, s25
	s_load_dwordx2 s[24:25], s[6:7], 0x8
	s_load_dword s36, s[6:7], 0x8c
	s_mul_i32 s13, s8, s13
	s_mul_hi_u32 s27, s8, s12
	s_add_i32 s13, s27, s13
	s_mul_i32 s12, s8, s12
	s_ashr_i32 s11, s10, 31
	s_lshl_b64 s[12:13], s[12:13], 1
	s_waitcnt lgkmcnt(0)
	s_add_u32 s27, s24, s12
	s_addc_u32 s41, s25, s13
	s_abs_i32 s33, s10
	v_cvt_f32_u32_e32 v3, s33
	s_sub_i32 s12, 0, s33
	s_and_b32 s36, s36, 0xffff
	s_lshl_b64 s[24:25], s[10:11], 1
	v_rcp_iflag_f32_e32 v3, v3
	s_sub_i32 s37, 0, s10
	s_lshl_b32 s39, s36, 1
	v_mov_b32_e32 v5, s40
	v_mul_f32_e32 v3, 0x4f7ffffe, v3
	v_cvt_u32_f32_e32 v3, v3
	v_mov_b32_e32 v7, s25
	v_mov_b32_e32 v8, s41
	;; [unrolled: 1-line block ×3, first 2 shown]
	v_mul_lo_u32 v4, s12, v3
	v_mul_hi_u32 v4, v3, v4
	s_lshl_b32 s12, s10, 1
	v_add_u32_e32 v3, v3, v4
	s_sub_i32 s38, 0, s12
	s_mov_b64 s[12:13], 0
	v_mov_b32_e32 v4, v1
.LBB65_3:                               ; =>This Inner Loop Header: Depth=1
	v_sub_u32_e32 v10, 0, v6
	v_max_i32_e32 v10, v6, v10
	v_mul_hi_u32 v11, v10, v3
	v_mul_lo_u32 v12, v11, s33
	v_sub_u32_e32 v10, v10, v12
	v_add_u32_e32 v13, 1, v11
	v_cmp_le_u32_e32 vcc, s33, v10
	v_subrev_u32_e32 v12, s33, v10
	v_cndmask_b32_e32 v11, v11, v13, vcc
	v_cndmask_b32_e32 v10, v10, v12, vcc
	v_ashrrev_i32_e32 v9, 31, v6
	v_add_u32_e32 v12, 1, v11
	v_cmp_le_u32_e32 vcc, s33, v10
	v_xor_b32_e32 v9, s11, v9
	v_cndmask_b32_e32 v10, v11, v12, vcc
	v_xor_b32_e32 v10, v10, v9
	v_sub_u32_e32 v9, v10, v9
	v_mad_u64_u32 v[10:11], s[40:41], s37, v9, v[6:7]
	v_ashrrev_i32_e32 v11, 31, v10
	v_lshlrev_b64 v[10:11], 1, v[10:11]
	v_ashrrev_i32_e32 v16, 31, v9
	v_add_co_u32_e32 v10, vcc, s26, v10
	v_mul_lo_u32 v17, v9, s15
	v_mad_u64_u32 v[12:13], s[40:41], v9, s14, 0
	v_mad_u64_u32 v[14:15], s[40:41], s38, v9, v[4:5]
	v_mul_lo_u32 v9, v16, s14
	v_addc_co_u32_e32 v11, vcc, v5, v11, vcc
	v_add3_u32 v13, v13, v17, v9
	v_add_co_u32_e32 v16, vcc, s24, v10
	v_lshlrev_b64 v[12:13], 1, v[12:13]
	v_addc_co_u32_e32 v17, vcc, v11, v7, vcc
	v_add_co_u32_e32 v9, vcc, s27, v12
	v_ashrrev_i32_e32 v15, 31, v14
	v_addc_co_u32_e32 v12, vcc, v8, v13, vcc
	global_load_ushort v13, v[10:11], off
	global_load_ushort v18, v[16:17], off
	v_lshlrev_b64 v[14:15], 1, v[14:15]
	v_add_co_u32_e32 v10, vcc, v9, v14
	v_addc_co_u32_e32 v11, vcc, v12, v15, vcc
	global_load_dword v9, v[10:11], off
	v_add_u32_e32 v6, s36, v6
	v_cmp_le_i32_e32 vcc, s9, v6
	v_add_u32_e32 v4, s39, v4
	s_or_b64 s[12:13], vcc, s[12:13]
	s_waitcnt vmcnt(2)
	v_lshlrev_b32_e32 v12, 16, v13
	s_waitcnt vmcnt(1)
	v_lshlrev_b32_e32 v13, 16, v18
	v_cvt_f16_f32_e32 v13, v13
	v_cvt_f16_f32_e32 v12, v12
	s_waitcnt vmcnt(0)
	v_lshrrev_b32_e32 v14, 16, v9
	v_mul_f16_e32 v15, v14, v13
	v_mul_f16_e32 v13, v9, v13
	v_fma_f16 v9, v9, v12, -v15
	v_fma_f16 v12, v14, v12, v13
	v_pack_b32_f16 v9, v9, v12
	global_store_dword v[10:11], v9, off
	s_andn2_b64 exec, exec, s[12:13]
	s_cbranch_execnz .LBB65_3
.LBB65_4:
	s_or_b64 exec, exec, s[0:1]
	s_load_dwordx4 s[12:15], s[6:7], 0x68
	s_waitcnt lgkmcnt(0)
	s_ashr_i32 s37, s15, 31
	s_mov_b32 s36, s15
	s_or_b64 s[0:1], s[28:29], s[36:37]
	s_mov_b32 s0, 0
	s_cmp_lg_u64 s[0:1], 0
	s_cbranch_scc0 .LBB65_62
; %bb.5:
	s_add_u32 s0, s36, s37
	s_mov_b32 s24, s37
	s_mov_b32 s25, s37
	s_addc_u32 s1, s37, s37
	s_xor_b64 s[38:39], s[0:1], s[24:25]
	v_cvt_f32_u32_e32 v3, s38
	v_cvt_f32_u32_e32 v4, s39
	s_sub_u32 s0, 0, s38
	s_subb_u32 s1, 0, s39
	v_madmk_f32 v3, v4, 0x4f800000, v3
	v_rcp_f32_e32 v3, v3
	v_mul_f32_e32 v3, 0x5f7ffffc, v3
	v_mul_f32_e32 v4, 0x2f800000, v3
	v_trunc_f32_e32 v4, v4
	v_madmk_f32 v3, v4, 0xcf800000, v3
	v_cvt_u32_f32_e32 v4, v4
	v_cvt_u32_f32_e32 v3, v3
	v_readfirstlane_b32 s9, v4
	v_readfirstlane_b32 s11, v3
	s_mul_i32 s15, s0, s9
	s_mul_hi_u32 s40, s0, s11
	s_mul_i32 s33, s1, s11
	s_add_i32 s15, s40, s15
	s_add_i32 s15, s15, s33
	s_mul_i32 s41, s0, s11
	s_mul_hi_u32 s33, s11, s15
	s_mul_i32 s40, s11, s15
	s_mul_hi_u32 s11, s11, s41
	s_add_u32 s11, s11, s40
	s_addc_u32 s33, 0, s33
	s_mul_hi_u32 s42, s9, s41
	s_mul_i32 s41, s9, s41
	s_add_u32 s11, s11, s41
	s_mul_hi_u32 s40, s9, s15
	s_addc_u32 s11, s33, s42
	s_addc_u32 s33, s40, 0
	s_mul_i32 s15, s9, s15
	s_add_u32 s11, s11, s15
	s_addc_u32 s15, 0, s33
	v_add_co_u32_e32 v3, vcc, s11, v3
	s_cmp_lg_u64 vcc, 0
	s_addc_u32 s9, s9, s15
	v_readfirstlane_b32 s15, v3
	s_mul_i32 s11, s0, s9
	s_mul_hi_u32 s33, s0, s15
	s_add_i32 s11, s33, s11
	s_mul_i32 s1, s1, s15
	s_add_i32 s11, s11, s1
	s_mul_i32 s0, s0, s15
	s_mul_hi_u32 s33, s9, s0
	s_mul_i32 s40, s9, s0
	s_mul_i32 s42, s15, s11
	s_mul_hi_u32 s0, s15, s0
	s_mul_hi_u32 s41, s15, s11
	s_add_u32 s0, s0, s42
	s_addc_u32 s15, 0, s41
	s_add_u32 s0, s0, s40
	s_mul_hi_u32 s1, s9, s11
	s_addc_u32 s0, s15, s33
	s_addc_u32 s1, s1, 0
	s_mul_i32 s11, s9, s11
	s_add_u32 s0, s0, s11
	s_addc_u32 s1, 0, s1
	v_add_co_u32_e32 v3, vcc, s0, v3
	s_cmp_lg_u64 vcc, 0
	s_addc_u32 s9, s9, s1
	s_ashr_i32 s40, s29, 31
	s_add_u32 s0, s28, s40
	s_mov_b32 s41, s40
	s_addc_u32 s1, s29, s40
	s_xor_b64 s[42:43], s[0:1], s[40:41]
	v_readfirstlane_b32 s11, v3
	s_mul_i32 s1, s42, s9
	s_mul_hi_u32 s15, s42, s11
	s_mul_hi_u32 s0, s42, s9
	s_add_u32 s1, s15, s1
	s_addc_u32 s0, 0, s0
	s_mul_hi_u32 s33, s43, s11
	s_mul_i32 s11, s43, s11
	s_add_u32 s1, s1, s11
	s_mul_hi_u32 s15, s43, s9
	s_addc_u32 s0, s0, s33
	s_addc_u32 s1, s15, 0
	s_mul_i32 s9, s43, s9
	s_add_u32 s9, s0, s9
	s_addc_u32 s11, 0, s1
	s_mul_i32 s0, s38, s11
	s_mul_hi_u32 s1, s38, s9
	s_add_i32 s0, s1, s0
	s_mul_i32 s1, s39, s9
	s_add_i32 s15, s0, s1
	s_mul_i32 s1, s38, s9
	v_mov_b32_e32 v3, s1
	s_sub_i32 s0, s43, s15
	v_sub_co_u32_e32 v3, vcc, s42, v3
	s_cmp_lg_u64 vcc, 0
	s_subb_u32 s33, s0, s39
	v_subrev_co_u32_e64 v4, s[0:1], s38, v3
	s_cmp_lg_u64 s[0:1], 0
	s_subb_u32 s0, s33, 0
	s_cmp_ge_u32 s0, s39
	v_readfirstlane_b32 s33, v4
	s_cselect_b32 s1, -1, 0
	s_cmp_ge_u32 s33, s38
	s_cselect_b32 s33, -1, 0
	s_cmp_eq_u32 s0, s39
	s_cselect_b32 s0, s33, s1
	s_add_u32 s1, s9, 1
	s_addc_u32 s33, s11, 0
	s_add_u32 s42, s9, 2
	s_addc_u32 s44, s11, 0
	s_cmp_lg_u32 s0, 0
	s_cselect_b32 s0, s42, s1
	s_cselect_b32 s1, s44, s33
	s_cmp_lg_u64 vcc, 0
	s_subb_u32 s15, s43, s15
	s_cmp_ge_u32 s15, s39
	v_readfirstlane_b32 s42, v3
	s_cselect_b32 s33, -1, 0
	s_cmp_ge_u32 s42, s38
	s_cselect_b32 s38, -1, 0
	s_cmp_eq_u32 s15, s39
	s_cselect_b32 s15, s38, s33
	s_cmp_lg_u32 s15, 0
	s_cselect_b32 s1, s1, s11
	s_cselect_b32 s0, s0, s9
	s_xor_b64 s[24:25], s[40:41], s[24:25]
	s_xor_b64 s[0:1], s[0:1], s[24:25]
	s_sub_u32 s24, s0, s24
	s_subb_u32 s25, s1, s25
	s_cbranch_execnz .LBB65_7
.LBB65_6:
	v_cvt_f32_u32_e32 v3, s36
	s_sub_i32 s0, 0, s36
	s_mov_b32 s25, 0
	v_rcp_iflag_f32_e32 v3, v3
	v_mul_f32_e32 v3, 0x4f7ffffe, v3
	v_cvt_u32_f32_e32 v3, v3
	v_readfirstlane_b32 s1, v3
	s_mul_i32 s0, s0, s1
	s_mul_hi_u32 s0, s1, s0
	s_add_i32 s1, s1, s0
	s_mul_hi_u32 s0, s28, s1
	s_mul_i32 s9, s0, s36
	s_sub_i32 s9, s28, s9
	s_add_i32 s1, s0, 1
	s_sub_i32 s11, s9, s36
	s_cmp_ge_u32 s9, s36
	s_cselect_b32 s0, s1, s0
	s_cselect_b32 s9, s11, s9
	s_add_i32 s1, s0, 1
	s_cmp_ge_u32 s9, s36
	s_cselect_b32 s24, s1, s0
.LBB65_7:
	s_mul_i32 s0, s24, s37
	s_mul_hi_u32 s1, s24, s36
	s_load_dwordx2 s[26:27], s[6:7], 0x78
	s_add_i32 s0, s1, s0
	s_mul_i32 s1, s25, s36
	s_add_i32 s0, s0, s1
	s_mul_i32 s1, s24, s36
	s_sub_u32 s9, s28, s1
	s_subb_u32 s15, s29, s0
	v_cmp_gt_i32_e32 vcc, s10, v2
	s_mul_hi_u32 s42, s24, s12
	s_mul_i32 s43, s25, s12
	s_mul_i32 s44, s24, s12
	s_mul_hi_u32 s33, s9, s13
	s_mul_i32 s15, s15, s13
	s_mul_i32 s25, s9, s13
	s_and_saveexec_b64 s[28:29], vcc
	s_cbranch_execz .LBB65_42
; %bb.8:
	s_load_dwordx2 s[0:1], s[4:5], 0x4
	v_bfe_u32 v3, v0, 10, 10
	s_ashr_i32 s4, s12, 31
	s_ashr_i32 s11, s10, 31
	;; [unrolled: 1-line block ×3, first 2 shown]
	s_waitcnt lgkmcnt(0)
	s_lshr_b32 s0, s0, 16
	s_mul_i32 s0, s0, s1
	v_mul_lo_u32 v4, s0, v2
	v_mad_u32_u24 v3, v3, s1, v4
	s_mul_i32 s0, s24, s4
	s_load_dword s1, s[6:7], 0x8c
	s_add_i32 s0, s42, s0
	s_add_i32 s4, s0, s43
	s_ashr_i32 s0, s13, 31
	s_mul_i32 s0, s9, s0
	s_add_i32 s0, s33, s0
	s_add_i32 s5, s0, s15
	s_waitcnt lgkmcnt(0)
	s_and_b32 s46, s1, 0xffff
	s_lshl_b64 s[0:1], s[34:35], 1
	s_add_u32 s0, s30, s0
	v_bfe_u32 v0, v0, 20, 10
	s_addc_u32 s1, s31, s1
	v_add_lshl_u32 v3, v3, v0, 1
	v_mov_b32_e32 v0, s1
	v_add_co_u32_e32 v11, vcc, s0, v1
	v_addc_co_u32_e32 v12, vcc, 0, v0, vcc
	s_lshl_b32 s48, s46, 1
	s_lshl_b64 s[0:1], s[10:11], 1
	v_add_co_u32_e32 v13, vcc, s0, v11
	s_add_u32 s0, s44, s25
	v_mov_b32_e32 v0, s1
	s_addc_u32 s1, s4, s5
	s_add_u32 s4, s2, s14
	s_addc_u32 s5, s3, s36
	s_add_u32 s0, s4, s0
	v_addc_co_u32_e32 v14, vcc, v12, v0, vcc
	s_addc_u32 s1, s5, s1
	v_mov_b32_e32 v0, s1
	v_add_co_u32_e32 v1, vcc, s0, v1
	s_mul_i32 s0, s17, s8
	s_mul_hi_u32 s1, s16, s8
	s_add_i32 s1, s1, s0
	s_mul_i32 s0, s16, s8
	v_addc_co_u32_e32 v0, vcc, 0, v0, vcc
	s_lshl_b64 s[0:1], s[0:1], 1
	v_add_co_u32_e32 v15, vcc, 1, v1
	s_add_u32 s0, s20, s0
	s_load_dword s45, s[26:27], 0x0
	v_addc_co_u32_e32 v16, vcc, 0, v0, vcc
	v_lshlrev_b32_e32 v0, 2, v2
	s_addc_u32 s1, s21, s1
	v_mov_b32_e32 v1, s1
	v_add_co_u32_e32 v0, vcc, s0, v0
	v_addc_co_u32_e32 v1, vcc, 0, v1, vcc
	v_add_co_u32_e32 v0, vcc, 2, v0
	v_add_u32_e32 v10, 0x800, v3
	s_mov_b32 s47, 0
	v_addc_co_u32_e32 v1, vcc, 0, v1, vcc
	s_lshl_b32 s11, s46, 2
	s_mov_b64 s[4:5], 0
	v_mov_b32_e32 v5, 0
	s_movk_i32 s49, 0x80
	s_mov_b64 s[16:17], 0x7f800000
	s_mov_b64 s[20:21], 0x43e00001
	s_movk_i32 s50, 0x7a
	s_mov_b64 s[30:31], 0xffffff
	s_movk_i32 s51, 0x7f
	v_mov_b32_e32 v17, 0xffffff82
	v_mov_b32_e32 v18, 0x78
	s_mov_b64 s[34:35], 0
	v_mov_b32_e32 v19, v2
	s_branch .LBB65_10
.LBB65_9:                               ;   in Loop: Header=BB65_10 Depth=1
	s_or_b64 exec, exec, s[0:1]
	v_add_u32_e32 v19, s46, v19
	s_add_u32 s34, s34, s48
	s_addc_u32 s35, s35, 0
	v_cmp_le_i32_e32 vcc, s10, v19
	v_mov_b32_e32 v4, s47
	s_or_b64 s[4:5], vcc, s[4:5]
	v_add_co_u32_e32 v0, vcc, s11, v0
	v_addc_co_u32_e32 v1, vcc, v1, v4, vcc
	global_store_byte v[6:7], v9, off
	s_andn2_b64 exec, exec, s[4:5]
	s_cbranch_execz .LBB65_42
.LBB65_10:                              ; =>This Inner Loop Header: Depth=1
	v_mov_b32_e32 v4, s35
	v_add_co_u32_e32 v6, vcc, s34, v13
	v_addc_co_u32_e32 v7, vcc, v14, v4, vcc
	global_load_ushort v8, v[6:7], off
	v_add_co_u32_e32 v6, vcc, s34, v11
	v_addc_co_u32_e32 v7, vcc, v12, v4, vcc
	global_load_ushort v4, v[6:7], off
	global_load_dword v9, v[0:1], off offset:-2
	v_mov_b32_e32 v23, v5
	s_waitcnt vmcnt(2)
	v_lshlrev_b32_e32 v6, 16, v8
	v_cvt_f16_f32_e32 v6, v6
	s_waitcnt vmcnt(1)
	v_lshlrev_b32_e32 v4, 16, v4
	v_cvt_f16_f32_e32 v4, v4
	s_waitcnt vmcnt(0)
	v_lshrrev_b32_e32 v7, 16, v9
	v_mul_f16_e32 v8, v7, v6
	v_mul_f16_e32 v6, v9, v6
	v_fma_f16 v8, v9, v4, -v8
	ds_write_b16 v10, v8
	v_fma_f16 v4, v7, v4, v6
	ds_read_b32 v6, v10
	ds_write_b16 v3, v4
	v_pack_b32_f16 v4, v8, v4
	global_store_dword v[0:1], v4, off offset:-2
	ds_read_b32 v8, v3
	s_waitcnt lgkmcnt(0)
	v_div_scale_f32 v4, s[0:1], s45, s45, v6
	v_rcp_f32_e32 v7, v4
	v_div_scale_f32 v9, vcc, v6, s45, v6
	v_fma_f32 v20, -v4, v7, 1.0
	v_fmac_f32_e32 v7, v20, v7
	v_mul_f32_e32 v20, v9, v7
	v_fma_f32 v21, -v4, v20, v9
	v_fmac_f32_e32 v20, v21, v7
	v_fma_f32 v4, -v4, v20, v9
	v_div_fmas_f32 v4, v4, v7, v20
	v_div_fixup_f32 v6, v4, s45, v6
	v_and_b32_sdwa v9, v6, s49 dst_sel:DWORD dst_unused:UNUSED_PAD src0_sel:BYTE_3 src1_sel:DWORD
	v_and_b32_e32 v22, 0x7f800000, v6
	v_and_b32_e32 v4, 0x7fffff, v6
	v_or_b32_e32 v20, 0x7e, v9
	v_cmp_ne_u64_e32 vcc, s[16:17], v[22:23]
	s_and_saveexec_b64 s[0:1], vcc
	s_xor_b64 s[36:37], exec, s[0:1]
	s_cbranch_execz .LBB65_24
; %bb.11:                               ;   in Loop: Header=BB65_10 Depth=1
	v_and_b32_e32 v22, 0x7fffffff, v6
	v_mov_b32_e32 v23, v5
	v_cmp_gt_u64_e32 vcc, s[20:21], v[22:23]
	s_and_saveexec_b64 s[0:1], vcc
	s_xor_b64 s[38:39], exec, s[0:1]
	s_cbranch_execz .LBB65_23
; %bb.12:                               ;   in Loop: Header=BB65_10 Depth=1
	v_cmp_ne_u32_e32 vcc, 0, v6
	v_mov_b32_e32 v20, 0
	s_and_saveexec_b64 s[40:41], vcc
	s_cbranch_execz .LBB65_22
; %bb.13:                               ;   in Loop: Header=BB65_10 Depth=1
	v_bfe_u32 v6, v6, 23, 8
	v_sub_u32_e32 v20, 0x79, v6
	v_cmp_gt_u32_e32 vcc, s50, v6
	v_cndmask_b32_e32 v20, 0, v20, vcc
	v_cmp_eq_u32_e32 vcc, 0, v6
	v_cndmask_b32_e32 v20, v20, v18, vcc
	v_add_u32_e32 v7, 0xffffff81, v6
	v_or_b32_e32 v21, 0x800000, v4
	v_add_u32_e32 v6, 20, v20
	v_cndmask_b32_e32 v26, v7, v17, vcc
	v_cndmask_b32_e32 v4, v21, v4, vcc
	v_lshlrev_b64 v[6:7], v6, -1
	v_not_b32_e32 v6, v6
	v_lshrrev_b64 v[24:25], v20, v[4:5]
	v_not_b32_e32 v7, v7
	v_and_b32_e32 v6, v4, v6
	v_add_u32_e32 v21, 19, v20
	v_lshrrev_b32_e32 v4, 23, v24
	v_and_b32_e32 v7, 0, v7
	v_lshlrev_b64 v[22:23], v21, 1
	v_add3_u32 v21, v20, v26, v4
	v_bfe_u32 v4, v24, 20, 1
	v_add_u32_e32 v4, -1, v4
	v_cmp_eq_u64_e32 vcc, v[6:7], v[22:23]
	v_cndmask_b32_e32 v4, 0, v4, vcc
	v_add_u32_e32 v4, v4, v24
	v_and_b32_e32 v4, 0xfffff, v4
	v_add_co_u32_e32 v6, vcc, v4, v24
	v_add_u32_e32 v20, 6, v21
	v_addc_co_u32_e32 v7, vcc, 0, v25, vcc
	v_cmp_ne_u32_e32 vcc, 0, v20
                                        ; implicit-def: $vgpr4
	s_and_saveexec_b64 s[0:1], vcc
	s_xor_b64 s[0:1], exec, s[0:1]
; %bb.14:                               ;   in Loop: Header=BB65_10 Depth=1
	v_add_u32_e32 v4, 7, v21
	v_cmp_lt_u64_e32 vcc, s[30:31], v[6:7]
	v_cndmask_b32_e32 v4, v20, v4, vcc
	v_cndmask_b32_e64 v20, 0, 1, vcc
	v_lshrrev_b64 v[6:7], v20, v[6:7]
; %bb.15:                               ;   in Loop: Header=BB65_10 Depth=1
	s_andn2_saveexec_b64 s[0:1], s[0:1]
; %bb.16:                               ;   in Loop: Header=BB65_10 Depth=1
	v_bfe_u32 v4, v6, 23, 1
; %bb.17:                               ;   in Loop: Header=BB65_10 Depth=1
	s_or_b64 exec, exec, s[0:1]
	v_lshrrev_b64 v[6:7], 20, v[6:7]
	v_cmp_gt_i32_e32 vcc, 16, v4
	v_cndmask_b32_e32 v7, 0, v7, vcc
	v_cndmask_b32_e32 v6, 7, v6, vcc
	v_cmp_ne_u32_e32 vcc, 0, v4
	v_cmp_ne_u64_e64 s[0:1], 0, v[6:7]
	s_or_b64 s[0:1], vcc, s[0:1]
                                        ; implicit-def: $vgpr20
	s_and_saveexec_b64 s[52:53], s[0:1]
	s_xor_b64 s[0:1], exec, s[52:53]
; %bb.18:                               ;   in Loop: Header=BB65_10 Depth=1
	v_min_i32_e32 v4, 15, v4
	v_lshl_or_b32 v4, v4, 3, v9
	v_and_or_b32 v20, v6, 7, v4
                                        ; implicit-def: $vgpr9
; %bb.19:                               ;   in Loop: Header=BB65_10 Depth=1
	s_andn2_saveexec_b64 s[0:1], s[0:1]
; %bb.20:                               ;   in Loop: Header=BB65_10 Depth=1
	v_mov_b32_e32 v20, v9
; %bb.21:                               ;   in Loop: Header=BB65_10 Depth=1
	s_or_b64 exec, exec, s[0:1]
.LBB65_22:                              ;   in Loop: Header=BB65_10 Depth=1
	s_or_b64 exec, exec, s[40:41]
.LBB65_23:                              ;   in Loop: Header=BB65_10 Depth=1
	s_andn2_saveexec_b64 s[0:1], s[38:39]
	s_or_b64 exec, exec, s[0:1]
                                        ; implicit-def: $vgpr6
.LBB65_24:                              ;   in Loop: Header=BB65_10 Depth=1
	s_andn2_saveexec_b64 s[0:1], s[36:37]
; %bb.25:                               ;   in Loop: Header=BB65_10 Depth=1
	v_or_b32_sdwa v6, v6, s51 dst_sel:DWORD dst_unused:UNUSED_PAD src0_sel:BYTE_3 src1_sel:DWORD
	v_cmp_eq_u64_e32 vcc, 0, v[4:5]
	v_cndmask_b32_e32 v20, v6, v20, vcc
; %bb.26:                               ;   in Loop: Header=BB65_10 Depth=1
	s_or_b64 exec, exec, s[0:1]
	v_div_scale_f32 v9, s[0:1], s45, s45, v8
	v_rcp_f32_e32 v21, v9
	v_mov_b32_e32 v4, s35
	v_add_co_u32_e32 v6, vcc, s34, v15
	v_addc_co_u32_e32 v7, vcc, v16, v4, vcc
	v_fma_f32 v4, -v9, v21, 1.0
	v_fmac_f32_e32 v21, v4, v21
	v_div_scale_f32 v4, vcc, v8, s45, v8
	global_store_byte v[6:7], v20, off offset:-1
	v_mul_f32_e32 v20, v4, v21
	v_fma_f32 v22, -v9, v20, v4
	v_fmac_f32_e32 v20, v22, v21
	v_fma_f32 v4, -v9, v20, v4
	v_div_fmas_f32 v4, v4, v21, v20
	v_div_fixup_f32 v8, v4, s45, v8
	v_and_b32_sdwa v20, v8, s49 dst_sel:DWORD dst_unused:UNUSED_PAD src0_sel:BYTE_3 src1_sel:DWORD
	v_and_b32_e32 v22, 0x7f800000, v8
	v_mov_b32_e32 v23, v5
	v_and_b32_e32 v4, 0x7fffff, v8
	v_or_b32_e32 v9, 0x7e, v20
	v_cmp_ne_u64_e32 vcc, s[16:17], v[22:23]
	s_and_saveexec_b64 s[0:1], vcc
	s_xor_b64 s[36:37], exec, s[0:1]
	s_cbranch_execz .LBB65_40
; %bb.27:                               ;   in Loop: Header=BB65_10 Depth=1
	v_and_b32_e32 v22, 0x7fffffff, v8
	v_mov_b32_e32 v23, v5
	v_cmp_gt_u64_e32 vcc, s[20:21], v[22:23]
	s_and_saveexec_b64 s[0:1], vcc
	s_xor_b64 s[38:39], exec, s[0:1]
	s_cbranch_execz .LBB65_39
; %bb.28:                               ;   in Loop: Header=BB65_10 Depth=1
	v_cmp_ne_u32_e32 vcc, 0, v8
	v_mov_b32_e32 v9, 0
	s_and_saveexec_b64 s[40:41], vcc
	s_cbranch_execz .LBB65_38
; %bb.29:                               ;   in Loop: Header=BB65_10 Depth=1
	v_bfe_u32 v8, v8, 23, 8
	v_sub_u32_e32 v21, 0x79, v8
	v_cmp_gt_u32_e32 vcc, s50, v8
	v_cndmask_b32_e32 v21, 0, v21, vcc
	v_cmp_eq_u32_e32 vcc, 0, v8
	v_cndmask_b32_e32 v21, v21, v18, vcc
	v_add_u32_e32 v9, 0xffffff81, v8
	v_or_b32_e32 v22, 0x800000, v4
	v_add_u32_e32 v8, 20, v21
	v_cndmask_b32_e32 v23, v9, v17, vcc
	v_cndmask_b32_e32 v4, v22, v4, vcc
	v_lshlrev_b64 v[8:9], v8, -1
	v_not_b32_e32 v8, v8
	v_lshrrev_b64 v[26:27], v21, v[4:5]
	v_not_b32_e32 v9, v9
	v_and_b32_e32 v8, v4, v8
	v_add_u32_e32 v22, 19, v21
	v_lshrrev_b32_e32 v4, 23, v26
	v_and_b32_e32 v9, 0, v9
	v_lshlrev_b64 v[24:25], v22, 1
	v_add3_u32 v22, v21, v23, v4
	v_bfe_u32 v4, v26, 20, 1
	v_add_u32_e32 v4, -1, v4
	v_cmp_eq_u64_e32 vcc, v[8:9], v[24:25]
	v_cndmask_b32_e32 v4, 0, v4, vcc
	v_add_u32_e32 v4, v4, v26
	v_and_b32_e32 v4, 0xfffff, v4
	v_add_co_u32_e32 v8, vcc, v4, v26
	v_add_u32_e32 v21, 6, v22
	v_addc_co_u32_e32 v9, vcc, 0, v27, vcc
	v_cmp_ne_u32_e32 vcc, 0, v21
                                        ; implicit-def: $vgpr4
	s_and_saveexec_b64 s[0:1], vcc
	s_xor_b64 s[0:1], exec, s[0:1]
; %bb.30:                               ;   in Loop: Header=BB65_10 Depth=1
	v_add_u32_e32 v4, 7, v22
	v_cmp_lt_u64_e32 vcc, s[30:31], v[8:9]
	v_cndmask_b32_e32 v4, v21, v4, vcc
	v_cndmask_b32_e64 v21, 0, 1, vcc
	v_lshrrev_b64 v[8:9], v21, v[8:9]
; %bb.31:                               ;   in Loop: Header=BB65_10 Depth=1
	s_andn2_saveexec_b64 s[0:1], s[0:1]
; %bb.32:                               ;   in Loop: Header=BB65_10 Depth=1
	v_bfe_u32 v4, v8, 23, 1
; %bb.33:                               ;   in Loop: Header=BB65_10 Depth=1
	s_or_b64 exec, exec, s[0:1]
	v_lshrrev_b64 v[8:9], 20, v[8:9]
	v_cmp_gt_i32_e32 vcc, 16, v4
	v_cndmask_b32_e32 v9, 0, v9, vcc
	v_cndmask_b32_e32 v8, 7, v8, vcc
	v_cmp_ne_u32_e32 vcc, 0, v4
	v_cmp_ne_u64_e64 s[0:1], 0, v[8:9]
	s_or_b64 s[0:1], vcc, s[0:1]
                                        ; implicit-def: $vgpr9
	s_and_saveexec_b64 s[52:53], s[0:1]
	s_xor_b64 s[0:1], exec, s[52:53]
; %bb.34:                               ;   in Loop: Header=BB65_10 Depth=1
	v_min_i32_e32 v4, 15, v4
	v_lshl_or_b32 v4, v4, 3, v20
	v_and_or_b32 v9, v8, 7, v4
                                        ; implicit-def: $vgpr20
; %bb.35:                               ;   in Loop: Header=BB65_10 Depth=1
	s_andn2_saveexec_b64 s[0:1], s[0:1]
; %bb.36:                               ;   in Loop: Header=BB65_10 Depth=1
	v_mov_b32_e32 v9, v20
; %bb.37:                               ;   in Loop: Header=BB65_10 Depth=1
	s_or_b64 exec, exec, s[0:1]
.LBB65_38:                              ;   in Loop: Header=BB65_10 Depth=1
	s_or_b64 exec, exec, s[40:41]
.LBB65_39:                              ;   in Loop: Header=BB65_10 Depth=1
	s_andn2_saveexec_b64 s[0:1], s[38:39]
	s_or_b64 exec, exec, s[0:1]
                                        ; implicit-def: $vgpr8
.LBB65_40:                              ;   in Loop: Header=BB65_10 Depth=1
	s_andn2_saveexec_b64 s[0:1], s[36:37]
	s_cbranch_execz .LBB65_9
; %bb.41:                               ;   in Loop: Header=BB65_10 Depth=1
	v_or_b32_sdwa v8, v8, s51 dst_sel:DWORD dst_unused:UNUSED_PAD src0_sel:BYTE_3 src1_sel:DWORD
	v_cmp_eq_u64_e32 vcc, 0, v[4:5]
	v_cndmask_b32_e32 v9, v8, v9, vcc
	s_branch .LBB65_9
.LBB65_42:
	s_or_b64 exec, exec, s[28:29]
	v_cmp_gt_i32_e32 vcc, s14, v2
	s_and_saveexec_b64 s[0:1], vcc
	s_cbranch_execz .LBB65_61
; %bb.43:
	s_mul_i32 s0, s8, s19
	s_mul_hi_u32 s1, s8, s18
	s_add_i32 s1, s1, s0
	s_mul_i32 s0, s8, s18
	s_lshl_b64 s[0:1], s[0:1], 1
	s_add_u32 s18, s22, s0
	s_addc_u32 s0, s23, s1
	s_ashr_i32 s1, s12, 31
	s_mul_i32 s1, s24, s1
	s_add_i32 s1, s42, s1
	s_add_i32 s1, s1, s43
	s_add_u32 s2, s2, s44
	s_addc_u32 s1, s3, s1
	s_ashr_i32 s3, s13, 31
	s_load_dword s4, s[6:7], 0x8c
	s_mul_i32 s9, s9, s3
	s_waitcnt lgkmcnt(0)
	s_load_dword s20, s[26:27], 0x0
	s_add_i32 s3, s33, s9
	s_add_i32 s3, s3, s15
	s_add_u32 s15, s2, s25
	s_addc_u32 s19, s1, s3
	s_and_b32 s21, s4, 0xffff
	s_mov_b64 s[2:3], 0
	v_mov_b32_e32 v6, s0
	v_mov_b32_e32 v1, 0
	s_movk_i32 s22, 0x80
	s_mov_b64 s[4:5], 0x7f800000
	s_mov_b64 s[6:7], 0x43e00001
	s_movk_i32 s23, 0x7a
	s_mov_b64 s[8:9], 0xffffff
	s_movk_i32 s24, 0x7f
	v_mov_b32_e32 v7, 0xffffff82
	v_mov_b32_e32 v8, 0x78
	s_branch .LBB65_45
.LBB65_44:                              ;   in Loop: Header=BB65_45 Depth=1
	s_or_b64 exec, exec, s[0:1]
	v_mov_b32_e32 v0, s19
	v_add_co_u32_e32 v10, vcc, s15, v2
	v_addc_co_u32_e32 v11, vcc, v0, v3, vcc
	v_add_u32_e32 v2, s21, v2
	v_cmp_le_i32_e32 vcc, s14, v2
	s_or_b64 s[2:3], vcc, s[2:3]
	global_store_byte v[10:11], v5, off
	s_andn2_b64 exec, exec, s[2:3]
	s_cbranch_execz .LBB65_61
.LBB65_45:                              ; =>This Inner Loop Header: Depth=1
	v_ashrrev_i32_e32 v3, 31, v2
	v_lshlrev_b64 v[4:5], 1, v[2:3]
	v_add_co_u32_e32 v4, vcc, s18, v4
	v_addc_co_u32_e32 v5, vcc, v6, v5, vcc
	global_load_dword v0, v[4:5], off
	v_mov_b32_e32 v11, v1
	s_waitcnt vmcnt(0) lgkmcnt(0)
	v_div_scale_f32 v4, s[0:1], s20, s20, v0
	v_rcp_f32_e32 v5, v4
	v_div_scale_f32 v9, vcc, v0, s20, v0
	v_fma_f32 v10, -v4, v5, 1.0
	v_fmac_f32_e32 v5, v10, v5
	v_mul_f32_e32 v10, v9, v5
	v_fma_f32 v12, -v4, v10, v9
	v_fmac_f32_e32 v10, v12, v5
	v_fma_f32 v4, -v4, v10, v9
	v_div_fmas_f32 v4, v4, v5, v10
	v_div_fixup_f32 v4, v4, s20, v0
	v_and_b32_sdwa v9, v4, s22 dst_sel:DWORD dst_unused:UNUSED_PAD src0_sel:BYTE_3 src1_sel:DWORD
	v_and_b32_e32 v10, 0x7f800000, v4
	v_and_b32_e32 v0, 0x7fffff, v4
	v_or_b32_e32 v5, 0x7e, v9
	v_cmp_ne_u64_e32 vcc, s[4:5], v[10:11]
	s_and_saveexec_b64 s[0:1], vcc
	s_xor_b64 s[10:11], exec, s[0:1]
	s_cbranch_execz .LBB65_59
; %bb.46:                               ;   in Loop: Header=BB65_45 Depth=1
	v_and_b32_e32 v10, 0x7fffffff, v4
	v_mov_b32_e32 v11, v1
	v_cmp_gt_u64_e32 vcc, s[6:7], v[10:11]
	s_and_saveexec_b64 s[0:1], vcc
	s_xor_b64 s[12:13], exec, s[0:1]
	s_cbranch_execz .LBB65_58
; %bb.47:                               ;   in Loop: Header=BB65_45 Depth=1
	v_cmp_ne_u32_e32 vcc, 0, v4
	v_mov_b32_e32 v5, 0
	s_and_saveexec_b64 s[16:17], vcc
	s_cbranch_execz .LBB65_57
; %bb.48:                               ;   in Loop: Header=BB65_45 Depth=1
	v_bfe_u32 v4, v4, 23, 8
	v_sub_u32_e32 v10, 0x79, v4
	v_cmp_gt_u32_e32 vcc, s23, v4
	v_cndmask_b32_e32 v10, 0, v10, vcc
	v_cmp_eq_u32_e32 vcc, 0, v4
	v_cndmask_b32_e32 v10, v10, v8, vcc
	v_add_u32_e32 v5, 0xffffff81, v4
	v_or_b32_e32 v11, 0x800000, v0
	v_add_u32_e32 v4, 20, v10
	v_cndmask_b32_e32 v16, v5, v7, vcc
	v_cndmask_b32_e32 v0, v11, v0, vcc
	v_lshlrev_b64 v[4:5], v4, -1
	v_not_b32_e32 v4, v4
	v_lshrrev_b64 v[14:15], v10, v[0:1]
	v_not_b32_e32 v5, v5
	v_and_b32_e32 v4, v0, v4
	v_add_u32_e32 v11, 19, v10
	v_lshrrev_b32_e32 v0, 23, v14
	v_and_b32_e32 v5, 0, v5
	v_lshlrev_b64 v[12:13], v11, 1
	v_add3_u32 v11, v10, v16, v0
	v_bfe_u32 v0, v14, 20, 1
	v_add_u32_e32 v0, -1, v0
	v_cmp_eq_u64_e32 vcc, v[4:5], v[12:13]
	v_cndmask_b32_e32 v0, 0, v0, vcc
	v_add_u32_e32 v0, v0, v14
	v_and_b32_e32 v0, 0xfffff, v0
	v_add_co_u32_e32 v4, vcc, v0, v14
	v_add_u32_e32 v10, 6, v11
	v_addc_co_u32_e32 v5, vcc, 0, v15, vcc
	v_cmp_ne_u32_e32 vcc, 0, v10
                                        ; implicit-def: $vgpr0
	s_and_saveexec_b64 s[0:1], vcc
	s_xor_b64 s[0:1], exec, s[0:1]
; %bb.49:                               ;   in Loop: Header=BB65_45 Depth=1
	v_add_u32_e32 v0, 7, v11
	v_cmp_lt_u64_e32 vcc, s[8:9], v[4:5]
	v_cndmask_b32_e32 v0, v10, v0, vcc
	v_cndmask_b32_e64 v10, 0, 1, vcc
	v_lshrrev_b64 v[4:5], v10, v[4:5]
; %bb.50:                               ;   in Loop: Header=BB65_45 Depth=1
	s_andn2_saveexec_b64 s[0:1], s[0:1]
; %bb.51:                               ;   in Loop: Header=BB65_45 Depth=1
	v_bfe_u32 v0, v4, 23, 1
; %bb.52:                               ;   in Loop: Header=BB65_45 Depth=1
	s_or_b64 exec, exec, s[0:1]
	v_lshrrev_b64 v[4:5], 20, v[4:5]
	v_cmp_gt_i32_e32 vcc, 16, v0
	v_cndmask_b32_e32 v5, 0, v5, vcc
	v_cndmask_b32_e32 v4, 7, v4, vcc
	v_cmp_ne_u32_e32 vcc, 0, v0
	v_cmp_ne_u64_e64 s[0:1], 0, v[4:5]
	s_or_b64 s[0:1], vcc, s[0:1]
                                        ; implicit-def: $vgpr5
	s_and_saveexec_b64 s[26:27], s[0:1]
	s_xor_b64 s[0:1], exec, s[26:27]
; %bb.53:                               ;   in Loop: Header=BB65_45 Depth=1
	v_min_i32_e32 v0, 15, v0
	v_lshl_or_b32 v0, v0, 3, v9
	v_and_or_b32 v5, v4, 7, v0
                                        ; implicit-def: $vgpr9
; %bb.54:                               ;   in Loop: Header=BB65_45 Depth=1
	s_andn2_saveexec_b64 s[0:1], s[0:1]
; %bb.55:                               ;   in Loop: Header=BB65_45 Depth=1
	v_mov_b32_e32 v5, v9
; %bb.56:                               ;   in Loop: Header=BB65_45 Depth=1
	s_or_b64 exec, exec, s[0:1]
.LBB65_57:                              ;   in Loop: Header=BB65_45 Depth=1
	s_or_b64 exec, exec, s[16:17]
.LBB65_58:                              ;   in Loop: Header=BB65_45 Depth=1
	s_andn2_saveexec_b64 s[0:1], s[12:13]
	s_or_b64 exec, exec, s[0:1]
                                        ; implicit-def: $vgpr4
.LBB65_59:                              ;   in Loop: Header=BB65_45 Depth=1
	s_andn2_saveexec_b64 s[0:1], s[10:11]
	s_cbranch_execz .LBB65_44
; %bb.60:                               ;   in Loop: Header=BB65_45 Depth=1
	v_or_b32_sdwa v4, v4, s24 dst_sel:DWORD dst_unused:UNUSED_PAD src0_sel:BYTE_3 src1_sel:DWORD
	v_cmp_eq_u64_e32 vcc, 0, v[0:1]
	v_cndmask_b32_e32 v5, v4, v5, vcc
	s_branch .LBB65_44
.LBB65_61:
	s_endpgm
.LBB65_62:
                                        ; implicit-def: $sgpr24_sgpr25
	s_branch .LBB65_6
	.section	.rodata,"a",@progbits
	.p2align	6, 0x0
	.amdhsa_kernel _ZN4vllm38concat_and_cache_mla_rope_fused_kernelIN3c104HalfENS1_8BFloat16ELb0EfhLNS_18Fp8KVCacheDataTypeE1EEEvPKlPT_S8_PKS7_PKT0_illlliPT3_S6_iiiiPKf
		.amdhsa_group_segment_fixed_size 4096
		.amdhsa_private_segment_fixed_size 0
		.amdhsa_kernarg_size 384
		.amdhsa_user_sgpr_count 8
		.amdhsa_user_sgpr_private_segment_buffer 1
		.amdhsa_user_sgpr_dispatch_ptr 1
		.amdhsa_user_sgpr_queue_ptr 0
		.amdhsa_user_sgpr_kernarg_segment_ptr 1
		.amdhsa_user_sgpr_dispatch_id 0
		.amdhsa_user_sgpr_flat_scratch_init 0
		.amdhsa_user_sgpr_kernarg_preload_length 0
		.amdhsa_user_sgpr_kernarg_preload_offset 0
		.amdhsa_user_sgpr_private_segment_size 0
		.amdhsa_uses_dynamic_stack 0
		.amdhsa_system_sgpr_private_segment_wavefront_offset 0
		.amdhsa_system_sgpr_workgroup_id_x 1
		.amdhsa_system_sgpr_workgroup_id_y 0
		.amdhsa_system_sgpr_workgroup_id_z 0
		.amdhsa_system_sgpr_workgroup_info 0
		.amdhsa_system_vgpr_workitem_id 2
		.amdhsa_next_free_vgpr 28
		.amdhsa_next_free_sgpr 54
		.amdhsa_accum_offset 28
		.amdhsa_reserve_vcc 1
		.amdhsa_reserve_flat_scratch 0
		.amdhsa_float_round_mode_32 0
		.amdhsa_float_round_mode_16_64 0
		.amdhsa_float_denorm_mode_32 3
		.amdhsa_float_denorm_mode_16_64 3
		.amdhsa_dx10_clamp 1
		.amdhsa_ieee_mode 1
		.amdhsa_fp16_overflow 0
		.amdhsa_tg_split 0
		.amdhsa_exception_fp_ieee_invalid_op 0
		.amdhsa_exception_fp_denorm_src 0
		.amdhsa_exception_fp_ieee_div_zero 0
		.amdhsa_exception_fp_ieee_overflow 0
		.amdhsa_exception_fp_ieee_underflow 0
		.amdhsa_exception_fp_ieee_inexact 0
		.amdhsa_exception_int_div_zero 0
	.end_amdhsa_kernel
	.section	.text._ZN4vllm38concat_and_cache_mla_rope_fused_kernelIN3c104HalfENS1_8BFloat16ELb0EfhLNS_18Fp8KVCacheDataTypeE1EEEvPKlPT_S8_PKS7_PKT0_illlliPT3_S6_iiiiPKf,"axG",@progbits,_ZN4vllm38concat_and_cache_mla_rope_fused_kernelIN3c104HalfENS1_8BFloat16ELb0EfhLNS_18Fp8KVCacheDataTypeE1EEEvPKlPT_S8_PKS7_PKT0_illlliPT3_S6_iiiiPKf,comdat
.Lfunc_end65:
	.size	_ZN4vllm38concat_and_cache_mla_rope_fused_kernelIN3c104HalfENS1_8BFloat16ELb0EfhLNS_18Fp8KVCacheDataTypeE1EEEvPKlPT_S8_PKS7_PKT0_illlliPT3_S6_iiiiPKf, .Lfunc_end65-_ZN4vllm38concat_and_cache_mla_rope_fused_kernelIN3c104HalfENS1_8BFloat16ELb0EfhLNS_18Fp8KVCacheDataTypeE1EEEvPKlPT_S8_PKS7_PKT0_illlliPT3_S6_iiiiPKf
                                        ; -- End function
	.section	.AMDGPU.csdata,"",@progbits
; Kernel info:
; codeLenInByte = 3784
; NumSgprs: 58
; NumVgprs: 28
; NumAgprs: 0
; TotalNumVgprs: 28
; ScratchSize: 0
; MemoryBound: 0
; FloatMode: 240
; IeeeMode: 1
; LDSByteSize: 4096 bytes/workgroup (compile time only)
; SGPRBlocks: 7
; VGPRBlocks: 3
; NumSGPRsForWavesPerEU: 58
; NumVGPRsForWavesPerEU: 28
; AccumOffset: 28
; Occupancy: 8
; WaveLimiterHint : 1
; COMPUTE_PGM_RSRC2:SCRATCH_EN: 0
; COMPUTE_PGM_RSRC2:USER_SGPR: 8
; COMPUTE_PGM_RSRC2:TRAP_HANDLER: 0
; COMPUTE_PGM_RSRC2:TGID_X_EN: 1
; COMPUTE_PGM_RSRC2:TGID_Y_EN: 0
; COMPUTE_PGM_RSRC2:TGID_Z_EN: 0
; COMPUTE_PGM_RSRC2:TIDIG_COMP_CNT: 2
; COMPUTE_PGM_RSRC3_GFX90A:ACCUM_OFFSET: 6
; COMPUTE_PGM_RSRC3_GFX90A:TG_SPLIT: 0
	.section	.text._ZN4vllm38concat_and_cache_mla_rope_fused_kernelIN3c108BFloat16EfLb1EfhLNS_18Fp8KVCacheDataTypeE1EEEvPKlPT_S7_PKS6_PKT0_illlliPT3_S5_iiiiPKf,"axG",@progbits,_ZN4vllm38concat_and_cache_mla_rope_fused_kernelIN3c108BFloat16EfLb1EfhLNS_18Fp8KVCacheDataTypeE1EEEvPKlPT_S7_PKS6_PKT0_illlliPT3_S5_iiiiPKf,comdat
	.protected	_ZN4vllm38concat_and_cache_mla_rope_fused_kernelIN3c108BFloat16EfLb1EfhLNS_18Fp8KVCacheDataTypeE1EEEvPKlPT_S7_PKS6_PKT0_illlliPT3_S5_iiiiPKf ; -- Begin function _ZN4vllm38concat_and_cache_mla_rope_fused_kernelIN3c108BFloat16EfLb1EfhLNS_18Fp8KVCacheDataTypeE1EEEvPKlPT_S7_PKS6_PKT0_illlliPT3_S5_iiiiPKf
	.globl	_ZN4vllm38concat_and_cache_mla_rope_fused_kernelIN3c108BFloat16EfLb1EfhLNS_18Fp8KVCacheDataTypeE1EEEvPKlPT_S7_PKS6_PKT0_illlliPT3_S5_iiiiPKf
	.p2align	8
	.type	_ZN4vllm38concat_and_cache_mla_rope_fused_kernelIN3c108BFloat16EfLb1EfhLNS_18Fp8KVCacheDataTypeE1EEEvPKlPT_S7_PKS6_PKT0_illlliPT3_S5_iiiiPKf,@function
_ZN4vllm38concat_and_cache_mla_rope_fused_kernelIN3c108BFloat16EfLb1EfhLNS_18Fp8KVCacheDataTypeE1EEEvPKlPT_S7_PKS6_PKT0_illlliPT3_S5_iiiiPKf: ; @_ZN4vllm38concat_and_cache_mla_rope_fused_kernelIN3c108BFloat16EfLb1EfhLNS_18Fp8KVCacheDataTypeE1EEEvPKlPT_S7_PKS6_PKT0_illlliPT3_S5_iiiiPKf
; %bb.0:
	s_load_dwordx2 s[2:3], s[6:7], 0x60
	s_mov_b32 s9, 0
	s_lshl_b64 s[0:1], s[8:9], 3
	s_waitcnt lgkmcnt(0)
	s_add_u32 s2, s2, s0
	s_addc_u32 s3, s3, s1
	s_load_dwordx2 s[28:29], s[2:3], 0x0
	s_waitcnt lgkmcnt(0)
	v_cmp_lt_i64_e64 s[2:3], s[28:29], 0
	s_and_b64 vcc, exec, s[2:3]
	s_cbranch_vccnz .LBB66_61
; %bb.1:
	s_load_dword s9, s[6:7], 0x28
	s_load_dwordx2 s[2:3], s[6:7], 0x0
	s_load_dwordx2 s[30:31], s[6:7], 0x20
	s_load_dwordx4 s[20:23], s[6:7], 0x10
	v_and_b32_e32 v2, 0x3ff, v0
	s_waitcnt lgkmcnt(0)
	s_ashr_i32 s10, s9, 31
	s_add_u32 s0, s2, s0
	s_addc_u32 s1, s3, s1
	s_load_dwordx2 s[2:3], s[0:1], 0x0
	s_load_dwordx8 s[12:19], s[6:7], 0x30
	s_load_dwordx2 s[24:25], s[6:7], 0x58
	s_load_dword s11, s[6:7], 0x50
	s_waitcnt lgkmcnt(0)
	s_mul_i32 s0, s2, s10
	s_mul_hi_u32 s1, s2, s9
	s_add_i32 s0, s1, s0
	s_mul_i32 s1, s3, s9
	s_add_i32 s35, s0, s1
	s_lshr_b32 s0, s9, 31
	s_mul_i32 s34, s2, s9
	s_add_i32 s9, s9, s0
	s_ashr_i32 s26, s9, 1
	s_mul_i32 s9, s26, s11
	v_cmp_gt_i32_e32 vcc, s9, v2
	s_and_saveexec_b64 s[36:37], vcc
	s_cbranch_execz .LBB66_4
; %bb.2:
	s_lshl_b64 s[0:1], s[34:35], 2
	s_add_u32 s33, s30, s0
	s_addc_u32 s10, s31, s1
	s_load_dwordx2 s[0:1], s[6:7], 0x8
	s_load_dword s11, s[6:7], 0x8c
	s_mul_i32 s2, s8, s13
	s_mul_hi_u32 s3, s8, s12
	s_add_i32 s3, s3, s2
	s_mul_i32 s2, s8, s12
	s_ashr_i32 s27, s26, 31
	s_lshl_b64 s[2:3], s[2:3], 1
	s_waitcnt lgkmcnt(0)
	s_add_u32 s42, s0, s2
	s_addc_u32 s0, s1, s3
	s_abs_i32 s43, s26
	v_cvt_f32_u32_e32 v1, s43
	s_sub_i32 s1, 0, s43
	s_lshl_b64 s[38:39], s[26:27], 2
	s_lshl_b64 s[40:41], s[26:27], 1
	v_rcp_iflag_f32_e32 v1, v1
	s_and_b32 s44, s11, 0xffff
	s_sub_i32 s45, 0, s26
	s_mov_b64 s[12:13], 0
	v_mul_f32_e32 v1, 0x4f7ffffe, v1
	v_cvt_u32_f32_e32 v1, v1
	v_mov_b32_e32 v5, s39
	v_mov_b32_e32 v6, s0
	v_mov_b32_e32 v7, s41
	v_mul_lo_u32 v3, s1, v1
	v_mul_hi_u32 v3, v1, v3
	v_add_u32_e32 v1, v1, v3
	v_mov_b32_e32 v3, s10
	s_movk_i32 s39, 0x7fff
	v_mov_b32_e32 v8, 0x7fc00000
	v_mov_b32_e32 v9, 0x7fc0
	v_mov_b32_e32 v4, v2
.LBB66_3:                               ; =>This Inner Loop Header: Depth=1
	v_sub_u32_e32 v11, 0, v4
	v_max_i32_e32 v11, v4, v11
	v_mul_hi_u32 v12, v11, v1
	v_mul_lo_u32 v13, v12, s43
	v_sub_u32_e32 v11, v11, v13
	v_add_u32_e32 v14, 1, v12
	v_cmp_le_u32_e32 vcc, s43, v11
	v_subrev_u32_e32 v13, s43, v11
	v_cndmask_b32_e32 v12, v12, v14, vcc
	v_cndmask_b32_e32 v11, v11, v13, vcc
	v_ashrrev_i32_e32 v10, 31, v4
	v_add_u32_e32 v13, 1, v12
	v_cmp_le_u32_e32 vcc, s43, v11
	v_xor_b32_e32 v10, s27, v10
	v_cndmask_b32_e32 v11, v12, v13, vcc
	v_xor_b32_e32 v11, v11, v10
	v_sub_u32_e32 v12, v11, v10
	v_mad_u64_u32 v[10:11], s[0:1], s45, v12, v[4:5]
	v_ashrrev_i32_e32 v14, 31, v12
	v_ashrrev_i32_e32 v11, 31, v10
	v_mul_lo_u32 v17, v14, s14
	v_lshlrev_b64 v[14:15], 2, v[10:11]
	v_add_co_u32_e32 v14, vcc, s33, v14
	v_mul_lo_u32 v16, v12, s15
	v_mad_u64_u32 v[12:13], s[0:1], v12, s14, 0
	v_addc_co_u32_e32 v15, vcc, v3, v15, vcc
	v_add3_u32 v13, v13, v16, v17
	v_add_co_u32_e32 v16, vcc, s38, v14
	v_lshlrev_b64 v[12:13], 1, v[12:13]
	v_addc_co_u32_e32 v17, vcc, v15, v5, vcc
	v_add_co_u32_e32 v12, vcc, s42, v12
	v_lshlrev_b64 v[10:11], 1, v[10:11]
	v_addc_co_u32_e32 v13, vcc, v6, v13, vcc
	v_add_co_u32_e32 v10, vcc, v12, v10
	global_load_dword v18, v[14:15], off
	global_load_dword v19, v[16:17], off
	v_addc_co_u32_e32 v11, vcc, v13, v11, vcc
	v_add_co_u32_e32 v12, vcc, s40, v10
	v_addc_co_u32_e32 v13, vcc, v11, v7, vcc
	global_load_ushort v14, v[10:11], off
	global_load_ushort v16, v[12:13], off
	v_add_u32_e32 v4, s44, v4
	v_cmp_le_i32_e32 vcc, s9, v4
	s_or_b64 s[12:13], vcc, s[12:13]
	s_waitcnt vmcnt(3)
	v_bfe_u32 v15, v18, 16, 1
	s_waitcnt vmcnt(2)
	v_bfe_u32 v17, v19, 16, 1
	v_add3_u32 v15, v18, v15, s39
	v_add3_u32 v17, v19, v17, s39
	v_and_b32_e32 v20, 0xffff0000, v15
	v_cmp_o_f32_e32 vcc, v18, v18
	v_and_b32_e32 v17, 0xffff0000, v17
	s_waitcnt vmcnt(1)
	v_lshlrev_b32_e32 v15, 16, v14
	s_waitcnt vmcnt(0)
	v_lshlrev_b32_e32 v14, 16, v16
	v_cndmask_b32_e32 v16, v8, v20, vcc
	v_cmp_o_f32_e32 vcc, v19, v19
	v_cndmask_b32_e32 v17, v8, v17, vcc
	v_mov_b32_e32 v18, v15
	v_mov_b32_e32 v19, v14
	v_pk_mul_f32 v[18:19], v[16:17], v[18:19]
	v_pk_mul_f32 v[14:15], v[16:17], v[14:15]
	v_bfe_u32 v16, v18, 16, 1
	v_bfe_u32 v17, v19, 16, 1
	;; [unrolled: 1-line block ×4, first 2 shown]
	v_add3_u32 v17, v19, v17, s39
	v_add3_u32 v16, v18, v16, s39
	;; [unrolled: 1-line block ×4, first 2 shown]
	v_and_b32_e32 v16, 0xffff0000, v16
	v_and_b32_e32 v17, 0xffff0000, v17
	v_cmp_o_f32_e32 vcc, v18, v18
	v_cmp_o_f32_e64 s[10:11], v19, v19
	v_and_b32_e32 v18, 0xffff0000, v20
	v_and_b32_e32 v20, 0xffff0000, v21
	v_cmp_o_f32_e64 s[0:1], v15, v15
	v_cmp_o_f32_e64 s[2:3], v14, v14
	v_cndmask_b32_e64 v14, v8, v17, s[10:11]
	v_cndmask_b32_e32 v15, v8, v16, vcc
	v_cndmask_b32_e64 v16, v8, v20, s[0:1]
	v_cndmask_b32_e64 v17, v8, v18, s[2:3]
	v_sub_f32_e32 v14, v15, v14
	v_add_f32_e32 v15, v17, v16
	v_bfe_u32 v16, v14, 16, 1
	v_bfe_u32 v17, v15, 16, 1
	v_add3_u32 v16, v14, v16, s39
	v_add3_u32 v17, v15, v17, s39
	v_lshrrev_b32_e32 v16, 16, v16
	v_cmp_o_f32_e64 s[0:1], v14, v14
	v_lshrrev_b32_e32 v17, 16, v17
	v_cmp_o_f32_e32 vcc, v15, v15
	v_cndmask_b32_e64 v14, v9, v16, s[0:1]
	v_cndmask_b32_e32 v15, v9, v17, vcc
	global_store_short v[10:11], v14, off
	global_store_short v[12:13], v15, off
	s_andn2_b64 exec, exec, s[12:13]
	s_cbranch_execnz .LBB66_3
.LBB66_4:
	s_or_b64 exec, exec, s[36:37]
	s_load_dwordx4 s[12:15], s[6:7], 0x68
	s_waitcnt lgkmcnt(0)
	s_ashr_i32 s37, s15, 31
	s_mov_b32 s36, s15
	s_or_b64 s[0:1], s[28:29], s[36:37]
	s_mov_b32 s0, 0
	s_cmp_lg_u64 s[0:1], 0
	s_cbranch_scc0 .LBB66_62
; %bb.5:
	s_add_u32 s0, s36, s37
	s_mov_b32 s2, s37
	s_mov_b32 s3, s37
	s_addc_u32 s1, s37, s37
	s_xor_b64 s[38:39], s[0:1], s[2:3]
	v_cvt_f32_u32_e32 v1, s38
	v_cvt_f32_u32_e32 v3, s39
	s_sub_u32 s0, 0, s38
	s_subb_u32 s1, 0, s39
	v_madmk_f32 v1, v3, 0x4f800000, v1
	v_rcp_f32_e32 v1, v1
	v_mul_f32_e32 v1, 0x5f7ffffc, v1
	v_mul_f32_e32 v3, 0x2f800000, v1
	v_trunc_f32_e32 v3, v3
	v_madmk_f32 v1, v3, 0xcf800000, v1
	v_cvt_u32_f32_e32 v3, v3
	v_cvt_u32_f32_e32 v1, v1
	v_readfirstlane_b32 s9, v3
	v_readfirstlane_b32 s15, v1
	s_mul_i32 s27, s0, s9
	s_mul_hi_u32 s40, s0, s15
	s_mul_i32 s33, s1, s15
	s_add_i32 s27, s40, s27
	s_add_i32 s27, s27, s33
	s_mul_i32 s41, s0, s15
	s_mul_hi_u32 s33, s15, s27
	s_mul_i32 s40, s15, s27
	s_mul_hi_u32 s15, s15, s41
	s_add_u32 s15, s15, s40
	s_addc_u32 s33, 0, s33
	s_mul_hi_u32 s42, s9, s41
	s_mul_i32 s41, s9, s41
	s_add_u32 s15, s15, s41
	s_mul_hi_u32 s40, s9, s27
	s_addc_u32 s15, s33, s42
	s_addc_u32 s33, s40, 0
	s_mul_i32 s27, s9, s27
	s_add_u32 s15, s15, s27
	s_addc_u32 s27, 0, s33
	v_add_co_u32_e32 v1, vcc, s15, v1
	s_cmp_lg_u64 vcc, 0
	s_addc_u32 s9, s9, s27
	v_readfirstlane_b32 s27, v1
	s_mul_i32 s15, s0, s9
	s_mul_hi_u32 s33, s0, s27
	s_add_i32 s15, s33, s15
	s_mul_i32 s1, s1, s27
	s_add_i32 s15, s15, s1
	s_mul_i32 s0, s0, s27
	s_mul_hi_u32 s33, s9, s0
	s_mul_i32 s40, s9, s0
	s_mul_i32 s42, s27, s15
	s_mul_hi_u32 s0, s27, s0
	s_mul_hi_u32 s41, s27, s15
	s_add_u32 s0, s0, s42
	s_addc_u32 s27, 0, s41
	s_add_u32 s0, s0, s40
	s_mul_hi_u32 s1, s9, s15
	s_addc_u32 s0, s27, s33
	s_addc_u32 s1, s1, 0
	s_mul_i32 s15, s9, s15
	s_add_u32 s0, s0, s15
	s_addc_u32 s1, 0, s1
	v_add_co_u32_e32 v1, vcc, s0, v1
	s_cmp_lg_u64 vcc, 0
	s_addc_u32 s9, s9, s1
	s_ashr_i32 s40, s29, 31
	s_add_u32 s0, s28, s40
	s_mov_b32 s41, s40
	s_addc_u32 s1, s29, s40
	s_xor_b64 s[42:43], s[0:1], s[40:41]
	v_readfirstlane_b32 s15, v1
	s_mul_i32 s1, s42, s9
	s_mul_hi_u32 s27, s42, s15
	s_mul_hi_u32 s0, s42, s9
	s_add_u32 s1, s27, s1
	s_addc_u32 s0, 0, s0
	s_mul_hi_u32 s33, s43, s15
	s_mul_i32 s15, s43, s15
	s_add_u32 s1, s1, s15
	s_mul_hi_u32 s27, s43, s9
	s_addc_u32 s0, s0, s33
	s_addc_u32 s1, s27, 0
	s_mul_i32 s9, s43, s9
	s_add_u32 s9, s0, s9
	s_addc_u32 s15, 0, s1
	s_mul_i32 s0, s38, s15
	s_mul_hi_u32 s1, s38, s9
	s_add_i32 s0, s1, s0
	s_mul_i32 s1, s39, s9
	s_add_i32 s27, s0, s1
	s_mul_i32 s1, s38, s9
	v_mov_b32_e32 v1, s1
	s_sub_i32 s0, s43, s27
	v_sub_co_u32_e32 v1, vcc, s42, v1
	s_cmp_lg_u64 vcc, 0
	s_subb_u32 s33, s0, s39
	v_subrev_co_u32_e64 v3, s[0:1], s38, v1
	s_cmp_lg_u64 s[0:1], 0
	s_subb_u32 s0, s33, 0
	s_cmp_ge_u32 s0, s39
	v_readfirstlane_b32 s33, v3
	s_cselect_b32 s1, -1, 0
	s_cmp_ge_u32 s33, s38
	s_cselect_b32 s33, -1, 0
	s_cmp_eq_u32 s0, s39
	s_cselect_b32 s0, s33, s1
	s_add_u32 s1, s9, 1
	s_addc_u32 s33, s15, 0
	s_add_u32 s42, s9, 2
	s_addc_u32 s44, s15, 0
	s_cmp_lg_u32 s0, 0
	s_cselect_b32 s0, s42, s1
	s_cselect_b32 s1, s44, s33
	s_cmp_lg_u64 vcc, 0
	s_subb_u32 s27, s43, s27
	s_cmp_ge_u32 s27, s39
	v_readfirstlane_b32 s42, v1
	s_cselect_b32 s33, -1, 0
	s_cmp_ge_u32 s42, s38
	s_cselect_b32 s38, -1, 0
	s_cmp_eq_u32 s27, s39
	s_cselect_b32 s27, s38, s33
	s_cmp_lg_u32 s27, 0
	s_cselect_b32 s1, s1, s15
	s_cselect_b32 s0, s0, s9
	s_xor_b64 s[2:3], s[40:41], s[2:3]
	s_xor_b64 s[0:1], s[0:1], s[2:3]
	s_sub_u32 s2, s0, s2
	s_subb_u32 s3, s1, s3
	s_cbranch_execnz .LBB66_7
.LBB66_6:
	v_cvt_f32_u32_e32 v1, s36
	s_sub_i32 s0, 0, s36
	s_mov_b32 s3, 0
	v_rcp_iflag_f32_e32 v1, v1
	v_mul_f32_e32 v1, 0x4f7ffffe, v1
	v_cvt_u32_f32_e32 v1, v1
	v_readfirstlane_b32 s1, v1
	s_mul_i32 s0, s0, s1
	s_mul_hi_u32 s0, s1, s0
	s_add_i32 s1, s1, s0
	s_mul_hi_u32 s0, s28, s1
	s_mul_i32 s2, s0, s36
	s_sub_i32 s2, s28, s2
	s_add_i32 s1, s0, 1
	s_sub_i32 s9, s2, s36
	s_cmp_ge_u32 s2, s36
	s_cselect_b32 s0, s1, s0
	s_cselect_b32 s2, s9, s2
	s_add_i32 s1, s0, 1
	s_cmp_ge_u32 s2, s36
	s_cselect_b32 s2, s1, s0
.LBB66_7:
	s_mul_i32 s0, s2, s37
	s_mul_hi_u32 s1, s2, s36
	s_load_dwordx2 s[10:11], s[6:7], 0x78
	s_add_i32 s0, s1, s0
	s_mul_i32 s1, s3, s36
	s_add_i32 s0, s0, s1
	s_mul_i32 s1, s2, s36
	s_sub_u32 s9, s28, s1
	s_subb_u32 s0, s29, s0
	v_cmp_gt_i32_e32 vcc, s26, v2
	s_mul_hi_u32 s46, s2, s12
	s_mul_i32 s47, s3, s12
	s_mul_i32 s48, s2, s12
	s_mul_hi_u32 s33, s9, s13
	s_mul_i32 s3, s0, s13
	s_mul_i32 s15, s9, s13
	s_and_saveexec_b64 s[28:29], vcc
	s_cbranch_execz .LBB66_42
; %bb.8:
	s_load_dwordx2 s[0:1], s[4:5], 0x4
	v_bfe_u32 v1, v0, 10, 10
	s_ashr_i32 s4, s12, 31
	s_ashr_i32 s27, s26, 31
	v_bfe_u32 v0, v0, 20, 10
	s_waitcnt lgkmcnt(0)
	s_lshr_b32 s0, s0, 16
	s_mul_i32 s0, s0, s1
	v_mul_lo_u32 v3, s0, v2
	v_mad_u32_u24 v1, v1, s1, v3
	s_ashr_i32 s1, s13, 31
	s_mul_i32 s0, s2, s4
	s_mul_i32 s1, s9, s1
	s_add_i32 s0, s46, s0
	s_add_i32 s1, s33, s1
	;; [unrolled: 1-line block ×4, first 2 shown]
	s_add_u32 s36, s48, s15
	s_load_dword s4, s[6:7], 0x8c
	s_addc_u32 s37, s0, s1
	s_add_u32 s0, s36, s24
	s_addc_u32 s1, s37, s25
	s_ashr_i32 s38, s14, 31
	s_add_u32 s49, s0, s14
	s_addc_u32 s50, s1, s38
	s_waitcnt lgkmcnt(0)
	s_and_b32 s52, s4, 0xffff
	s_lshl_b64 s[0:1], s[34:35], 2
	s_add_u32 s0, s30, s0
	v_add_lshl_u32 v3, v1, v0, 1
	v_lshlrev_b32_e32 v0, 2, v2
	s_addc_u32 s1, s31, s1
	v_mov_b32_e32 v5, s1
	v_add_co_u32_e32 v4, vcc, s0, v0
	s_mul_i32 s0, s17, s8
	s_mul_hi_u32 s1, s16, s8
	s_add_i32 s1, s1, s0
	s_mul_i32 s0, s16, s8
	s_lshl_b32 s54, s52, 2
	s_lshl_b64 s[4:5], s[26:27], 2
	s_lshl_b64 s[30:31], s[26:27], 1
	;; [unrolled: 1-line block ×3, first 2 shown]
	s_add_u32 s0, s20, s0
	v_addc_co_u32_e32 v5, vcc, 0, v5, vcc
	v_lshlrev_b32_e32 v0, 1, v2
	s_addc_u32 s1, s21, s1
	s_lshl_b32 s55, s52, 1
	v_add_co_u32_e32 v6, vcc, s0, v0
	s_add_u32 s0, s36, s26
	s_load_dword s51, s[10:11], 0x0
	v_mov_b32_e32 v7, s1
	s_addc_u32 s1, s37, s27
	s_add_u32 s0, s0, s14
	s_addc_u32 s1, s1, s38
	s_mov_b32 s53, 0
	s_add_u32 s27, s24, s0
	v_add_u32_e32 v10, 0x800, v3
	v_mov_b32_e32 v1, 0
	v_addc_co_u32_e32 v7, vcc, 0, v7, vcc
	s_mov_b32 s56, s53
	s_addc_u32 s57, s25, s1
	s_mov_b64 s[16:17], 0
	v_mov_b32_e32 v11, s5
	v_mov_b32_e32 v12, s31
	s_movk_i32 s5, 0x7fff
	v_mov_b32_e32 v13, 0x7fc00000
	v_mov_b32_e32 v14, 0x7fc0
	s_movk_i32 s31, 0x80
	s_mov_b64 s[20:21], 0x7f800000
	s_mov_b64 s[34:35], 0x43e00001
	s_movk_i32 s58, 0x7a
	s_mov_b64 s[36:37], 0xffffff
	s_movk_i32 s59, 0x7f
	v_mov_b32_e32 v15, 0xffffff82
	v_mov_b32_e32 v16, 0x78
	s_mov_b64 s[38:39], 0
	s_branch .LBB66_10
.LBB66_9:                               ;   in Loop: Header=BB66_10 Depth=1
	s_or_b64 exec, exec, s[0:1]
	s_add_u32 s38, s38, s52
	v_mov_b32_e32 v0, s57
	v_add_co_u32_e32 v18, vcc, s27, v2
	s_addc_u32 s39, s39, 0
	v_addc_co_u32_e32 v19, vcc, 0, v0, vcc
	s_add_u32 s27, s27, s52
	v_mov_b32_e32 v8, s53
	v_add_co_u32_e32 v4, vcc, s54, v4
	s_addc_u32 s57, s57, 0
	v_add_u32_e32 v0, s38, v2
	v_addc_co_u32_e32 v5, vcc, v5, v8, vcc
	s_add_u32 s49, s49, s52
	s_addc_u32 s50, s50, 0
	v_cmp_le_i32_e32 vcc, s26, v0
	v_mov_b32_e32 v8, s56
	s_or_b64 s[16:17], vcc, s[16:17]
	v_add_co_u32_e32 v6, vcc, s55, v6
	v_addc_co_u32_e32 v7, vcc, v7, v8, vcc
	global_store_byte v[18:19], v9, off
	s_andn2_b64 exec, exec, s[16:17]
	s_cbranch_execz .LBB66_42
.LBB66_10:                              ; =>This Inner Loop Header: Depth=1
	v_add_co_u32_e32 v8, vcc, s4, v4
	global_load_dword v0, v[4:5], off
	v_addc_co_u32_e32 v9, vcc, v5, v11, vcc
	global_load_dword v17, v[8:9], off
	v_add_co_u32_e32 v8, vcc, s30, v6
	v_addc_co_u32_e32 v9, vcc, v7, v12, vcc
	global_load_ushort v18, v[6:7], off
	global_load_ushort v20, v[8:9], off
	v_mov_b32_e32 v21, v1
	s_waitcnt vmcnt(3)
	v_bfe_u32 v19, v0, 16, 1
	v_add3_u32 v23, v0, v19, s5
	v_and_b32_e32 v24, 0xffff0000, v23
	s_waitcnt vmcnt(2)
	v_bfe_u32 v22, v17, 16, 1
	v_cmp_o_f32_e32 vcc, v0, v0
	v_cndmask_b32_e32 v24, v13, v24, vcc
	v_cmp_o_f32_e32 vcc, v17, v17
	s_waitcnt vmcnt(1)
	v_lshlrev_b32_e32 v19, 16, v18
	s_waitcnt vmcnt(0)
	v_lshlrev_b32_e32 v18, 16, v20
	v_add3_u32 v20, v17, v22, s5
	v_and_b32_e32 v20, 0xffff0000, v20
	v_mov_b32_e32 v22, v19
	v_mov_b32_e32 v23, v18
	v_cndmask_b32_e32 v25, v13, v20, vcc
	v_pk_mul_f32 v[22:23], v[24:25], v[22:23]
	v_bfe_u32 v17, v23, 16, 1
	v_pk_mul_f32 v[18:19], v[24:25], v[18:19]
	v_bfe_u32 v0, v22, 16, 1
	v_add3_u32 v17, v23, v17, s5
	v_bfe_u32 v24, v19, 16, 1
	v_add3_u32 v0, v22, v0, s5
	v_and_b32_e32 v17, 0xffff0000, v17
	v_cmp_o_f32_e32 vcc, v23, v23
	v_bfe_u32 v20, v18, 16, 1
	v_add3_u32 v24, v19, v24, s5
	v_and_b32_e32 v0, 0xffff0000, v0
	v_cndmask_b32_e32 v17, v13, v17, vcc
	v_cmp_o_f32_e32 vcc, v22, v22
	v_add3_u32 v20, v18, v20, s5
	v_and_b32_e32 v24, 0xffff0000, v24
	v_cndmask_b32_e32 v0, v13, v0, vcc
	v_cmp_o_f32_e32 vcc, v19, v19
	v_and_b32_e32 v20, 0xffff0000, v20
	v_cndmask_b32_e32 v19, v13, v24, vcc
	v_cmp_o_f32_e32 vcc, v18, v18
	v_cndmask_b32_e32 v18, v13, v20, vcc
	v_sub_f32_e32 v0, v0, v17
	v_add_f32_e32 v17, v18, v19
	v_bfe_u32 v18, v0, 16, 1
	v_add3_u32 v18, v0, v18, s5
	v_lshrrev_b32_e32 v18, 16, v18
	v_cmp_o_f32_e32 vcc, v0, v0
	v_cndmask_b32_e32 v0, v14, v18, vcc
	ds_write_b16 v10, v0
	ds_read_b32 v18, v10
	v_bfe_u32 v19, v17, 16, 1
	v_add3_u32 v19, v17, v19, s5
	v_lshrrev_b32_e32 v19, 16, v19
	v_cmp_o_f32_e32 vcc, v17, v17
	v_cndmask_b32_e32 v17, v14, v19, vcc
	ds_write_b16 v3, v17
	global_store_short v[6:7], v0, off
	global_store_short v[8:9], v17, off
	s_waitcnt lgkmcnt(0)
	v_div_scale_f32 v0, s[0:1], s51, s51, v18
	v_rcp_f32_e32 v8, v0
	v_div_scale_f32 v9, vcc, v18, s51, v18
	ds_read_b32 v17, v3
	v_fma_f32 v19, -v0, v8, 1.0
	v_fmac_f32_e32 v8, v19, v8
	v_mul_f32_e32 v19, v9, v8
	v_fma_f32 v20, -v0, v19, v9
	v_fmac_f32_e32 v19, v20, v8
	v_fma_f32 v0, -v0, v19, v9
	v_div_fmas_f32 v0, v0, v8, v19
	v_div_fixup_f32 v8, v0, s51, v18
	v_and_b32_sdwa v18, v8, s31 dst_sel:DWORD dst_unused:UNUSED_PAD src0_sel:BYTE_3 src1_sel:DWORD
	v_and_b32_e32 v20, 0x7f800000, v8
	v_and_b32_e32 v0, 0x7fffff, v8
	v_or_b32_e32 v9, 0x7e, v18
	v_cmp_ne_u64_e32 vcc, s[20:21], v[20:21]
	s_and_saveexec_b64 s[0:1], vcc
	s_xor_b64 s[40:41], exec, s[0:1]
	s_cbranch_execz .LBB66_24
; %bb.11:                               ;   in Loop: Header=BB66_10 Depth=1
	v_and_b32_e32 v20, 0x7fffffff, v8
	v_mov_b32_e32 v21, v1
	v_cmp_gt_u64_e32 vcc, s[34:35], v[20:21]
	s_and_saveexec_b64 s[0:1], vcc
	s_xor_b64 s[42:43], exec, s[0:1]
	s_cbranch_execz .LBB66_23
; %bb.12:                               ;   in Loop: Header=BB66_10 Depth=1
	v_cmp_ne_u32_e32 vcc, 0, v8
	v_mov_b32_e32 v9, 0
	s_and_saveexec_b64 s[44:45], vcc
	s_cbranch_execz .LBB66_22
; %bb.13:                               ;   in Loop: Header=BB66_10 Depth=1
	v_bfe_u32 v8, v8, 23, 8
	v_sub_u32_e32 v19, 0x79, v8
	v_cmp_gt_u32_e32 vcc, s58, v8
	v_cndmask_b32_e32 v19, 0, v19, vcc
	v_cmp_eq_u32_e32 vcc, 0, v8
	v_cndmask_b32_e32 v19, v19, v16, vcc
	v_add_u32_e32 v9, 0xffffff81, v8
	v_or_b32_e32 v20, 0x800000, v0
	v_add_u32_e32 v8, 20, v19
	v_cndmask_b32_e32 v21, v9, v15, vcc
	v_cndmask_b32_e32 v0, v20, v0, vcc
	v_lshlrev_b64 v[8:9], v8, -1
	v_not_b32_e32 v8, v8
	v_lshrrev_b64 v[24:25], v19, v[0:1]
	v_not_b32_e32 v9, v9
	v_and_b32_e32 v8, v0, v8
	v_add_u32_e32 v20, 19, v19
	v_lshrrev_b32_e32 v0, 23, v24
	v_and_b32_e32 v9, 0, v9
	v_lshlrev_b64 v[22:23], v20, 1
	v_add3_u32 v20, v19, v21, v0
	v_bfe_u32 v0, v24, 20, 1
	v_add_u32_e32 v0, -1, v0
	v_cmp_eq_u64_e32 vcc, v[8:9], v[22:23]
	v_cndmask_b32_e32 v0, 0, v0, vcc
	v_add_u32_e32 v0, v0, v24
	v_and_b32_e32 v0, 0xfffff, v0
	v_add_co_u32_e32 v8, vcc, v0, v24
	v_add_u32_e32 v19, 6, v20
	v_addc_co_u32_e32 v9, vcc, 0, v25, vcc
	v_cmp_ne_u32_e32 vcc, 0, v19
                                        ; implicit-def: $vgpr0
	s_and_saveexec_b64 s[0:1], vcc
	s_xor_b64 s[0:1], exec, s[0:1]
; %bb.14:                               ;   in Loop: Header=BB66_10 Depth=1
	v_add_u32_e32 v0, 7, v20
	v_cmp_lt_u64_e32 vcc, s[36:37], v[8:9]
	v_cndmask_b32_e32 v0, v19, v0, vcc
	v_cndmask_b32_e64 v19, 0, 1, vcc
	v_lshrrev_b64 v[8:9], v19, v[8:9]
; %bb.15:                               ;   in Loop: Header=BB66_10 Depth=1
	s_andn2_saveexec_b64 s[0:1], s[0:1]
; %bb.16:                               ;   in Loop: Header=BB66_10 Depth=1
	v_bfe_u32 v0, v8, 23, 1
; %bb.17:                               ;   in Loop: Header=BB66_10 Depth=1
	s_or_b64 exec, exec, s[0:1]
	v_lshrrev_b64 v[8:9], 20, v[8:9]
	v_cmp_gt_i32_e32 vcc, 16, v0
	v_cndmask_b32_e32 v9, 0, v9, vcc
	v_cndmask_b32_e32 v8, 7, v8, vcc
	v_cmp_ne_u32_e32 vcc, 0, v0
	v_cmp_ne_u64_e64 s[0:1], 0, v[8:9]
	s_or_b64 s[0:1], vcc, s[0:1]
                                        ; implicit-def: $vgpr9
	s_and_saveexec_b64 s[60:61], s[0:1]
	s_xor_b64 s[0:1], exec, s[60:61]
; %bb.18:                               ;   in Loop: Header=BB66_10 Depth=1
	v_min_i32_e32 v0, 15, v0
	v_lshl_or_b32 v0, v0, 3, v18
	v_and_or_b32 v9, v8, 7, v0
                                        ; implicit-def: $vgpr18
; %bb.19:                               ;   in Loop: Header=BB66_10 Depth=1
	s_andn2_saveexec_b64 s[0:1], s[0:1]
; %bb.20:                               ;   in Loop: Header=BB66_10 Depth=1
	v_mov_b32_e32 v9, v18
; %bb.21:                               ;   in Loop: Header=BB66_10 Depth=1
	s_or_b64 exec, exec, s[0:1]
.LBB66_22:                              ;   in Loop: Header=BB66_10 Depth=1
	s_or_b64 exec, exec, s[44:45]
.LBB66_23:                              ;   in Loop: Header=BB66_10 Depth=1
	s_andn2_saveexec_b64 s[0:1], s[42:43]
	s_or_b64 exec, exec, s[0:1]
                                        ; implicit-def: $vgpr8
.LBB66_24:                              ;   in Loop: Header=BB66_10 Depth=1
	s_andn2_saveexec_b64 s[0:1], s[40:41]
; %bb.25:                               ;   in Loop: Header=BB66_10 Depth=1
	v_or_b32_sdwa v8, v8, s59 dst_sel:DWORD dst_unused:UNUSED_PAD src0_sel:BYTE_3 src1_sel:DWORD
	v_cmp_eq_u64_e32 vcc, 0, v[0:1]
	v_cndmask_b32_e32 v9, v8, v9, vcc
; %bb.26:                               ;   in Loop: Header=BB66_10 Depth=1
	s_or_b64 exec, exec, s[0:1]
	s_waitcnt lgkmcnt(0)
	v_div_scale_f32 v8, s[0:1], s51, s51, v17
	v_rcp_f32_e32 v20, v8
	v_mov_b32_e32 v0, s50
	v_add_co_u32_e32 v18, vcc, s49, v2
	v_addc_co_u32_e32 v19, vcc, 0, v0, vcc
	v_fma_f32 v0, -v8, v20, 1.0
	v_fmac_f32_e32 v20, v0, v20
	v_div_scale_f32 v0, vcc, v17, s51, v17
	global_store_byte v[18:19], v9, off
	v_mul_f32_e32 v9, v0, v20
	v_fma_f32 v18, -v8, v9, v0
	v_fmac_f32_e32 v9, v18, v20
	v_fma_f32 v0, -v8, v9, v0
	v_div_fmas_f32 v0, v0, v20, v9
	v_div_fixup_f32 v8, v0, s51, v17
	v_and_b32_sdwa v17, v8, s31 dst_sel:DWORD dst_unused:UNUSED_PAD src0_sel:BYTE_3 src1_sel:DWORD
	v_and_b32_e32 v18, 0x7f800000, v8
	v_mov_b32_e32 v19, v1
	v_and_b32_e32 v0, 0x7fffff, v8
	v_or_b32_e32 v9, 0x7e, v17
	v_cmp_ne_u64_e32 vcc, s[20:21], v[18:19]
	s_and_saveexec_b64 s[0:1], vcc
	s_xor_b64 s[40:41], exec, s[0:1]
	s_cbranch_execz .LBB66_40
; %bb.27:                               ;   in Loop: Header=BB66_10 Depth=1
	v_and_b32_e32 v18, 0x7fffffff, v8
	v_mov_b32_e32 v19, v1
	v_cmp_gt_u64_e32 vcc, s[34:35], v[18:19]
	s_and_saveexec_b64 s[0:1], vcc
	s_xor_b64 s[42:43], exec, s[0:1]
	s_cbranch_execz .LBB66_39
; %bb.28:                               ;   in Loop: Header=BB66_10 Depth=1
	v_cmp_ne_u32_e32 vcc, 0, v8
	v_mov_b32_e32 v9, 0
	s_and_saveexec_b64 s[44:45], vcc
	s_cbranch_execz .LBB66_38
; %bb.29:                               ;   in Loop: Header=BB66_10 Depth=1
	v_bfe_u32 v8, v8, 23, 8
	v_sub_u32_e32 v18, 0x79, v8
	v_cmp_gt_u32_e32 vcc, s58, v8
	v_cndmask_b32_e32 v18, 0, v18, vcc
	v_cmp_eq_u32_e32 vcc, 0, v8
	v_cndmask_b32_e32 v18, v18, v16, vcc
	v_add_u32_e32 v9, 0xffffff81, v8
	v_or_b32_e32 v19, 0x800000, v0
	v_add_u32_e32 v8, 20, v18
	v_cndmask_b32_e32 v24, v9, v15, vcc
	v_cndmask_b32_e32 v0, v19, v0, vcc
	v_lshlrev_b64 v[8:9], v8, -1
	v_not_b32_e32 v8, v8
	v_lshrrev_b64 v[22:23], v18, v[0:1]
	v_not_b32_e32 v9, v9
	v_and_b32_e32 v8, v0, v8
	v_add_u32_e32 v19, 19, v18
	v_lshrrev_b32_e32 v0, 23, v22
	v_and_b32_e32 v9, 0, v9
	v_lshlrev_b64 v[20:21], v19, 1
	v_add3_u32 v19, v18, v24, v0
	v_bfe_u32 v0, v22, 20, 1
	v_add_u32_e32 v0, -1, v0
	v_cmp_eq_u64_e32 vcc, v[8:9], v[20:21]
	v_cndmask_b32_e32 v0, 0, v0, vcc
	v_add_u32_e32 v0, v0, v22
	v_and_b32_e32 v0, 0xfffff, v0
	v_add_co_u32_e32 v8, vcc, v0, v22
	v_add_u32_e32 v18, 6, v19
	v_addc_co_u32_e32 v9, vcc, 0, v23, vcc
	v_cmp_ne_u32_e32 vcc, 0, v18
                                        ; implicit-def: $vgpr0
	s_and_saveexec_b64 s[0:1], vcc
	s_xor_b64 s[0:1], exec, s[0:1]
; %bb.30:                               ;   in Loop: Header=BB66_10 Depth=1
	v_add_u32_e32 v0, 7, v19
	v_cmp_lt_u64_e32 vcc, s[36:37], v[8:9]
	v_cndmask_b32_e32 v0, v18, v0, vcc
	v_cndmask_b32_e64 v18, 0, 1, vcc
	v_lshrrev_b64 v[8:9], v18, v[8:9]
; %bb.31:                               ;   in Loop: Header=BB66_10 Depth=1
	s_andn2_saveexec_b64 s[0:1], s[0:1]
; %bb.32:                               ;   in Loop: Header=BB66_10 Depth=1
	v_bfe_u32 v0, v8, 23, 1
; %bb.33:                               ;   in Loop: Header=BB66_10 Depth=1
	s_or_b64 exec, exec, s[0:1]
	v_lshrrev_b64 v[8:9], 20, v[8:9]
	v_cmp_gt_i32_e32 vcc, 16, v0
	v_cndmask_b32_e32 v9, 0, v9, vcc
	v_cndmask_b32_e32 v8, 7, v8, vcc
	v_cmp_ne_u32_e32 vcc, 0, v0
	v_cmp_ne_u64_e64 s[0:1], 0, v[8:9]
	s_or_b64 s[0:1], vcc, s[0:1]
                                        ; implicit-def: $vgpr9
	s_and_saveexec_b64 s[60:61], s[0:1]
	s_xor_b64 s[0:1], exec, s[60:61]
; %bb.34:                               ;   in Loop: Header=BB66_10 Depth=1
	v_min_i32_e32 v0, 15, v0
	v_lshl_or_b32 v0, v0, 3, v17
	v_and_or_b32 v9, v8, 7, v0
                                        ; implicit-def: $vgpr17
; %bb.35:                               ;   in Loop: Header=BB66_10 Depth=1
	s_andn2_saveexec_b64 s[0:1], s[0:1]
; %bb.36:                               ;   in Loop: Header=BB66_10 Depth=1
	v_mov_b32_e32 v9, v17
; %bb.37:                               ;   in Loop: Header=BB66_10 Depth=1
	s_or_b64 exec, exec, s[0:1]
.LBB66_38:                              ;   in Loop: Header=BB66_10 Depth=1
	s_or_b64 exec, exec, s[44:45]
.LBB66_39:                              ;   in Loop: Header=BB66_10 Depth=1
	s_andn2_saveexec_b64 s[0:1], s[42:43]
	s_or_b64 exec, exec, s[0:1]
                                        ; implicit-def: $vgpr8
.LBB66_40:                              ;   in Loop: Header=BB66_10 Depth=1
	s_andn2_saveexec_b64 s[0:1], s[40:41]
	s_cbranch_execz .LBB66_9
; %bb.41:                               ;   in Loop: Header=BB66_10 Depth=1
	v_or_b32_sdwa v8, v8, s59 dst_sel:DWORD dst_unused:UNUSED_PAD src0_sel:BYTE_3 src1_sel:DWORD
	v_cmp_eq_u64_e32 vcc, 0, v[0:1]
	v_cndmask_b32_e32 v9, v8, v9, vcc
	s_branch .LBB66_9
.LBB66_42:
	s_or_b64 exec, exec, s[28:29]
	v_cmp_gt_i32_e32 vcc, s14, v2
	s_and_saveexec_b64 s[0:1], vcc
	s_cbranch_execz .LBB66_61
; %bb.43:
	s_mul_i32 s0, s8, s19
	s_mul_hi_u32 s1, s8, s18
	s_add_i32 s1, s1, s0
	s_mul_i32 s0, s8, s18
	s_lshl_b64 s[0:1], s[0:1], 1
	s_add_u32 s18, s22, s0
	s_addc_u32 s0, s23, s1
	s_ashr_i32 s1, s12, 31
	s_mul_i32 s1, s2, s1
	s_add_i32 s1, s46, s1
	s_add_i32 s1, s1, s47
	s_add_u32 s2, s24, s48
	s_addc_u32 s1, s25, s1
	s_ashr_i32 s4, s13, 31
	s_load_dword s5, s[6:7], 0x8c
	s_mul_i32 s9, s9, s4
	s_waitcnt lgkmcnt(0)
	s_load_dword s20, s[10:11], 0x0
	s_add_i32 s4, s33, s9
	s_add_i32 s4, s4, s3
	s_add_u32 s15, s2, s15
	s_addc_u32 s19, s1, s4
	s_and_b32 s21, s5, 0xffff
	s_mov_b64 s[2:3], 0
	v_mov_b32_e32 v6, s0
	v_mov_b32_e32 v1, 0
	s_movk_i32 s22, 0x80
	s_mov_b64 s[4:5], 0x7f800000
	s_mov_b64 s[6:7], 0x43e00001
	s_movk_i32 s23, 0x7a
	s_mov_b64 s[8:9], 0xffffff
	s_movk_i32 s24, 0x7f
	v_mov_b32_e32 v7, 0xffffff82
	v_mov_b32_e32 v8, 0x78
	s_branch .LBB66_45
.LBB66_44:                              ;   in Loop: Header=BB66_45 Depth=1
	s_or_b64 exec, exec, s[0:1]
	v_mov_b32_e32 v0, s19
	v_add_co_u32_e32 v10, vcc, s15, v2
	v_addc_co_u32_e32 v11, vcc, v0, v3, vcc
	v_add_u32_e32 v2, s21, v2
	v_cmp_le_i32_e32 vcc, s14, v2
	s_or_b64 s[2:3], vcc, s[2:3]
	global_store_byte v[10:11], v5, off
	s_andn2_b64 exec, exec, s[2:3]
	s_cbranch_execz .LBB66_61
.LBB66_45:                              ; =>This Inner Loop Header: Depth=1
	v_ashrrev_i32_e32 v3, 31, v2
	v_lshlrev_b64 v[4:5], 1, v[2:3]
	v_add_co_u32_e32 v4, vcc, s18, v4
	v_addc_co_u32_e32 v5, vcc, v6, v5, vcc
	global_load_dword v0, v[4:5], off
	v_mov_b32_e32 v11, v1
	s_waitcnt vmcnt(0) lgkmcnt(0)
	v_div_scale_f32 v4, s[0:1], s20, s20, v0
	v_rcp_f32_e32 v5, v4
	v_div_scale_f32 v9, vcc, v0, s20, v0
	v_fma_f32 v10, -v4, v5, 1.0
	v_fmac_f32_e32 v5, v10, v5
	v_mul_f32_e32 v10, v9, v5
	v_fma_f32 v12, -v4, v10, v9
	v_fmac_f32_e32 v10, v12, v5
	v_fma_f32 v4, -v4, v10, v9
	v_div_fmas_f32 v4, v4, v5, v10
	v_div_fixup_f32 v4, v4, s20, v0
	v_and_b32_sdwa v9, v4, s22 dst_sel:DWORD dst_unused:UNUSED_PAD src0_sel:BYTE_3 src1_sel:DWORD
	v_and_b32_e32 v10, 0x7f800000, v4
	v_and_b32_e32 v0, 0x7fffff, v4
	v_or_b32_e32 v5, 0x7e, v9
	v_cmp_ne_u64_e32 vcc, s[4:5], v[10:11]
	s_and_saveexec_b64 s[0:1], vcc
	s_xor_b64 s[10:11], exec, s[0:1]
	s_cbranch_execz .LBB66_59
; %bb.46:                               ;   in Loop: Header=BB66_45 Depth=1
	v_and_b32_e32 v10, 0x7fffffff, v4
	v_mov_b32_e32 v11, v1
	v_cmp_gt_u64_e32 vcc, s[6:7], v[10:11]
	s_and_saveexec_b64 s[0:1], vcc
	s_xor_b64 s[12:13], exec, s[0:1]
	s_cbranch_execz .LBB66_58
; %bb.47:                               ;   in Loop: Header=BB66_45 Depth=1
	v_cmp_ne_u32_e32 vcc, 0, v4
	v_mov_b32_e32 v5, 0
	s_and_saveexec_b64 s[16:17], vcc
	s_cbranch_execz .LBB66_57
; %bb.48:                               ;   in Loop: Header=BB66_45 Depth=1
	v_bfe_u32 v4, v4, 23, 8
	v_sub_u32_e32 v10, 0x79, v4
	v_cmp_gt_u32_e32 vcc, s23, v4
	v_cndmask_b32_e32 v10, 0, v10, vcc
	v_cmp_eq_u32_e32 vcc, 0, v4
	v_cndmask_b32_e32 v10, v10, v8, vcc
	v_add_u32_e32 v5, 0xffffff81, v4
	v_or_b32_e32 v11, 0x800000, v0
	v_add_u32_e32 v4, 20, v10
	v_cndmask_b32_e32 v16, v5, v7, vcc
	v_cndmask_b32_e32 v0, v11, v0, vcc
	v_lshlrev_b64 v[4:5], v4, -1
	v_not_b32_e32 v4, v4
	v_lshrrev_b64 v[14:15], v10, v[0:1]
	v_not_b32_e32 v5, v5
	v_and_b32_e32 v4, v0, v4
	v_add_u32_e32 v11, 19, v10
	v_lshrrev_b32_e32 v0, 23, v14
	v_and_b32_e32 v5, 0, v5
	v_lshlrev_b64 v[12:13], v11, 1
	v_add3_u32 v11, v10, v16, v0
	v_bfe_u32 v0, v14, 20, 1
	v_add_u32_e32 v0, -1, v0
	v_cmp_eq_u64_e32 vcc, v[4:5], v[12:13]
	v_cndmask_b32_e32 v0, 0, v0, vcc
	v_add_u32_e32 v0, v0, v14
	v_and_b32_e32 v0, 0xfffff, v0
	v_add_co_u32_e32 v4, vcc, v0, v14
	v_add_u32_e32 v10, 6, v11
	v_addc_co_u32_e32 v5, vcc, 0, v15, vcc
	v_cmp_ne_u32_e32 vcc, 0, v10
                                        ; implicit-def: $vgpr0
	s_and_saveexec_b64 s[0:1], vcc
	s_xor_b64 s[0:1], exec, s[0:1]
; %bb.49:                               ;   in Loop: Header=BB66_45 Depth=1
	v_add_u32_e32 v0, 7, v11
	v_cmp_lt_u64_e32 vcc, s[8:9], v[4:5]
	v_cndmask_b32_e32 v0, v10, v0, vcc
	v_cndmask_b32_e64 v10, 0, 1, vcc
	v_lshrrev_b64 v[4:5], v10, v[4:5]
; %bb.50:                               ;   in Loop: Header=BB66_45 Depth=1
	s_andn2_saveexec_b64 s[0:1], s[0:1]
; %bb.51:                               ;   in Loop: Header=BB66_45 Depth=1
	v_bfe_u32 v0, v4, 23, 1
; %bb.52:                               ;   in Loop: Header=BB66_45 Depth=1
	s_or_b64 exec, exec, s[0:1]
	v_lshrrev_b64 v[4:5], 20, v[4:5]
	v_cmp_gt_i32_e32 vcc, 16, v0
	v_cndmask_b32_e32 v5, 0, v5, vcc
	v_cndmask_b32_e32 v4, 7, v4, vcc
	v_cmp_ne_u32_e32 vcc, 0, v0
	v_cmp_ne_u64_e64 s[0:1], 0, v[4:5]
	s_or_b64 s[0:1], vcc, s[0:1]
                                        ; implicit-def: $vgpr5
	s_and_saveexec_b64 s[26:27], s[0:1]
	s_xor_b64 s[0:1], exec, s[26:27]
; %bb.53:                               ;   in Loop: Header=BB66_45 Depth=1
	v_min_i32_e32 v0, 15, v0
	v_lshl_or_b32 v0, v0, 3, v9
	v_and_or_b32 v5, v4, 7, v0
                                        ; implicit-def: $vgpr9
; %bb.54:                               ;   in Loop: Header=BB66_45 Depth=1
	s_andn2_saveexec_b64 s[0:1], s[0:1]
; %bb.55:                               ;   in Loop: Header=BB66_45 Depth=1
	v_mov_b32_e32 v5, v9
; %bb.56:                               ;   in Loop: Header=BB66_45 Depth=1
	s_or_b64 exec, exec, s[0:1]
.LBB66_57:                              ;   in Loop: Header=BB66_45 Depth=1
	s_or_b64 exec, exec, s[16:17]
.LBB66_58:                              ;   in Loop: Header=BB66_45 Depth=1
	s_andn2_saveexec_b64 s[0:1], s[12:13]
	s_or_b64 exec, exec, s[0:1]
                                        ; implicit-def: $vgpr4
.LBB66_59:                              ;   in Loop: Header=BB66_45 Depth=1
	s_andn2_saveexec_b64 s[0:1], s[10:11]
	s_cbranch_execz .LBB66_44
; %bb.60:                               ;   in Loop: Header=BB66_45 Depth=1
	v_or_b32_sdwa v4, v4, s24 dst_sel:DWORD dst_unused:UNUSED_PAD src0_sel:BYTE_3 src1_sel:DWORD
	v_cmp_eq_u64_e32 vcc, 0, v[0:1]
	v_cndmask_b32_e32 v5, v4, v5, vcc
	s_branch .LBB66_44
.LBB66_61:
	s_endpgm
.LBB66_62:
                                        ; implicit-def: $sgpr2_sgpr3
	s_branch .LBB66_6
	.section	.rodata,"a",@progbits
	.p2align	6, 0x0
	.amdhsa_kernel _ZN4vllm38concat_and_cache_mla_rope_fused_kernelIN3c108BFloat16EfLb1EfhLNS_18Fp8KVCacheDataTypeE1EEEvPKlPT_S7_PKS6_PKT0_illlliPT3_S5_iiiiPKf
		.amdhsa_group_segment_fixed_size 4096
		.amdhsa_private_segment_fixed_size 0
		.amdhsa_kernarg_size 384
		.amdhsa_user_sgpr_count 8
		.amdhsa_user_sgpr_private_segment_buffer 1
		.amdhsa_user_sgpr_dispatch_ptr 1
		.amdhsa_user_sgpr_queue_ptr 0
		.amdhsa_user_sgpr_kernarg_segment_ptr 1
		.amdhsa_user_sgpr_dispatch_id 0
		.amdhsa_user_sgpr_flat_scratch_init 0
		.amdhsa_user_sgpr_kernarg_preload_length 0
		.amdhsa_user_sgpr_kernarg_preload_offset 0
		.amdhsa_user_sgpr_private_segment_size 0
		.amdhsa_uses_dynamic_stack 0
		.amdhsa_system_sgpr_private_segment_wavefront_offset 0
		.amdhsa_system_sgpr_workgroup_id_x 1
		.amdhsa_system_sgpr_workgroup_id_y 0
		.amdhsa_system_sgpr_workgroup_id_z 0
		.amdhsa_system_sgpr_workgroup_info 0
		.amdhsa_system_vgpr_workitem_id 2
		.amdhsa_next_free_vgpr 26
		.amdhsa_next_free_sgpr 62
		.amdhsa_accum_offset 28
		.amdhsa_reserve_vcc 1
		.amdhsa_reserve_flat_scratch 0
		.amdhsa_float_round_mode_32 0
		.amdhsa_float_round_mode_16_64 0
		.amdhsa_float_denorm_mode_32 3
		.amdhsa_float_denorm_mode_16_64 3
		.amdhsa_dx10_clamp 1
		.amdhsa_ieee_mode 1
		.amdhsa_fp16_overflow 0
		.amdhsa_tg_split 0
		.amdhsa_exception_fp_ieee_invalid_op 0
		.amdhsa_exception_fp_denorm_src 0
		.amdhsa_exception_fp_ieee_div_zero 0
		.amdhsa_exception_fp_ieee_overflow 0
		.amdhsa_exception_fp_ieee_underflow 0
		.amdhsa_exception_fp_ieee_inexact 0
		.amdhsa_exception_int_div_zero 0
	.end_amdhsa_kernel
	.section	.text._ZN4vllm38concat_and_cache_mla_rope_fused_kernelIN3c108BFloat16EfLb1EfhLNS_18Fp8KVCacheDataTypeE1EEEvPKlPT_S7_PKS6_PKT0_illlliPT3_S5_iiiiPKf,"axG",@progbits,_ZN4vllm38concat_and_cache_mla_rope_fused_kernelIN3c108BFloat16EfLb1EfhLNS_18Fp8KVCacheDataTypeE1EEEvPKlPT_S7_PKS6_PKT0_illlliPT3_S5_iiiiPKf,comdat
.Lfunc_end66:
	.size	_ZN4vllm38concat_and_cache_mla_rope_fused_kernelIN3c108BFloat16EfLb1EfhLNS_18Fp8KVCacheDataTypeE1EEEvPKlPT_S7_PKS6_PKT0_illlliPT3_S5_iiiiPKf, .Lfunc_end66-_ZN4vllm38concat_and_cache_mla_rope_fused_kernelIN3c108BFloat16EfLb1EfhLNS_18Fp8KVCacheDataTypeE1EEEvPKlPT_S7_PKS6_PKT0_illlliPT3_S5_iiiiPKf
                                        ; -- End function
	.section	.AMDGPU.csdata,"",@progbits
; Kernel info:
; codeLenInByte = 4388
; NumSgprs: 66
; NumVgprs: 26
; NumAgprs: 0
; TotalNumVgprs: 26
; ScratchSize: 0
; MemoryBound: 0
; FloatMode: 240
; IeeeMode: 1
; LDSByteSize: 4096 bytes/workgroup (compile time only)
; SGPRBlocks: 8
; VGPRBlocks: 3
; NumSGPRsForWavesPerEU: 66
; NumVGPRsForWavesPerEU: 26
; AccumOffset: 28
; Occupancy: 8
; WaveLimiterHint : 1
; COMPUTE_PGM_RSRC2:SCRATCH_EN: 0
; COMPUTE_PGM_RSRC2:USER_SGPR: 8
; COMPUTE_PGM_RSRC2:TRAP_HANDLER: 0
; COMPUTE_PGM_RSRC2:TGID_X_EN: 1
; COMPUTE_PGM_RSRC2:TGID_Y_EN: 0
; COMPUTE_PGM_RSRC2:TGID_Z_EN: 0
; COMPUTE_PGM_RSRC2:TIDIG_COMP_CNT: 2
; COMPUTE_PGM_RSRC3_GFX90A:ACCUM_OFFSET: 6
; COMPUTE_PGM_RSRC3_GFX90A:TG_SPLIT: 0
	.section	.text._ZN4vllm38concat_and_cache_mla_rope_fused_kernelIN3c108BFloat16EfLb0EfhLNS_18Fp8KVCacheDataTypeE1EEEvPKlPT_S7_PKS6_PKT0_illlliPT3_S5_iiiiPKf,"axG",@progbits,_ZN4vllm38concat_and_cache_mla_rope_fused_kernelIN3c108BFloat16EfLb0EfhLNS_18Fp8KVCacheDataTypeE1EEEvPKlPT_S7_PKS6_PKT0_illlliPT3_S5_iiiiPKf,comdat
	.protected	_ZN4vllm38concat_and_cache_mla_rope_fused_kernelIN3c108BFloat16EfLb0EfhLNS_18Fp8KVCacheDataTypeE1EEEvPKlPT_S7_PKS6_PKT0_illlliPT3_S5_iiiiPKf ; -- Begin function _ZN4vllm38concat_and_cache_mla_rope_fused_kernelIN3c108BFloat16EfLb0EfhLNS_18Fp8KVCacheDataTypeE1EEEvPKlPT_S7_PKS6_PKT0_illlliPT3_S5_iiiiPKf
	.globl	_ZN4vllm38concat_and_cache_mla_rope_fused_kernelIN3c108BFloat16EfLb0EfhLNS_18Fp8KVCacheDataTypeE1EEEvPKlPT_S7_PKS6_PKT0_illlliPT3_S5_iiiiPKf
	.p2align	8
	.type	_ZN4vllm38concat_and_cache_mla_rope_fused_kernelIN3c108BFloat16EfLb0EfhLNS_18Fp8KVCacheDataTypeE1EEEvPKlPT_S7_PKS6_PKT0_illlliPT3_S5_iiiiPKf,@function
_ZN4vllm38concat_and_cache_mla_rope_fused_kernelIN3c108BFloat16EfLb0EfhLNS_18Fp8KVCacheDataTypeE1EEEvPKlPT_S7_PKS6_PKT0_illlliPT3_S5_iiiiPKf: ; @_ZN4vllm38concat_and_cache_mla_rope_fused_kernelIN3c108BFloat16EfLb0EfhLNS_18Fp8KVCacheDataTypeE1EEEvPKlPT_S7_PKS6_PKT0_illlliPT3_S5_iiiiPKf
; %bb.0:
	s_load_dwordx2 s[2:3], s[6:7], 0x60
	s_mov_b32 s9, 0
	s_lshl_b64 s[0:1], s[8:9], 3
	s_waitcnt lgkmcnt(0)
	s_add_u32 s2, s2, s0
	s_addc_u32 s3, s3, s1
	s_load_dwordx2 s[28:29], s[2:3], 0x0
	s_waitcnt lgkmcnt(0)
	v_cmp_lt_i64_e64 s[2:3], s[28:29], 0
	s_and_b64 vcc, exec, s[2:3]
	s_cbranch_vccnz .LBB67_61
; %bb.1:
	s_load_dword s9, s[6:7], 0x28
	s_load_dwordx2 s[2:3], s[6:7], 0x0
	s_load_dwordx2 s[30:31], s[6:7], 0x20
	s_load_dwordx4 s[20:23], s[6:7], 0x10
	v_and_b32_e32 v2, 0x3ff, v0
	s_waitcnt lgkmcnt(0)
	s_ashr_i32 s24, s9, 31
	s_add_u32 s0, s2, s0
	s_addc_u32 s1, s3, s1
	s_load_dwordx2 s[10:11], s[0:1], 0x0
	s_load_dwordx8 s[12:19], s[6:7], 0x30
	s_load_dwordx2 s[2:3], s[6:7], 0x58
	s_load_dword s25, s[6:7], 0x50
	v_lshlrev_b32_e32 v1, 1, v2
	s_waitcnt lgkmcnt(0)
	s_mul_i32 s0, s10, s24
	s_mul_hi_u32 s1, s10, s9
	s_add_i32 s0, s1, s0
	s_mul_i32 s1, s11, s9
	s_add_i32 s35, s0, s1
	s_lshr_b32 s0, s9, 31
	s_mul_i32 s34, s10, s9
	s_add_i32 s9, s9, s0
	s_ashr_i32 s10, s9, 1
	s_mul_i32 s9, s10, s25
	v_cmp_gt_i32_e32 vcc, s9, v2
	s_and_saveexec_b64 s[24:25], vcc
	s_cbranch_execz .LBB67_4
; %bb.2:
	s_lshl_b64 s[0:1], s[34:35], 2
	s_add_u32 s33, s30, s0
	s_addc_u32 s26, s31, s1
	s_load_dwordx2 s[0:1], s[6:7], 0x8
	s_mul_i32 s13, s8, s13
	s_mul_hi_u32 s27, s8, s12
	s_add_i32 s13, s27, s13
	s_load_dword s27, s[6:7], 0x8c
	s_mul_i32 s12, s8, s12
	s_ashr_i32 s11, s10, 31
	s_lshl_b64 s[12:13], s[12:13], 1
	s_waitcnt lgkmcnt(0)
	s_add_u32 s36, s0, s12
	s_addc_u32 s0, s1, s13
	s_abs_i32 s37, s10
	v_cvt_f32_u32_e32 v3, s37
	s_sub_i32 s1, 0, s37
	s_and_b32 s38, s27, 0xffff
	v_mov_b32_e32 v5, s26
	v_rcp_iflag_f32_e32 v3, v3
	s_lshl_b64 s[26:27], s[10:11], 2
	s_sub_i32 s39, 0, s10
	s_lshl_b32 s41, s38, 1
	v_mul_f32_e32 v3, 0x4f7ffffe, v3
	v_cvt_u32_f32_e32 v3, v3
	s_mov_b64 s[12:13], 0
	s_movk_i32 s42, 0x7fff
	v_mov_b32_e32 v7, s27
	v_mul_lo_u32 v4, s1, v3
	v_mul_hi_u32 v4, v3, v4
	s_lshl_b32 s1, s10, 1
	v_add_u32_e32 v3, v3, v4
	s_sub_i32 s40, 0, s1
	v_mov_b32_e32 v8, s0
	v_mov_b32_e32 v9, 0x7fc00000
	;; [unrolled: 1-line block ×3, first 2 shown]
	s_mov_b32 s27, 0x5040100
	v_mov_b32_e32 v4, v1
	v_mov_b32_e32 v6, v2
.LBB67_3:                               ; =>This Inner Loop Header: Depth=1
	v_sub_u32_e32 v12, 0, v6
	v_max_i32_e32 v12, v6, v12
	v_mul_hi_u32 v13, v12, v3
	v_mul_lo_u32 v14, v13, s37
	v_sub_u32_e32 v12, v12, v14
	v_add_u32_e32 v15, 1, v13
	v_cmp_le_u32_e32 vcc, s37, v12
	v_subrev_u32_e32 v14, s37, v12
	v_cndmask_b32_e32 v13, v13, v15, vcc
	v_cndmask_b32_e32 v12, v12, v14, vcc
	v_ashrrev_i32_e32 v11, 31, v6
	v_add_u32_e32 v14, 1, v13
	v_cmp_le_u32_e32 vcc, s37, v12
	v_xor_b32_e32 v11, s11, v11
	v_cndmask_b32_e32 v12, v13, v14, vcc
	v_xor_b32_e32 v12, v12, v11
	v_sub_u32_e32 v11, v12, v11
	v_mad_u64_u32 v[12:13], s[0:1], s39, v11, v[6:7]
	v_ashrrev_i32_e32 v13, 31, v12
	v_lshlrev_b64 v[12:13], 2, v[12:13]
	v_ashrrev_i32_e32 v18, 31, v11
	v_add_co_u32_e32 v12, vcc, s33, v12
	v_mul_lo_u32 v19, v11, s15
	v_mad_u64_u32 v[14:15], s[0:1], v11, s14, 0
	v_mad_u64_u32 v[16:17], s[0:1], s40, v11, v[4:5]
	v_mul_lo_u32 v11, v18, s14
	v_addc_co_u32_e32 v13, vcc, v5, v13, vcc
	v_add3_u32 v15, v15, v19, v11
	v_add_co_u32_e32 v18, vcc, s26, v12
	v_lshlrev_b64 v[14:15], 1, v[14:15]
	v_addc_co_u32_e32 v19, vcc, v13, v7, vcc
	v_ashrrev_i32_e32 v17, 31, v16
	v_add_co_u32_e32 v11, vcc, s36, v14
	v_lshlrev_b64 v[16:17], 1, v[16:17]
	v_addc_co_u32_e32 v14, vcc, v8, v15, vcc
	global_load_dword v20, v[12:13], off
	global_load_dword v21, v[18:19], off
	v_add_co_u32_e32 v12, vcc, v11, v16
	v_addc_co_u32_e32 v13, vcc, v14, v17, vcc
	global_load_dword v11, v[12:13], off
	v_add_u32_e32 v6, s38, v6
	v_cmp_le_i32_e32 vcc, s9, v6
	s_or_b64 s[12:13], vcc, s[12:13]
	v_add_u32_e32 v4, s41, v4
	s_waitcnt vmcnt(2)
	v_bfe_u32 v14, v20, 16, 1
	v_add3_u32 v14, v20, v14, s42
	s_waitcnt vmcnt(1)
	v_bfe_u32 v15, v21, 16, 1
	v_and_b32_e32 v16, 0xffff0000, v14
	v_cmp_o_f32_e32 vcc, v20, v20
	v_add3_u32 v17, v21, v15, s42
	s_waitcnt vmcnt(0)
	v_and_b32_e32 v15, 0xffff0000, v11
	v_lshlrev_b32_e32 v14, 16, v11
	v_cndmask_b32_e32 v16, v9, v16, vcc
	v_and_b32_e32 v11, 0xffff0000, v17
	v_cmp_o_f32_e32 vcc, v21, v21
	v_pk_mul_f32 v[16:17], v[16:17], v[14:15] op_sel_hi:[0,1]
	v_cndmask_b32_e32 v18, v9, v11, vcc
	v_bfe_u32 v19, v17, 16, 1
	v_bfe_u32 v11, v16, 16, 1
	v_pk_mul_f32 v[14:15], v[18:19], v[14:15] op_sel_hi:[0,1]
	v_add3_u32 v18, v17, v19, s42
	v_add3_u32 v11, v16, v11, s42
	v_bfe_u32 v19, v15, 16, 1
	v_bfe_u32 v20, v14, 16, 1
	v_and_b32_e32 v11, 0xffff0000, v11
	v_and_b32_e32 v18, 0xffff0000, v18
	v_add3_u32 v20, v14, v20, s42
	v_add3_u32 v19, v15, v19, s42
	v_cmp_o_f32_e32 vcc, v16, v16
	v_cmp_o_f32_e64 s[0:1], v17, v17
	v_and_b32_e32 v19, 0xffff0000, v19
	v_and_b32_e32 v20, 0xffff0000, v20
	v_cndmask_b32_e64 v17, v9, v18, s[0:1]
	v_cndmask_b32_e32 v16, v9, v11, vcc
	v_cmp_o_f32_e32 vcc, v15, v15
	v_cmp_o_f32_e64 s[0:1], v14, v14
	v_cndmask_b32_e64 v15, v9, v20, s[0:1]
	v_cndmask_b32_e32 v14, v9, v19, vcc
	v_pk_add_f32 v[18:19], v[16:17], v[14:15] neg_lo:[0,1] neg_hi:[0,1]
	v_pk_add_f32 v[14:15], v[16:17], v[14:15]
	v_bfe_u32 v11, v18, 16, 1
	v_bfe_u32 v14, v15, 16, 1
	v_add3_u32 v14, v15, v14, s42
	v_add3_u32 v11, v18, v11, s42
	v_lshrrev_b32_e32 v11, 16, v11
	v_lshrrev_b32_e32 v14, 16, v14
	v_cmp_o_f32_e32 vcc, v15, v15
	v_cmp_o_f32_e64 s[0:1], v18, v18
	v_cndmask_b32_e64 v11, v10, v11, s[0:1]
	v_cndmask_b32_e32 v14, v10, v14, vcc
	v_perm_b32 v11, v14, v11, s27
	global_store_dword v[12:13], v11, off
	s_andn2_b64 exec, exec, s[12:13]
	s_cbranch_execnz .LBB67_3
.LBB67_4:
	s_or_b64 exec, exec, s[24:25]
	s_load_dwordx4 s[12:15], s[6:7], 0x68
	s_waitcnt lgkmcnt(0)
	s_ashr_i32 s37, s15, 31
	s_mov_b32 s36, s15
	s_or_b64 s[0:1], s[28:29], s[36:37]
	s_mov_b32 s0, 0
	s_cmp_lg_u64 s[0:1], 0
	s_cbranch_scc0 .LBB67_62
; %bb.5:
	s_add_u32 s0, s36, s37
	s_mov_b32 s24, s37
	s_mov_b32 s25, s37
	s_addc_u32 s1, s37, s37
	s_xor_b64 s[38:39], s[0:1], s[24:25]
	v_cvt_f32_u32_e32 v3, s38
	v_cvt_f32_u32_e32 v4, s39
	s_sub_u32 s0, 0, s38
	s_subb_u32 s1, 0, s39
	v_madmk_f32 v3, v4, 0x4f800000, v3
	v_rcp_f32_e32 v3, v3
	v_mul_f32_e32 v3, 0x5f7ffffc, v3
	v_mul_f32_e32 v4, 0x2f800000, v3
	v_trunc_f32_e32 v4, v4
	v_madmk_f32 v3, v4, 0xcf800000, v3
	v_cvt_u32_f32_e32 v4, v4
	v_cvt_u32_f32_e32 v3, v3
	v_readfirstlane_b32 s9, v4
	v_readfirstlane_b32 s11, v3
	s_mul_i32 s15, s0, s9
	s_mul_hi_u32 s40, s0, s11
	s_mul_i32 s33, s1, s11
	s_add_i32 s15, s40, s15
	s_add_i32 s15, s15, s33
	s_mul_i32 s41, s0, s11
	s_mul_hi_u32 s33, s11, s15
	s_mul_i32 s40, s11, s15
	s_mul_hi_u32 s11, s11, s41
	s_add_u32 s11, s11, s40
	s_addc_u32 s33, 0, s33
	s_mul_hi_u32 s42, s9, s41
	s_mul_i32 s41, s9, s41
	s_add_u32 s11, s11, s41
	s_mul_hi_u32 s40, s9, s15
	s_addc_u32 s11, s33, s42
	s_addc_u32 s33, s40, 0
	s_mul_i32 s15, s9, s15
	s_add_u32 s11, s11, s15
	s_addc_u32 s15, 0, s33
	v_add_co_u32_e32 v3, vcc, s11, v3
	s_cmp_lg_u64 vcc, 0
	s_addc_u32 s9, s9, s15
	v_readfirstlane_b32 s15, v3
	s_mul_i32 s11, s0, s9
	s_mul_hi_u32 s33, s0, s15
	s_add_i32 s11, s33, s11
	s_mul_i32 s1, s1, s15
	s_add_i32 s11, s11, s1
	s_mul_i32 s0, s0, s15
	s_mul_hi_u32 s33, s9, s0
	s_mul_i32 s40, s9, s0
	s_mul_i32 s42, s15, s11
	s_mul_hi_u32 s0, s15, s0
	s_mul_hi_u32 s41, s15, s11
	s_add_u32 s0, s0, s42
	s_addc_u32 s15, 0, s41
	s_add_u32 s0, s0, s40
	s_mul_hi_u32 s1, s9, s11
	s_addc_u32 s0, s15, s33
	s_addc_u32 s1, s1, 0
	s_mul_i32 s11, s9, s11
	s_add_u32 s0, s0, s11
	s_addc_u32 s1, 0, s1
	v_add_co_u32_e32 v3, vcc, s0, v3
	s_cmp_lg_u64 vcc, 0
	s_addc_u32 s9, s9, s1
	s_ashr_i32 s40, s29, 31
	s_add_u32 s0, s28, s40
	s_mov_b32 s41, s40
	s_addc_u32 s1, s29, s40
	s_xor_b64 s[42:43], s[0:1], s[40:41]
	v_readfirstlane_b32 s11, v3
	s_mul_i32 s1, s42, s9
	s_mul_hi_u32 s15, s42, s11
	s_mul_hi_u32 s0, s42, s9
	s_add_u32 s1, s15, s1
	s_addc_u32 s0, 0, s0
	s_mul_hi_u32 s33, s43, s11
	s_mul_i32 s11, s43, s11
	s_add_u32 s1, s1, s11
	s_mul_hi_u32 s15, s43, s9
	s_addc_u32 s0, s0, s33
	s_addc_u32 s1, s15, 0
	s_mul_i32 s9, s43, s9
	s_add_u32 s9, s0, s9
	s_addc_u32 s11, 0, s1
	s_mul_i32 s0, s38, s11
	s_mul_hi_u32 s1, s38, s9
	s_add_i32 s0, s1, s0
	s_mul_i32 s1, s39, s9
	s_add_i32 s15, s0, s1
	s_mul_i32 s1, s38, s9
	v_mov_b32_e32 v3, s1
	s_sub_i32 s0, s43, s15
	v_sub_co_u32_e32 v3, vcc, s42, v3
	s_cmp_lg_u64 vcc, 0
	s_subb_u32 s33, s0, s39
	v_subrev_co_u32_e64 v4, s[0:1], s38, v3
	s_cmp_lg_u64 s[0:1], 0
	s_subb_u32 s0, s33, 0
	s_cmp_ge_u32 s0, s39
	v_readfirstlane_b32 s33, v4
	s_cselect_b32 s1, -1, 0
	s_cmp_ge_u32 s33, s38
	s_cselect_b32 s33, -1, 0
	s_cmp_eq_u32 s0, s39
	s_cselect_b32 s0, s33, s1
	s_add_u32 s1, s9, 1
	s_addc_u32 s33, s11, 0
	s_add_u32 s42, s9, 2
	s_addc_u32 s44, s11, 0
	s_cmp_lg_u32 s0, 0
	s_cselect_b32 s0, s42, s1
	s_cselect_b32 s1, s44, s33
	s_cmp_lg_u64 vcc, 0
	s_subb_u32 s15, s43, s15
	s_cmp_ge_u32 s15, s39
	v_readfirstlane_b32 s42, v3
	s_cselect_b32 s33, -1, 0
	s_cmp_ge_u32 s42, s38
	s_cselect_b32 s38, -1, 0
	s_cmp_eq_u32 s15, s39
	s_cselect_b32 s15, s38, s33
	s_cmp_lg_u32 s15, 0
	s_cselect_b32 s1, s1, s11
	s_cselect_b32 s0, s0, s9
	s_xor_b64 s[24:25], s[40:41], s[24:25]
	s_xor_b64 s[0:1], s[0:1], s[24:25]
	s_sub_u32 s24, s0, s24
	s_subb_u32 s25, s1, s25
	s_cbranch_execnz .LBB67_7
.LBB67_6:
	v_cvt_f32_u32_e32 v3, s36
	s_sub_i32 s0, 0, s36
	s_mov_b32 s25, 0
	v_rcp_iflag_f32_e32 v3, v3
	v_mul_f32_e32 v3, 0x4f7ffffe, v3
	v_cvt_u32_f32_e32 v3, v3
	v_readfirstlane_b32 s1, v3
	s_mul_i32 s0, s0, s1
	s_mul_hi_u32 s0, s1, s0
	s_add_i32 s1, s1, s0
	s_mul_hi_u32 s0, s28, s1
	s_mul_i32 s9, s0, s36
	s_sub_i32 s9, s28, s9
	s_add_i32 s1, s0, 1
	s_sub_i32 s11, s9, s36
	s_cmp_ge_u32 s9, s36
	s_cselect_b32 s0, s1, s0
	s_cselect_b32 s9, s11, s9
	s_add_i32 s1, s0, 1
	s_cmp_ge_u32 s9, s36
	s_cselect_b32 s24, s1, s0
.LBB67_7:
	s_mul_i32 s0, s24, s37
	s_mul_hi_u32 s1, s24, s36
	s_load_dwordx2 s[26:27], s[6:7], 0x78
	s_add_i32 s0, s1, s0
	s_mul_i32 s1, s25, s36
	s_add_i32 s0, s0, s1
	s_mul_i32 s1, s24, s36
	s_sub_u32 s9, s28, s1
	s_subb_u32 s15, s29, s0
	v_cmp_gt_i32_e32 vcc, s10, v2
	s_mul_hi_u32 s42, s24, s12
	s_mul_i32 s43, s25, s12
	s_mul_i32 s44, s24, s12
	s_mul_hi_u32 s33, s9, s13
	s_mul_i32 s15, s15, s13
	s_mul_i32 s25, s9, s13
	s_and_saveexec_b64 s[28:29], vcc
	s_cbranch_execz .LBB67_42
; %bb.8:
	s_load_dwordx2 s[0:1], s[4:5], 0x4
	v_bfe_u32 v3, v0, 10, 10
	s_ashr_i32 s4, s12, 31
	s_ashr_i32 s11, s10, 31
	s_ashr_i32 s36, s14, 31
	s_waitcnt lgkmcnt(0)
	s_lshr_b32 s0, s0, 16
	s_mul_i32 s0, s0, s1
	v_mul_lo_u32 v4, s0, v2
	v_mad_u32_u24 v3, v3, s1, v4
	s_mul_i32 s0, s24, s4
	s_load_dword s1, s[6:7], 0x8c
	s_add_i32 s0, s42, s0
	s_add_i32 s4, s0, s43
	s_ashr_i32 s0, s13, 31
	s_mul_i32 s0, s9, s0
	s_add_i32 s0, s33, s0
	s_add_i32 s5, s0, s15
	s_waitcnt lgkmcnt(0)
	s_and_b32 s46, s1, 0xffff
	s_lshl_b64 s[0:1], s[34:35], 2
	v_bfe_u32 v0, v0, 20, 10
	s_add_u32 s0, s30, s0
	v_add_lshl_u32 v3, v3, v0, 1
	v_lshlrev_b32_e32 v0, 2, v2
	s_addc_u32 s1, s31, s1
	v_mov_b32_e32 v4, s1
	v_add_co_u32_e32 v9, vcc, s0, v0
	v_addc_co_u32_e32 v10, vcc, 0, v4, vcc
	s_lshl_b64 s[0:1], s[10:11], 2
	v_mov_b32_e32 v4, s1
	v_add_co_u32_e32 v11, vcc, s0, v9
	s_mul_i32 s0, s17, s8
	s_mul_hi_u32 s1, s16, s8
	s_add_i32 s1, s1, s0
	s_mul_i32 s0, s16, s8
	s_lshl_b32 s48, s46, 2
	s_lshl_b64 s[0:1], s[0:1], 1
	s_add_u32 s0, s20, s0
	v_addc_co_u32_e32 v12, vcc, v10, v4, vcc
	s_addc_u32 s1, s21, s1
	v_add_co_u32_e32 v13, vcc, s0, v0
	s_add_u32 s0, s44, s25
	v_mov_b32_e32 v4, s1
	s_addc_u32 s1, s4, s5
	s_add_u32 s4, s2, s14
	s_addc_u32 s5, s3, s36
	s_add_u32 s0, s4, s0
	s_load_dword s45, s[26:27], 0x0
	v_addc_co_u32_e32 v14, vcc, 0, v4, vcc
	s_addc_u32 s1, s5, s1
	v_mov_b32_e32 v0, s1
	v_add_co_u32_e32 v1, vcc, s0, v1
	v_addc_co_u32_e32 v4, vcc, 0, v0, vcc
	v_add_co_u32_e32 v0, vcc, 1, v1
	v_add_u32_e32 v8, 0x800, v3
	s_mov_b32 s47, 0
	v_addc_co_u32_e32 v1, vcc, 0, v4, vcc
	s_lshl_b32 s11, s46, 1
	s_mov_b64 s[4:5], 0
	s_movk_i32 s49, 0x7fff
	v_mov_b32_e32 v15, 0x7fc00000
	v_mov_b32_e32 v16, 0x7fc0
	s_mov_b32 s50, 0x5040100
	v_mov_b32_e32 v5, 0
	s_movk_i32 s51, 0x80
	s_mov_b64 s[16:17], 0x7f800000
	s_mov_b64 s[20:21], 0x43e00001
	s_movk_i32 s52, 0x7a
	s_mov_b64 s[30:31], 0xffffff
	s_movk_i32 s53, 0x7f
	v_mov_b32_e32 v17, 0xffffff82
	v_mov_b32_e32 v18, 0x78
	s_mov_b64 s[34:35], 0
	v_mov_b32_e32 v19, v2
	s_branch .LBB67_10
.LBB67_9:                               ;   in Loop: Header=BB67_10 Depth=1
	s_or_b64 exec, exec, s[0:1]
	v_add_u32_e32 v19, s46, v19
	s_add_u32 s34, s34, s48
	s_addc_u32 s35, s35, 0
	v_cmp_le_i32_e32 vcc, s10, v19
	global_store_byte v[0:1], v7, off
	v_mov_b32_e32 v4, s47
	s_or_b64 s[4:5], vcc, s[4:5]
	v_add_co_u32_e32 v0, vcc, s11, v0
	v_addc_co_u32_e32 v1, vcc, v1, v4, vcc
	s_andn2_b64 exec, exec, s[4:5]
	s_cbranch_execz .LBB67_42
.LBB67_10:                              ; =>This Inner Loop Header: Depth=1
	v_mov_b32_e32 v4, s35
	v_add_co_u32_e32 v6, vcc, s34, v9
	v_addc_co_u32_e32 v7, vcc, v10, v4, vcc
	v_add_co_u32_e32 v20, vcc, s34, v11
	v_addc_co_u32_e32 v21, vcc, v12, v4, vcc
	global_load_dword v22, v[6:7], off
	global_load_dword v24, v[20:21], off
	v_add_co_u32_e32 v6, vcc, s34, v13
	v_addc_co_u32_e32 v7, vcc, v14, v4, vcc
	global_load_dword v4, v[6:7], off
	v_mov_b32_e32 v23, v5
	s_waitcnt vmcnt(2)
	v_bfe_u32 v25, v22, 16, 1
	s_waitcnt vmcnt(1)
	v_bfe_u32 v26, v24, 16, 1
	v_cmp_o_f32_e32 vcc, v22, v22
	s_waitcnt vmcnt(0)
	v_and_b32_e32 v21, 0xffff0000, v4
	v_lshlrev_b32_e32 v20, 16, v4
	v_add3_u32 v4, v22, v25, s49
	v_add3_u32 v25, v24, v26, s49
	v_and_b32_e32 v4, 0xffff0000, v4
	v_and_b32_e32 v25, 0xffff0000, v25
	v_cndmask_b32_e32 v4, v15, v4, vcc
	v_cmp_o_f32_e32 vcc, v24, v24
	v_cndmask_b32_e32 v22, v15, v25, vcc
	v_pk_mul_f32 v[24:25], v[4:5], v[20:21] op_sel_hi:[0,1]
	v_pk_mul_f32 v[20:21], v[22:23], v[20:21] op_sel_hi:[0,1]
	v_bfe_u32 v22, v25, 16, 1
	v_bfe_u32 v4, v24, 16, 1
	v_add3_u32 v22, v25, v22, s49
	v_bfe_u32 v27, v20, 16, 1
	v_add3_u32 v4, v24, v4, s49
	v_and_b32_e32 v22, 0xffff0000, v22
	v_cmp_o_f32_e32 vcc, v25, v25
	v_bfe_u32 v26, v21, 16, 1
	v_add3_u32 v27, v20, v27, s49
	v_and_b32_e32 v4, 0xffff0000, v4
	v_cndmask_b32_e32 v25, v15, v22, vcc
	v_cmp_o_f32_e32 vcc, v24, v24
	v_add3_u32 v26, v21, v26, s49
	v_and_b32_e32 v27, 0xffff0000, v27
	v_cndmask_b32_e32 v24, v15, v4, vcc
	v_cmp_o_f32_e32 vcc, v20, v20
	v_and_b32_e32 v26, 0xffff0000, v26
	v_cndmask_b32_e32 v27, v15, v27, vcc
	v_cmp_o_f32_e32 vcc, v21, v21
	v_cndmask_b32_e32 v26, v15, v26, vcc
	v_pk_add_f32 v[20:21], v[24:25], v[26:27] neg_lo:[0,1] neg_hi:[0,1]
	v_bfe_u32 v4, v20, 16, 1
	v_pk_add_f32 v[24:25], v[24:25], v[26:27]
	v_add3_u32 v4, v20, v4, s49
	v_bfe_u32 v21, v25, 16, 1
	v_lshrrev_b32_e32 v4, 16, v4
	v_cmp_o_f32_e32 vcc, v20, v20
	v_add3_u32 v21, v25, v21, s49
	v_cndmask_b32_e32 v4, v16, v4, vcc
	v_lshrrev_b32_e32 v21, 16, v21
	v_cmp_o_f32_e32 vcc, v25, v25
	ds_write_b16 v8, v4
	v_cndmask_b32_e32 v20, v16, v21, vcc
	ds_read_b32 v21, v8
	v_perm_b32 v4, v20, v4, s50
	global_store_dword v[6:7], v4, off
	ds_write_b16 v3, v20
	ds_read_b32 v20, v3
	s_waitcnt lgkmcnt(0)
	v_div_scale_f32 v4, s[0:1], s45, s45, v21
	v_rcp_f32_e32 v6, v4
	v_div_scale_f32 v7, vcc, v21, s45, v21
	v_fma_f32 v22, -v4, v6, 1.0
	v_fmac_f32_e32 v6, v22, v6
	v_mul_f32_e32 v22, v7, v6
	v_fma_f32 v24, -v4, v22, v7
	v_fmac_f32_e32 v22, v24, v6
	v_fma_f32 v4, -v4, v22, v7
	v_div_fmas_f32 v4, v4, v6, v22
	v_div_fixup_f32 v6, v4, s45, v21
	v_and_b32_sdwa v21, v6, s51 dst_sel:DWORD dst_unused:UNUSED_PAD src0_sel:BYTE_3 src1_sel:DWORD
	v_and_b32_e32 v22, 0x7f800000, v6
	v_and_b32_e32 v4, 0x7fffff, v6
	v_or_b32_e32 v7, 0x7e, v21
	v_cmp_ne_u64_e32 vcc, s[16:17], v[22:23]
	s_and_saveexec_b64 s[0:1], vcc
	s_xor_b64 s[36:37], exec, s[0:1]
	s_cbranch_execz .LBB67_24
; %bb.11:                               ;   in Loop: Header=BB67_10 Depth=1
	v_and_b32_e32 v22, 0x7fffffff, v6
	v_mov_b32_e32 v23, v5
	v_cmp_gt_u64_e32 vcc, s[20:21], v[22:23]
	s_and_saveexec_b64 s[0:1], vcc
	s_xor_b64 s[38:39], exec, s[0:1]
	s_cbranch_execz .LBB67_23
; %bb.12:                               ;   in Loop: Header=BB67_10 Depth=1
	v_cmp_ne_u32_e32 vcc, 0, v6
	v_mov_b32_e32 v7, 0
	s_and_saveexec_b64 s[40:41], vcc
	s_cbranch_execz .LBB67_22
; %bb.13:                               ;   in Loop: Header=BB67_10 Depth=1
	v_bfe_u32 v6, v6, 23, 8
	v_sub_u32_e32 v22, 0x79, v6
	v_cmp_gt_u32_e32 vcc, s52, v6
	v_cndmask_b32_e32 v22, 0, v22, vcc
	v_cmp_eq_u32_e32 vcc, 0, v6
	v_cndmask_b32_e32 v22, v22, v18, vcc
	v_add_u32_e32 v7, 0xffffff81, v6
	v_or_b32_e32 v23, 0x800000, v4
	v_add_u32_e32 v6, 20, v22
	v_cndmask_b32_e32 v28, v7, v17, vcc
	v_cndmask_b32_e32 v4, v23, v4, vcc
	v_lshlrev_b64 v[6:7], v6, -1
	v_not_b32_e32 v6, v6
	v_lshrrev_b64 v[26:27], v22, v[4:5]
	v_not_b32_e32 v7, v7
	v_and_b32_e32 v6, v4, v6
	v_add_u32_e32 v23, 19, v22
	v_lshrrev_b32_e32 v4, 23, v26
	v_and_b32_e32 v7, 0, v7
	v_lshlrev_b64 v[24:25], v23, 1
	v_add3_u32 v23, v22, v28, v4
	v_bfe_u32 v4, v26, 20, 1
	v_add_u32_e32 v4, -1, v4
	v_cmp_eq_u64_e32 vcc, v[6:7], v[24:25]
	v_cndmask_b32_e32 v4, 0, v4, vcc
	v_add_u32_e32 v4, v4, v26
	v_and_b32_e32 v4, 0xfffff, v4
	v_add_co_u32_e32 v6, vcc, v4, v26
	v_add_u32_e32 v22, 6, v23
	v_addc_co_u32_e32 v7, vcc, 0, v27, vcc
	v_cmp_ne_u32_e32 vcc, 0, v22
                                        ; implicit-def: $vgpr4
	s_and_saveexec_b64 s[0:1], vcc
	s_xor_b64 s[0:1], exec, s[0:1]
; %bb.14:                               ;   in Loop: Header=BB67_10 Depth=1
	v_add_u32_e32 v4, 7, v23
	v_cmp_lt_u64_e32 vcc, s[30:31], v[6:7]
	v_cndmask_b32_e32 v4, v22, v4, vcc
	v_cndmask_b32_e64 v22, 0, 1, vcc
	v_lshrrev_b64 v[6:7], v22, v[6:7]
; %bb.15:                               ;   in Loop: Header=BB67_10 Depth=1
	s_andn2_saveexec_b64 s[0:1], s[0:1]
; %bb.16:                               ;   in Loop: Header=BB67_10 Depth=1
	v_bfe_u32 v4, v6, 23, 1
; %bb.17:                               ;   in Loop: Header=BB67_10 Depth=1
	s_or_b64 exec, exec, s[0:1]
	v_lshrrev_b64 v[6:7], 20, v[6:7]
	v_cmp_gt_i32_e32 vcc, 16, v4
	v_cndmask_b32_e32 v7, 0, v7, vcc
	v_cndmask_b32_e32 v6, 7, v6, vcc
	v_cmp_ne_u32_e32 vcc, 0, v4
	v_cmp_ne_u64_e64 s[0:1], 0, v[6:7]
	s_or_b64 s[0:1], vcc, s[0:1]
                                        ; implicit-def: $vgpr7
	s_and_saveexec_b64 s[54:55], s[0:1]
	s_xor_b64 s[0:1], exec, s[54:55]
; %bb.18:                               ;   in Loop: Header=BB67_10 Depth=1
	v_min_i32_e32 v4, 15, v4
	v_lshl_or_b32 v4, v4, 3, v21
	v_and_or_b32 v7, v6, 7, v4
                                        ; implicit-def: $vgpr21
; %bb.19:                               ;   in Loop: Header=BB67_10 Depth=1
	s_andn2_saveexec_b64 s[0:1], s[0:1]
; %bb.20:                               ;   in Loop: Header=BB67_10 Depth=1
	v_mov_b32_e32 v7, v21
; %bb.21:                               ;   in Loop: Header=BB67_10 Depth=1
	s_or_b64 exec, exec, s[0:1]
.LBB67_22:                              ;   in Loop: Header=BB67_10 Depth=1
	s_or_b64 exec, exec, s[40:41]
.LBB67_23:                              ;   in Loop: Header=BB67_10 Depth=1
	s_andn2_saveexec_b64 s[0:1], s[38:39]
	s_or_b64 exec, exec, s[0:1]
                                        ; implicit-def: $vgpr6
.LBB67_24:                              ;   in Loop: Header=BB67_10 Depth=1
	s_andn2_saveexec_b64 s[0:1], s[36:37]
; %bb.25:                               ;   in Loop: Header=BB67_10 Depth=1
	v_or_b32_sdwa v6, v6, s53 dst_sel:DWORD dst_unused:UNUSED_PAD src0_sel:BYTE_3 src1_sel:DWORD
	v_cmp_eq_u64_e32 vcc, 0, v[4:5]
	v_cndmask_b32_e32 v7, v6, v7, vcc
; %bb.26:                               ;   in Loop: Header=BB67_10 Depth=1
	s_or_b64 exec, exec, s[0:1]
	v_div_scale_f32 v4, s[0:1], s45, s45, v20
	v_rcp_f32_e32 v6, v4
	global_store_byte v[0:1], v7, off offset:-1
	v_mov_b32_e32 v23, v5
	v_fma_f32 v7, -v4, v6, 1.0
	v_fmac_f32_e32 v6, v7, v6
	v_div_scale_f32 v7, vcc, v20, s45, v20
	v_mul_f32_e32 v21, v7, v6
	v_fma_f32 v22, -v4, v21, v7
	v_fmac_f32_e32 v21, v22, v6
	v_fma_f32 v4, -v4, v21, v7
	v_div_fmas_f32 v4, v4, v6, v21
	v_div_fixup_f32 v6, v4, s45, v20
	v_and_b32_sdwa v20, v6, s51 dst_sel:DWORD dst_unused:UNUSED_PAD src0_sel:BYTE_3 src1_sel:DWORD
	v_and_b32_e32 v22, 0x7f800000, v6
	v_and_b32_e32 v4, 0x7fffff, v6
	v_or_b32_e32 v7, 0x7e, v20
	v_cmp_ne_u64_e32 vcc, s[16:17], v[22:23]
	s_and_saveexec_b64 s[0:1], vcc
	s_xor_b64 s[36:37], exec, s[0:1]
	s_cbranch_execz .LBB67_40
; %bb.27:                               ;   in Loop: Header=BB67_10 Depth=1
	v_and_b32_e32 v22, 0x7fffffff, v6
	v_mov_b32_e32 v23, v5
	v_cmp_gt_u64_e32 vcc, s[20:21], v[22:23]
	s_and_saveexec_b64 s[0:1], vcc
	s_xor_b64 s[38:39], exec, s[0:1]
	s_cbranch_execz .LBB67_39
; %bb.28:                               ;   in Loop: Header=BB67_10 Depth=1
	v_cmp_ne_u32_e32 vcc, 0, v6
	v_mov_b32_e32 v7, 0
	s_and_saveexec_b64 s[40:41], vcc
	s_cbranch_execz .LBB67_38
; %bb.29:                               ;   in Loop: Header=BB67_10 Depth=1
	v_bfe_u32 v6, v6, 23, 8
	v_sub_u32_e32 v21, 0x79, v6
	v_cmp_gt_u32_e32 vcc, s52, v6
	v_cndmask_b32_e32 v21, 0, v21, vcc
	v_cmp_eq_u32_e32 vcc, 0, v6
	v_cndmask_b32_e32 v21, v21, v18, vcc
	v_add_u32_e32 v7, 0xffffff81, v6
	v_or_b32_e32 v22, 0x800000, v4
	v_add_u32_e32 v6, 20, v21
	v_cndmask_b32_e32 v23, v7, v17, vcc
	v_cndmask_b32_e32 v4, v22, v4, vcc
	v_lshlrev_b64 v[6:7], v6, -1
	v_not_b32_e32 v6, v6
	v_lshrrev_b64 v[26:27], v21, v[4:5]
	v_not_b32_e32 v7, v7
	v_and_b32_e32 v6, v4, v6
	v_add_u32_e32 v22, 19, v21
	v_lshrrev_b32_e32 v4, 23, v26
	v_and_b32_e32 v7, 0, v7
	v_lshlrev_b64 v[24:25], v22, 1
	v_add3_u32 v22, v21, v23, v4
	v_bfe_u32 v4, v26, 20, 1
	v_add_u32_e32 v4, -1, v4
	v_cmp_eq_u64_e32 vcc, v[6:7], v[24:25]
	v_cndmask_b32_e32 v4, 0, v4, vcc
	v_add_u32_e32 v4, v4, v26
	v_and_b32_e32 v4, 0xfffff, v4
	v_add_co_u32_e32 v6, vcc, v4, v26
	v_add_u32_e32 v21, 6, v22
	v_addc_co_u32_e32 v7, vcc, 0, v27, vcc
	v_cmp_ne_u32_e32 vcc, 0, v21
                                        ; implicit-def: $vgpr4
	s_and_saveexec_b64 s[0:1], vcc
	s_xor_b64 s[0:1], exec, s[0:1]
; %bb.30:                               ;   in Loop: Header=BB67_10 Depth=1
	v_add_u32_e32 v4, 7, v22
	v_cmp_lt_u64_e32 vcc, s[30:31], v[6:7]
	v_cndmask_b32_e32 v4, v21, v4, vcc
	v_cndmask_b32_e64 v21, 0, 1, vcc
	v_lshrrev_b64 v[6:7], v21, v[6:7]
; %bb.31:                               ;   in Loop: Header=BB67_10 Depth=1
	s_andn2_saveexec_b64 s[0:1], s[0:1]
; %bb.32:                               ;   in Loop: Header=BB67_10 Depth=1
	v_bfe_u32 v4, v6, 23, 1
; %bb.33:                               ;   in Loop: Header=BB67_10 Depth=1
	s_or_b64 exec, exec, s[0:1]
	v_lshrrev_b64 v[6:7], 20, v[6:7]
	v_cmp_gt_i32_e32 vcc, 16, v4
	v_cndmask_b32_e32 v7, 0, v7, vcc
	v_cndmask_b32_e32 v6, 7, v6, vcc
	v_cmp_ne_u32_e32 vcc, 0, v4
	v_cmp_ne_u64_e64 s[0:1], 0, v[6:7]
	s_or_b64 s[0:1], vcc, s[0:1]
                                        ; implicit-def: $vgpr7
	s_and_saveexec_b64 s[54:55], s[0:1]
	s_xor_b64 s[0:1], exec, s[54:55]
; %bb.34:                               ;   in Loop: Header=BB67_10 Depth=1
	v_min_i32_e32 v4, 15, v4
	v_lshl_or_b32 v4, v4, 3, v20
	v_and_or_b32 v7, v6, 7, v4
                                        ; implicit-def: $vgpr20
; %bb.35:                               ;   in Loop: Header=BB67_10 Depth=1
	s_andn2_saveexec_b64 s[0:1], s[0:1]
; %bb.36:                               ;   in Loop: Header=BB67_10 Depth=1
	v_mov_b32_e32 v7, v20
; %bb.37:                               ;   in Loop: Header=BB67_10 Depth=1
	s_or_b64 exec, exec, s[0:1]
.LBB67_38:                              ;   in Loop: Header=BB67_10 Depth=1
	s_or_b64 exec, exec, s[40:41]
.LBB67_39:                              ;   in Loop: Header=BB67_10 Depth=1
	s_andn2_saveexec_b64 s[0:1], s[38:39]
	s_or_b64 exec, exec, s[0:1]
                                        ; implicit-def: $vgpr6
.LBB67_40:                              ;   in Loop: Header=BB67_10 Depth=1
	s_andn2_saveexec_b64 s[0:1], s[36:37]
	s_cbranch_execz .LBB67_9
; %bb.41:                               ;   in Loop: Header=BB67_10 Depth=1
	v_or_b32_sdwa v6, v6, s53 dst_sel:DWORD dst_unused:UNUSED_PAD src0_sel:BYTE_3 src1_sel:DWORD
	v_cmp_eq_u64_e32 vcc, 0, v[4:5]
	v_cndmask_b32_e32 v7, v6, v7, vcc
	s_branch .LBB67_9
.LBB67_42:
	s_or_b64 exec, exec, s[28:29]
	v_cmp_gt_i32_e32 vcc, s14, v2
	s_and_saveexec_b64 s[0:1], vcc
	s_cbranch_execz .LBB67_61
; %bb.43:
	s_mul_i32 s0, s8, s19
	s_mul_hi_u32 s1, s8, s18
	s_add_i32 s1, s1, s0
	s_mul_i32 s0, s8, s18
	s_lshl_b64 s[0:1], s[0:1], 1
	s_add_u32 s18, s22, s0
	s_addc_u32 s0, s23, s1
	s_ashr_i32 s1, s12, 31
	s_mul_i32 s1, s24, s1
	s_add_i32 s1, s42, s1
	s_add_i32 s1, s1, s43
	s_add_u32 s2, s2, s44
	s_addc_u32 s1, s3, s1
	s_ashr_i32 s3, s13, 31
	s_load_dword s4, s[6:7], 0x8c
	s_mul_i32 s9, s9, s3
	s_waitcnt lgkmcnt(0)
	s_load_dword s20, s[26:27], 0x0
	s_add_i32 s3, s33, s9
	s_add_i32 s3, s3, s15
	s_add_u32 s15, s2, s25
	s_addc_u32 s19, s1, s3
	s_and_b32 s21, s4, 0xffff
	s_mov_b64 s[2:3], 0
	v_mov_b32_e32 v6, s0
	v_mov_b32_e32 v1, 0
	s_movk_i32 s22, 0x80
	s_mov_b64 s[4:5], 0x7f800000
	s_mov_b64 s[6:7], 0x43e00001
	s_movk_i32 s23, 0x7a
	s_mov_b64 s[8:9], 0xffffff
	s_movk_i32 s24, 0x7f
	v_mov_b32_e32 v7, 0xffffff82
	v_mov_b32_e32 v8, 0x78
	s_branch .LBB67_45
.LBB67_44:                              ;   in Loop: Header=BB67_45 Depth=1
	s_or_b64 exec, exec, s[0:1]
	v_mov_b32_e32 v0, s19
	v_add_co_u32_e32 v10, vcc, s15, v2
	v_addc_co_u32_e32 v11, vcc, v0, v3, vcc
	v_add_u32_e32 v2, s21, v2
	v_cmp_le_i32_e32 vcc, s14, v2
	s_or_b64 s[2:3], vcc, s[2:3]
	global_store_byte v[10:11], v5, off
	s_andn2_b64 exec, exec, s[2:3]
	s_cbranch_execz .LBB67_61
.LBB67_45:                              ; =>This Inner Loop Header: Depth=1
	v_ashrrev_i32_e32 v3, 31, v2
	v_lshlrev_b64 v[4:5], 1, v[2:3]
	v_add_co_u32_e32 v4, vcc, s18, v4
	v_addc_co_u32_e32 v5, vcc, v6, v5, vcc
	global_load_dword v0, v[4:5], off
	v_mov_b32_e32 v11, v1
	s_waitcnt vmcnt(0) lgkmcnt(0)
	v_div_scale_f32 v4, s[0:1], s20, s20, v0
	v_rcp_f32_e32 v5, v4
	v_div_scale_f32 v9, vcc, v0, s20, v0
	v_fma_f32 v10, -v4, v5, 1.0
	v_fmac_f32_e32 v5, v10, v5
	v_mul_f32_e32 v10, v9, v5
	v_fma_f32 v12, -v4, v10, v9
	v_fmac_f32_e32 v10, v12, v5
	v_fma_f32 v4, -v4, v10, v9
	v_div_fmas_f32 v4, v4, v5, v10
	v_div_fixup_f32 v4, v4, s20, v0
	v_and_b32_sdwa v9, v4, s22 dst_sel:DWORD dst_unused:UNUSED_PAD src0_sel:BYTE_3 src1_sel:DWORD
	v_and_b32_e32 v10, 0x7f800000, v4
	v_and_b32_e32 v0, 0x7fffff, v4
	v_or_b32_e32 v5, 0x7e, v9
	v_cmp_ne_u64_e32 vcc, s[4:5], v[10:11]
	s_and_saveexec_b64 s[0:1], vcc
	s_xor_b64 s[10:11], exec, s[0:1]
	s_cbranch_execz .LBB67_59
; %bb.46:                               ;   in Loop: Header=BB67_45 Depth=1
	v_and_b32_e32 v10, 0x7fffffff, v4
	v_mov_b32_e32 v11, v1
	v_cmp_gt_u64_e32 vcc, s[6:7], v[10:11]
	s_and_saveexec_b64 s[0:1], vcc
	s_xor_b64 s[12:13], exec, s[0:1]
	s_cbranch_execz .LBB67_58
; %bb.47:                               ;   in Loop: Header=BB67_45 Depth=1
	v_cmp_ne_u32_e32 vcc, 0, v4
	v_mov_b32_e32 v5, 0
	s_and_saveexec_b64 s[16:17], vcc
	s_cbranch_execz .LBB67_57
; %bb.48:                               ;   in Loop: Header=BB67_45 Depth=1
	v_bfe_u32 v4, v4, 23, 8
	v_sub_u32_e32 v10, 0x79, v4
	v_cmp_gt_u32_e32 vcc, s23, v4
	v_cndmask_b32_e32 v10, 0, v10, vcc
	v_cmp_eq_u32_e32 vcc, 0, v4
	v_cndmask_b32_e32 v10, v10, v8, vcc
	v_add_u32_e32 v5, 0xffffff81, v4
	v_or_b32_e32 v11, 0x800000, v0
	v_add_u32_e32 v4, 20, v10
	v_cndmask_b32_e32 v16, v5, v7, vcc
	v_cndmask_b32_e32 v0, v11, v0, vcc
	v_lshlrev_b64 v[4:5], v4, -1
	v_not_b32_e32 v4, v4
	v_lshrrev_b64 v[14:15], v10, v[0:1]
	v_not_b32_e32 v5, v5
	v_and_b32_e32 v4, v0, v4
	v_add_u32_e32 v11, 19, v10
	v_lshrrev_b32_e32 v0, 23, v14
	v_and_b32_e32 v5, 0, v5
	v_lshlrev_b64 v[12:13], v11, 1
	v_add3_u32 v11, v10, v16, v0
	v_bfe_u32 v0, v14, 20, 1
	v_add_u32_e32 v0, -1, v0
	v_cmp_eq_u64_e32 vcc, v[4:5], v[12:13]
	v_cndmask_b32_e32 v0, 0, v0, vcc
	v_add_u32_e32 v0, v0, v14
	v_and_b32_e32 v0, 0xfffff, v0
	v_add_co_u32_e32 v4, vcc, v0, v14
	v_add_u32_e32 v10, 6, v11
	v_addc_co_u32_e32 v5, vcc, 0, v15, vcc
	v_cmp_ne_u32_e32 vcc, 0, v10
                                        ; implicit-def: $vgpr0
	s_and_saveexec_b64 s[0:1], vcc
	s_xor_b64 s[0:1], exec, s[0:1]
; %bb.49:                               ;   in Loop: Header=BB67_45 Depth=1
	v_add_u32_e32 v0, 7, v11
	v_cmp_lt_u64_e32 vcc, s[8:9], v[4:5]
	v_cndmask_b32_e32 v0, v10, v0, vcc
	v_cndmask_b32_e64 v10, 0, 1, vcc
	v_lshrrev_b64 v[4:5], v10, v[4:5]
; %bb.50:                               ;   in Loop: Header=BB67_45 Depth=1
	s_andn2_saveexec_b64 s[0:1], s[0:1]
; %bb.51:                               ;   in Loop: Header=BB67_45 Depth=1
	v_bfe_u32 v0, v4, 23, 1
; %bb.52:                               ;   in Loop: Header=BB67_45 Depth=1
	s_or_b64 exec, exec, s[0:1]
	v_lshrrev_b64 v[4:5], 20, v[4:5]
	v_cmp_gt_i32_e32 vcc, 16, v0
	v_cndmask_b32_e32 v5, 0, v5, vcc
	v_cndmask_b32_e32 v4, 7, v4, vcc
	v_cmp_ne_u32_e32 vcc, 0, v0
	v_cmp_ne_u64_e64 s[0:1], 0, v[4:5]
	s_or_b64 s[0:1], vcc, s[0:1]
                                        ; implicit-def: $vgpr5
	s_and_saveexec_b64 s[26:27], s[0:1]
	s_xor_b64 s[0:1], exec, s[26:27]
; %bb.53:                               ;   in Loop: Header=BB67_45 Depth=1
	v_min_i32_e32 v0, 15, v0
	v_lshl_or_b32 v0, v0, 3, v9
	v_and_or_b32 v5, v4, 7, v0
                                        ; implicit-def: $vgpr9
; %bb.54:                               ;   in Loop: Header=BB67_45 Depth=1
	s_andn2_saveexec_b64 s[0:1], s[0:1]
; %bb.55:                               ;   in Loop: Header=BB67_45 Depth=1
	v_mov_b32_e32 v5, v9
; %bb.56:                               ;   in Loop: Header=BB67_45 Depth=1
	s_or_b64 exec, exec, s[0:1]
.LBB67_57:                              ;   in Loop: Header=BB67_45 Depth=1
	s_or_b64 exec, exec, s[16:17]
.LBB67_58:                              ;   in Loop: Header=BB67_45 Depth=1
	s_andn2_saveexec_b64 s[0:1], s[12:13]
	s_or_b64 exec, exec, s[0:1]
                                        ; implicit-def: $vgpr4
.LBB67_59:                              ;   in Loop: Header=BB67_45 Depth=1
	s_andn2_saveexec_b64 s[0:1], s[10:11]
	s_cbranch_execz .LBB67_44
; %bb.60:                               ;   in Loop: Header=BB67_45 Depth=1
	v_or_b32_sdwa v4, v4, s24 dst_sel:DWORD dst_unused:UNUSED_PAD src0_sel:BYTE_3 src1_sel:DWORD
	v_cmp_eq_u64_e32 vcc, 0, v[0:1]
	v_cndmask_b32_e32 v5, v4, v5, vcc
	s_branch .LBB67_44
.LBB67_61:
	s_endpgm
.LBB67_62:
                                        ; implicit-def: $sgpr24_sgpr25
	s_branch .LBB67_6
	.section	.rodata,"a",@progbits
	.p2align	6, 0x0
	.amdhsa_kernel _ZN4vllm38concat_and_cache_mla_rope_fused_kernelIN3c108BFloat16EfLb0EfhLNS_18Fp8KVCacheDataTypeE1EEEvPKlPT_S7_PKS6_PKT0_illlliPT3_S5_iiiiPKf
		.amdhsa_group_segment_fixed_size 4096
		.amdhsa_private_segment_fixed_size 0
		.amdhsa_kernarg_size 384
		.amdhsa_user_sgpr_count 8
		.amdhsa_user_sgpr_private_segment_buffer 1
		.amdhsa_user_sgpr_dispatch_ptr 1
		.amdhsa_user_sgpr_queue_ptr 0
		.amdhsa_user_sgpr_kernarg_segment_ptr 1
		.amdhsa_user_sgpr_dispatch_id 0
		.amdhsa_user_sgpr_flat_scratch_init 0
		.amdhsa_user_sgpr_kernarg_preload_length 0
		.amdhsa_user_sgpr_kernarg_preload_offset 0
		.amdhsa_user_sgpr_private_segment_size 0
		.amdhsa_uses_dynamic_stack 0
		.amdhsa_system_sgpr_private_segment_wavefront_offset 0
		.amdhsa_system_sgpr_workgroup_id_x 1
		.amdhsa_system_sgpr_workgroup_id_y 0
		.amdhsa_system_sgpr_workgroup_id_z 0
		.amdhsa_system_sgpr_workgroup_info 0
		.amdhsa_system_vgpr_workitem_id 2
		.amdhsa_next_free_vgpr 29
		.amdhsa_next_free_sgpr 56
		.amdhsa_accum_offset 32
		.amdhsa_reserve_vcc 1
		.amdhsa_reserve_flat_scratch 0
		.amdhsa_float_round_mode_32 0
		.amdhsa_float_round_mode_16_64 0
		.amdhsa_float_denorm_mode_32 3
		.amdhsa_float_denorm_mode_16_64 3
		.amdhsa_dx10_clamp 1
		.amdhsa_ieee_mode 1
		.amdhsa_fp16_overflow 0
		.amdhsa_tg_split 0
		.amdhsa_exception_fp_ieee_invalid_op 0
		.amdhsa_exception_fp_denorm_src 0
		.amdhsa_exception_fp_ieee_div_zero 0
		.amdhsa_exception_fp_ieee_overflow 0
		.amdhsa_exception_fp_ieee_underflow 0
		.amdhsa_exception_fp_ieee_inexact 0
		.amdhsa_exception_int_div_zero 0
	.end_amdhsa_kernel
	.section	.text._ZN4vllm38concat_and_cache_mla_rope_fused_kernelIN3c108BFloat16EfLb0EfhLNS_18Fp8KVCacheDataTypeE1EEEvPKlPT_S7_PKS6_PKT0_illlliPT3_S5_iiiiPKf,"axG",@progbits,_ZN4vllm38concat_and_cache_mla_rope_fused_kernelIN3c108BFloat16EfLb0EfhLNS_18Fp8KVCacheDataTypeE1EEEvPKlPT_S7_PKS6_PKT0_illlliPT3_S5_iiiiPKf,comdat
.Lfunc_end67:
	.size	_ZN4vllm38concat_and_cache_mla_rope_fused_kernelIN3c108BFloat16EfLb0EfhLNS_18Fp8KVCacheDataTypeE1EEEvPKlPT_S7_PKS6_PKT0_illlliPT3_S5_iiiiPKf, .Lfunc_end67-_ZN4vllm38concat_and_cache_mla_rope_fused_kernelIN3c108BFloat16EfLb0EfhLNS_18Fp8KVCacheDataTypeE1EEEvPKlPT_S7_PKS6_PKT0_illlliPT3_S5_iiiiPKf
                                        ; -- End function
	.section	.AMDGPU.csdata,"",@progbits
; Kernel info:
; codeLenInByte = 4348
; NumSgprs: 60
; NumVgprs: 29
; NumAgprs: 0
; TotalNumVgprs: 29
; ScratchSize: 0
; MemoryBound: 0
; FloatMode: 240
; IeeeMode: 1
; LDSByteSize: 4096 bytes/workgroup (compile time only)
; SGPRBlocks: 7
; VGPRBlocks: 3
; NumSGPRsForWavesPerEU: 60
; NumVGPRsForWavesPerEU: 29
; AccumOffset: 32
; Occupancy: 8
; WaveLimiterHint : 1
; COMPUTE_PGM_RSRC2:SCRATCH_EN: 0
; COMPUTE_PGM_RSRC2:USER_SGPR: 8
; COMPUTE_PGM_RSRC2:TRAP_HANDLER: 0
; COMPUTE_PGM_RSRC2:TGID_X_EN: 1
; COMPUTE_PGM_RSRC2:TGID_Y_EN: 0
; COMPUTE_PGM_RSRC2:TGID_Z_EN: 0
; COMPUTE_PGM_RSRC2:TIDIG_COMP_CNT: 2
; COMPUTE_PGM_RSRC3_GFX90A:ACCUM_OFFSET: 7
; COMPUTE_PGM_RSRC3_GFX90A:TG_SPLIT: 0
	.section	.text._ZN4vllm38concat_and_cache_mla_rope_fused_kernelIN3c108BFloat16ENS1_4HalfELb1EfhLNS_18Fp8KVCacheDataTypeE1EEEvPKlPT_S8_PKS7_PKT0_illlliPT3_S6_iiiiPKf,"axG",@progbits,_ZN4vllm38concat_and_cache_mla_rope_fused_kernelIN3c108BFloat16ENS1_4HalfELb1EfhLNS_18Fp8KVCacheDataTypeE1EEEvPKlPT_S8_PKS7_PKT0_illlliPT3_S6_iiiiPKf,comdat
	.protected	_ZN4vllm38concat_and_cache_mla_rope_fused_kernelIN3c108BFloat16ENS1_4HalfELb1EfhLNS_18Fp8KVCacheDataTypeE1EEEvPKlPT_S8_PKS7_PKT0_illlliPT3_S6_iiiiPKf ; -- Begin function _ZN4vllm38concat_and_cache_mla_rope_fused_kernelIN3c108BFloat16ENS1_4HalfELb1EfhLNS_18Fp8KVCacheDataTypeE1EEEvPKlPT_S8_PKS7_PKT0_illlliPT3_S6_iiiiPKf
	.globl	_ZN4vllm38concat_and_cache_mla_rope_fused_kernelIN3c108BFloat16ENS1_4HalfELb1EfhLNS_18Fp8KVCacheDataTypeE1EEEvPKlPT_S8_PKS7_PKT0_illlliPT3_S6_iiiiPKf
	.p2align	8
	.type	_ZN4vllm38concat_and_cache_mla_rope_fused_kernelIN3c108BFloat16ENS1_4HalfELb1EfhLNS_18Fp8KVCacheDataTypeE1EEEvPKlPT_S8_PKS7_PKT0_illlliPT3_S6_iiiiPKf,@function
_ZN4vllm38concat_and_cache_mla_rope_fused_kernelIN3c108BFloat16ENS1_4HalfELb1EfhLNS_18Fp8KVCacheDataTypeE1EEEvPKlPT_S8_PKS7_PKT0_illlliPT3_S6_iiiiPKf: ; @_ZN4vllm38concat_and_cache_mla_rope_fused_kernelIN3c108BFloat16ENS1_4HalfELb1EfhLNS_18Fp8KVCacheDataTypeE1EEEvPKlPT_S8_PKS7_PKT0_illlliPT3_S6_iiiiPKf
; %bb.0:
	s_load_dwordx2 s[2:3], s[6:7], 0x60
	s_mov_b32 s9, 0
	s_lshl_b64 s[0:1], s[8:9], 3
	s_waitcnt lgkmcnt(0)
	s_add_u32 s2, s2, s0
	s_addc_u32 s3, s3, s1
	s_load_dwordx2 s[28:29], s[2:3], 0x0
	s_waitcnt lgkmcnt(0)
	v_cmp_lt_i64_e64 s[2:3], s[28:29], 0
	s_and_b64 vcc, exec, s[2:3]
	s_cbranch_vccnz .LBB68_61
; %bb.1:
	s_load_dword s10, s[6:7], 0x28
	s_load_dwordx2 s[2:3], s[6:7], 0x0
	s_load_dwordx2 s[30:31], s[6:7], 0x20
	s_load_dwordx4 s[20:23], s[6:7], 0x10
	v_and_b32_e32 v2, 0x3ff, v0
	s_waitcnt lgkmcnt(0)
	s_ashr_i32 s9, s10, 31
	s_add_u32 s0, s2, s0
	s_addc_u32 s1, s3, s1
	s_load_dwordx2 s[2:3], s[0:1], 0x0
	s_load_dwordx8 s[12:19], s[6:7], 0x30
	s_load_dwordx2 s[24:25], s[6:7], 0x58
	s_load_dword s11, s[6:7], 0x50
	s_waitcnt lgkmcnt(0)
	s_mul_i32 s0, s2, s9
	s_mul_hi_u32 s1, s2, s10
	s_add_i32 s0, s1, s0
	s_mul_i32 s1, s3, s10
	s_add_i32 s1, s0, s1
	s_mul_i32 s0, s2, s10
	s_lshl_b64 s[34:35], s[0:1], 1
	s_add_u32 s9, s30, s34
	s_addc_u32 s33, s31, s35
	s_lshr_b32 s0, s10, 31
	s_add_i32 s10, s10, s0
	s_ashr_i32 s26, s10, 1
	s_mul_i32 s40, s26, s11
	v_cmp_gt_i32_e32 vcc, s40, v2
	s_and_saveexec_b64 s[36:37], vcc
	s_cbranch_execz .LBB68_4
; %bb.2:
	s_load_dwordx2 s[0:1], s[6:7], 0x8
	s_load_dword s10, s[6:7], 0x8c
	s_mul_i32 s2, s8, s13
	s_mul_hi_u32 s3, s8, s12
	s_add_i32 s3, s3, s2
	s_mul_i32 s2, s8, s12
	s_ashr_i32 s27, s26, 31
	s_lshl_b64 s[2:3], s[2:3], 1
	s_waitcnt lgkmcnt(0)
	s_add_u32 s41, s0, s2
	s_addc_u32 s0, s1, s3
	s_abs_i32 s42, s26
	v_cvt_f32_u32_e32 v1, s42
	s_sub_i32 s1, 0, s42
	s_lshl_b64 s[38:39], s[26:27], 1
	s_mov_b64 s[12:13], 0
	v_rcp_iflag_f32_e32 v3, v1
	v_mov_b32_e32 v1, s33
	s_and_b32 s43, s10, 0xffff
	s_sub_i32 s44, 0, s26
	v_mul_f32_e32 v3, 0x4f7ffffe, v3
	v_cvt_u32_f32_e32 v3, v3
	v_mov_b32_e32 v5, s39
	v_mov_b32_e32 v6, s0
	s_movk_i32 s39, 0x7fff
	v_mul_lo_u32 v4, s1, v3
	v_mul_hi_u32 v4, v3, v4
	v_add_u32_e32 v3, v3, v4
	v_mov_b32_e32 v7, 0x7fc00000
	v_mov_b32_e32 v8, 0x7fc0
	v_mov_b32_e32 v4, v2
.LBB68_3:                               ; =>This Inner Loop Header: Depth=1
	v_sub_u32_e32 v10, 0, v4
	v_max_i32_e32 v10, v4, v10
	v_mul_hi_u32 v11, v10, v3
	v_mul_lo_u32 v12, v11, s42
	v_sub_u32_e32 v10, v10, v12
	v_add_u32_e32 v13, 1, v11
	v_cmp_le_u32_e32 vcc, s42, v10
	v_subrev_u32_e32 v12, s42, v10
	v_cndmask_b32_e32 v11, v11, v13, vcc
	v_cndmask_b32_e32 v10, v10, v12, vcc
	v_ashrrev_i32_e32 v9, 31, v4
	v_add_u32_e32 v12, 1, v11
	v_cmp_le_u32_e32 vcc, s42, v10
	v_xor_b32_e32 v9, s27, v9
	v_cndmask_b32_e32 v10, v11, v12, vcc
	v_xor_b32_e32 v10, v10, v9
	v_sub_u32_e32 v9, v10, v9
	v_mad_u64_u32 v[10:11], s[0:1], s44, v9, v[4:5]
	v_ashrrev_i32_e32 v11, 31, v10
	v_ashrrev_i32_e32 v14, 31, v9
	v_lshlrev_b64 v[10:11], 1, v[10:11]
	v_mul_lo_u32 v15, v9, s15
	v_mad_u64_u32 v[12:13], s[0:1], v9, s14, 0
	v_mul_lo_u32 v9, v14, s14
	v_add_co_u32_e32 v14, vcc, s9, v10
	v_add3_u32 v13, v13, v15, v9
	v_addc_co_u32_e32 v15, vcc, v1, v11, vcc
	v_add_co_u32_e32 v16, vcc, s38, v14
	v_lshlrev_b64 v[12:13], 1, v[12:13]
	v_addc_co_u32_e32 v17, vcc, v15, v5, vcc
	v_add_co_u32_e32 v9, vcc, s41, v12
	v_addc_co_u32_e32 v12, vcc, v6, v13, vcc
	global_load_ushort v18, v[14:15], off
	global_load_ushort v19, v[16:17], off
	v_add_co_u32_e32 v10, vcc, v9, v10
	v_addc_co_u32_e32 v11, vcc, v12, v11, vcc
	v_add_co_u32_e32 v12, vcc, s38, v10
	v_addc_co_u32_e32 v13, vcc, v11, v5, vcc
	global_load_ushort v9, v[10:11], off
	global_load_ushort v14, v[12:13], off
	v_add_u32_e32 v4, s43, v4
	v_cmp_le_i32_e32 vcc, s40, v4
	s_or_b64 s[12:13], vcc, s[12:13]
	s_waitcnt vmcnt(3)
	v_cvt_f32_f16_e32 v20, v18
	s_waitcnt vmcnt(2)
	v_cvt_f32_f16_e32 v21, v19
	v_cmp_o_f16_e32 vcc, v18, v18
	v_bfe_u32 v22, v21, 16, 1
	s_waitcnt vmcnt(1)
	v_lshlrev_b32_e32 v15, 16, v9
	v_bfe_u32 v9, v20, 16, 1
	v_add3_u32 v9, v20, v9, s39
	v_add3_u32 v20, v21, v22, s39
	v_and_b32_e32 v9, 0xffff0000, v9
	s_waitcnt vmcnt(0)
	v_lshlrev_b32_e32 v14, 16, v14
	v_and_b32_e32 v20, 0xffff0000, v20
	v_cndmask_b32_e32 v18, v7, v9, vcc
	v_cmp_o_f16_e32 vcc, v19, v19
	v_mov_b32_e32 v16, v15
	v_mov_b32_e32 v17, v14
	v_cndmask_b32_e32 v19, v7, v20, vcc
	v_pk_mul_f32 v[16:17], v[18:19], v[16:17]
	v_pk_mul_f32 v[14:15], v[18:19], v[14:15]
	v_bfe_u32 v9, v16, 16, 1
	v_bfe_u32 v18, v17, 16, 1
	;; [unrolled: 1-line block ×4, first 2 shown]
	v_add3_u32 v18, v17, v18, s39
	v_add3_u32 v9, v16, v9, s39
	;; [unrolled: 1-line block ×4, first 2 shown]
	v_and_b32_e32 v9, 0xffff0000, v9
	v_and_b32_e32 v18, 0xffff0000, v18
	v_cmp_o_f32_e32 vcc, v16, v16
	v_cmp_o_f32_e64 s[10:11], v17, v17
	v_and_b32_e32 v16, 0xffff0000, v19
	v_and_b32_e32 v19, 0xffff0000, v20
	v_cmp_o_f32_e64 s[0:1], v15, v15
	v_cmp_o_f32_e64 s[2:3], v14, v14
	v_cndmask_b32_e64 v14, v7, v18, s[10:11]
	v_cndmask_b32_e32 v9, v7, v9, vcc
	v_cndmask_b32_e64 v15, v7, v19, s[0:1]
	v_cndmask_b32_e64 v16, v7, v16, s[2:3]
	v_sub_f32_e32 v9, v9, v14
	v_add_f32_e32 v14, v16, v15
	v_bfe_u32 v15, v9, 16, 1
	v_bfe_u32 v16, v14, 16, 1
	v_add3_u32 v15, v9, v15, s39
	v_add3_u32 v16, v14, v16, s39
	v_lshrrev_b32_e32 v15, 16, v15
	v_cmp_o_f32_e64 s[0:1], v9, v9
	v_lshrrev_b32_e32 v16, 16, v16
	v_cmp_o_f32_e32 vcc, v14, v14
	v_cndmask_b32_e64 v9, v8, v15, s[0:1]
	v_cndmask_b32_e32 v14, v8, v16, vcc
	global_store_short v[10:11], v9, off
	global_store_short v[12:13], v14, off
	s_andn2_b64 exec, exec, s[12:13]
	s_cbranch_execnz .LBB68_3
.LBB68_4:
	s_or_b64 exec, exec, s[36:37]
	s_load_dwordx4 s[12:15], s[6:7], 0x68
	s_waitcnt lgkmcnt(0)
	s_ashr_i32 s37, s15, 31
	s_mov_b32 s36, s15
	s_or_b64 s[0:1], s[28:29], s[36:37]
	s_mov_b32 s0, 0
	s_cmp_lg_u64 s[0:1], 0
	s_cbranch_scc0 .LBB68_62
; %bb.5:
	s_add_u32 s0, s36, s37
	s_mov_b32 s2, s37
	s_mov_b32 s3, s37
	s_addc_u32 s1, s37, s37
	s_xor_b64 s[38:39], s[0:1], s[2:3]
	v_cvt_f32_u32_e32 v1, s38
	v_cvt_f32_u32_e32 v3, s39
	s_sub_u32 s0, 0, s38
	s_subb_u32 s1, 0, s39
	v_madmk_f32 v1, v3, 0x4f800000, v1
	v_rcp_f32_e32 v1, v1
	v_mul_f32_e32 v1, 0x5f7ffffc, v1
	v_mul_f32_e32 v3, 0x2f800000, v1
	v_trunc_f32_e32 v3, v3
	v_madmk_f32 v1, v3, 0xcf800000, v1
	v_cvt_u32_f32_e32 v3, v3
	v_cvt_u32_f32_e32 v1, v1
	v_readfirstlane_b32 s15, v3
	v_readfirstlane_b32 s27, v1
	s_mul_i32 s40, s0, s15
	s_mul_hi_u32 s42, s0, s27
	s_mul_i32 s41, s1, s27
	s_add_i32 s40, s42, s40
	s_add_i32 s40, s40, s41
	s_mul_i32 s43, s0, s27
	s_mul_hi_u32 s41, s27, s40
	s_mul_i32 s42, s27, s40
	s_mul_hi_u32 s27, s27, s43
	s_add_u32 s27, s27, s42
	s_addc_u32 s41, 0, s41
	s_mul_hi_u32 s44, s15, s43
	s_mul_i32 s43, s15, s43
	s_add_u32 s27, s27, s43
	s_mul_hi_u32 s42, s15, s40
	s_addc_u32 s27, s41, s44
	s_addc_u32 s41, s42, 0
	s_mul_i32 s40, s15, s40
	s_add_u32 s27, s27, s40
	s_addc_u32 s40, 0, s41
	v_add_co_u32_e32 v1, vcc, s27, v1
	s_cmp_lg_u64 vcc, 0
	s_addc_u32 s15, s15, s40
	v_readfirstlane_b32 s40, v1
	s_mul_i32 s27, s0, s15
	s_mul_hi_u32 s41, s0, s40
	s_add_i32 s27, s41, s27
	s_mul_i32 s1, s1, s40
	s_add_i32 s27, s27, s1
	s_mul_i32 s0, s0, s40
	s_mul_hi_u32 s41, s15, s0
	s_mul_i32 s42, s15, s0
	s_mul_i32 s44, s40, s27
	s_mul_hi_u32 s0, s40, s0
	s_mul_hi_u32 s43, s40, s27
	s_add_u32 s0, s0, s44
	s_addc_u32 s40, 0, s43
	s_add_u32 s0, s0, s42
	s_mul_hi_u32 s1, s15, s27
	s_addc_u32 s0, s40, s41
	s_addc_u32 s1, s1, 0
	s_mul_i32 s27, s15, s27
	s_add_u32 s0, s0, s27
	s_addc_u32 s1, 0, s1
	v_add_co_u32_e32 v1, vcc, s0, v1
	s_cmp_lg_u64 vcc, 0
	s_addc_u32 s15, s15, s1
	s_ashr_i32 s40, s29, 31
	s_add_u32 s0, s28, s40
	s_mov_b32 s41, s40
	s_addc_u32 s1, s29, s40
	s_xor_b64 s[42:43], s[0:1], s[40:41]
	v_readfirstlane_b32 s27, v1
	s_mul_i32 s1, s42, s15
	s_mul_hi_u32 s44, s42, s27
	s_mul_hi_u32 s0, s42, s15
	s_add_u32 s1, s44, s1
	s_addc_u32 s0, 0, s0
	s_mul_hi_u32 s45, s43, s27
	s_mul_i32 s27, s43, s27
	s_add_u32 s1, s1, s27
	s_mul_hi_u32 s44, s43, s15
	s_addc_u32 s0, s0, s45
	s_addc_u32 s1, s44, 0
	s_mul_i32 s15, s43, s15
	s_add_u32 s15, s0, s15
	s_addc_u32 s27, 0, s1
	s_mul_i32 s0, s38, s27
	s_mul_hi_u32 s1, s38, s15
	s_add_i32 s0, s1, s0
	s_mul_i32 s1, s39, s15
	s_add_i32 s44, s0, s1
	s_mul_i32 s1, s38, s15
	v_mov_b32_e32 v1, s1
	s_sub_i32 s0, s43, s44
	v_sub_co_u32_e32 v1, vcc, s42, v1
	s_cmp_lg_u64 vcc, 0
	s_subb_u32 s42, s0, s39
	v_subrev_co_u32_e64 v3, s[0:1], s38, v1
	s_cmp_lg_u64 s[0:1], 0
	s_subb_u32 s0, s42, 0
	s_cmp_ge_u32 s0, s39
	v_readfirstlane_b32 s42, v3
	s_cselect_b32 s1, -1, 0
	s_cmp_ge_u32 s42, s38
	s_cselect_b32 s42, -1, 0
	s_cmp_eq_u32 s0, s39
	s_cselect_b32 s0, s42, s1
	s_add_u32 s1, s15, 1
	s_addc_u32 s42, s27, 0
	s_add_u32 s45, s15, 2
	s_addc_u32 s46, s27, 0
	s_cmp_lg_u32 s0, 0
	s_cselect_b32 s0, s45, s1
	s_cselect_b32 s1, s46, s42
	s_cmp_lg_u64 vcc, 0
	s_subb_u32 s42, s43, s44
	s_cmp_ge_u32 s42, s39
	v_readfirstlane_b32 s44, v1
	s_cselect_b32 s43, -1, 0
	s_cmp_ge_u32 s44, s38
	s_cselect_b32 s38, -1, 0
	s_cmp_eq_u32 s42, s39
	s_cselect_b32 s38, s38, s43
	s_cmp_lg_u32 s38, 0
	s_cselect_b32 s1, s1, s27
	s_cselect_b32 s0, s0, s15
	s_xor_b64 s[2:3], s[40:41], s[2:3]
	s_xor_b64 s[0:1], s[0:1], s[2:3]
	s_sub_u32 s2, s0, s2
	s_subb_u32 s3, s1, s3
	s_cbranch_execnz .LBB68_7
.LBB68_6:
	v_cvt_f32_u32_e32 v1, s36
	s_sub_i32 s0, 0, s36
	s_mov_b32 s3, 0
	v_rcp_iflag_f32_e32 v1, v1
	v_mul_f32_e32 v1, 0x4f7ffffe, v1
	v_cvt_u32_f32_e32 v1, v1
	v_readfirstlane_b32 s1, v1
	s_mul_i32 s0, s0, s1
	s_mul_hi_u32 s0, s1, s0
	s_add_i32 s1, s1, s0
	s_mul_hi_u32 s0, s28, s1
	s_mul_i32 s2, s0, s36
	s_sub_i32 s2, s28, s2
	s_add_i32 s1, s0, 1
	s_sub_i32 s10, s2, s36
	s_cmp_ge_u32 s2, s36
	s_cselect_b32 s0, s1, s0
	s_cselect_b32 s2, s10, s2
	s_add_i32 s1, s0, 1
	s_cmp_ge_u32 s2, s36
	s_cselect_b32 s2, s1, s0
.LBB68_7:
	s_mul_i32 s0, s2, s37
	s_mul_hi_u32 s1, s2, s36
	s_load_dwordx2 s[10:11], s[6:7], 0x78
	s_add_i32 s0, s1, s0
	s_mul_i32 s1, s3, s36
	s_add_i32 s0, s0, s1
	s_mul_i32 s1, s2, s36
	s_sub_u32 s15, s28, s1
	s_subb_u32 s0, s29, s0
	v_cmp_gt_i32_e32 vcc, s26, v2
	s_mul_hi_u32 s42, s2, s12
	s_mul_i32 s43, s3, s12
	s_mul_i32 s44, s2, s12
	s_mul_hi_u32 s41, s15, s13
	s_mul_i32 s3, s0, s13
	s_mul_i32 s40, s15, s13
	s_and_saveexec_b64 s[28:29], vcc
	s_cbranch_execz .LBB68_42
; %bb.8:
	s_load_dwordx2 s[0:1], s[4:5], 0x4
	v_bfe_u32 v1, v0, 10, 10
	s_mul_i32 s4, s8, s17
	s_ashr_i32 s27, s26, 31
	s_load_dword s5, s[6:7], 0x8c
	s_waitcnt lgkmcnt(0)
	s_lshr_b32 s0, s0, 16
	s_mul_i32 s0, s0, s1
	v_mul_lo_u32 v3, s0, v2
	s_mul_hi_u32 s0, s8, s16
	v_mad_u32_u24 v1, v1, s1, v3
	s_add_i32 s1, s0, s4
	s_mul_i32 s0, s8, s16
	s_lshl_b64 s[0:1], s[0:1], 1
	s_add_u32 s45, s20, s0
	s_addc_u32 s46, s21, s1
	s_ashr_i32 s4, s12, 31
	s_mul_i32 s4, s2, s4
	s_add_i32 s4, s42, s4
	s_add_i32 s16, s4, s43
	s_ashr_i32 s4, s13, 31
	s_mul_i32 s4, s15, s4
	s_add_i32 s4, s41, s4
	s_and_b32 s48, s5, 0xffff
	s_add_i32 s17, s4, s3
	s_ashr_i32 s36, s14, 31
	s_lshl_b32 s50, s48, 1
	s_lshl_b64 s[4:5], s[26:27], 1
	s_add_u32 s34, s34, s4
	s_addc_u32 s35, s35, s5
	s_add_u32 s51, s30, s34
	s_addc_u32 s52, s31, s35
	s_add_u32 s0, s0, s4
	s_addc_u32 s1, s1, s5
	s_add_u32 s53, s20, s0
	s_addc_u32 s54, s21, s1
	s_add_u32 s0, s44, s40
	s_addc_u32 s1, s16, s17
	s_add_u32 s0, s0, s14
	s_load_dword s47, s[10:11], 0x0
	s_addc_u32 s1, s1, s36
	s_add_u32 s0, s24, s0
	v_bfe_u32 v0, v0, 20, 10
	s_addc_u32 s1, s25, s1
	v_add_lshl_u32 v3, v1, v0, 1
	v_mov_b32_e32 v0, s1
	v_add_co_u32_e32 v6, vcc, s0, v2
	v_add_u32_e32 v5, 0x800, v3
	s_mov_b32 s49, 0
	v_mov_b32_e32 v1, 0
	v_lshlrev_b32_e32 v4, 1, v2
	v_addc_co_u32_e32 v7, vcc, 0, v0, vcc
	s_mov_b64 s[4:5], 0
	s_movk_i32 s55, 0x7fff
	v_mov_b32_e32 v12, 0x7fc00000
	v_mov_b32_e32 v13, 0x7fc0
	s_movk_i32 s56, 0x80
	s_mov_b64 s[16:17], 0x7f800000
	s_mov_b64 s[20:21], 0x43e00001
	s_movk_i32 s57, 0x7a
	s_mov_b64 s[30:31], 0xffffff
	s_movk_i32 s58, 0x7f
	v_mov_b32_e32 v14, 0xffffff82
	v_mov_b32_e32 v15, 0x78
	;; [unrolled: 1-line block ×3, first 2 shown]
	s_branch .LBB68_10
.LBB68_9:                               ;   in Loop: Header=BB68_10 Depth=1
	s_or_b64 exec, exec, s[0:1]
	s_add_u32 s9, s9, s50
	s_addc_u32 s33, s33, 0
	s_add_u32 s51, s51, s50
	s_addc_u32 s52, s52, 0
	s_add_u32 s53, s53, s50
	v_mov_b32_e32 v0, s27
	v_add_co_u32_e32 v10, vcc, s26, v6
	s_addc_u32 s54, s54, 0
	v_addc_co_u32_e32 v11, vcc, v7, v0, vcc
	v_add_u32_e32 v16, s48, v16
	s_add_u32 s45, s45, s50
	s_addc_u32 s46, s46, 0
	v_cmp_le_i32_e32 vcc, s26, v16
	v_mov_b32_e32 v0, s49
	s_or_b64 s[4:5], vcc, s[4:5]
	v_add_co_u32_e32 v6, vcc, s48, v6
	v_addc_co_u32_e32 v7, vcc, v7, v0, vcc
	global_store_byte v[10:11], v9, off
	s_andn2_b64 exec, exec, s[4:5]
	s_cbranch_execz .LBB68_42
.LBB68_10:                              ; =>This Inner Loop Header: Depth=1
	v_mov_b32_e32 v0, s33
	v_add_co_u32_e32 v8, vcc, s9, v4
	v_addc_co_u32_e32 v9, vcc, 0, v0, vcc
	global_load_ushort v0, v[8:9], off
	v_mov_b32_e32 v9, s52
	v_add_co_u32_e32 v8, vcc, s51, v4
	v_addc_co_u32_e32 v9, vcc, 0, v9, vcc
	global_load_ushort v17, v[8:9], off
	v_mov_b32_e32 v9, s46
	v_add_co_u32_e32 v8, vcc, s45, v4
	v_addc_co_u32_e32 v9, vcc, 0, v9, vcc
	v_mov_b32_e32 v11, s54
	v_add_co_u32_e32 v10, vcc, s53, v4
	v_addc_co_u32_e32 v11, vcc, 0, v11, vcc
	global_load_ushort v18, v[8:9], off
	global_load_ushort v20, v[10:11], off
	v_mov_b32_e32 v19, v1
	s_waitcnt vmcnt(3)
	v_cvt_f32_f16_e32 v25, v0
	s_waitcnt vmcnt(2)
	v_cvt_f32_f16_e32 v24, v17
	v_cmp_o_f16_e32 vcc, v17, v17
	v_bfe_u32 v26, v24, 16, 1
	v_add3_u32 v24, v24, v26, s55
	v_and_b32_e32 v24, 0xffff0000, v24
	s_waitcnt vmcnt(1)
	v_lshlrev_b32_e32 v21, 16, v18
	v_bfe_u32 v18, v25, 16, 1
	v_add3_u32 v18, v25, v18, s55
	s_waitcnt vmcnt(0)
	v_lshlrev_b32_e32 v20, 16, v20
	v_and_b32_e32 v18, 0xffff0000, v18
	v_cndmask_b32_e32 v25, v12, v24, vcc
	v_cmp_o_f16_e32 vcc, v0, v0
	v_mov_b32_e32 v22, v21
	v_mov_b32_e32 v23, v20
	v_cndmask_b32_e32 v24, v12, v18, vcc
	v_pk_mul_f32 v[22:23], v[24:25], v[22:23]
	v_bfe_u32 v17, v23, 16, 1
	v_pk_mul_f32 v[20:21], v[24:25], v[20:21]
	v_bfe_u32 v0, v22, 16, 1
	v_add3_u32 v17, v23, v17, s55
	v_bfe_u32 v24, v21, 16, 1
	v_add3_u32 v0, v22, v0, s55
	v_and_b32_e32 v17, 0xffff0000, v17
	v_cmp_o_f32_e32 vcc, v23, v23
	v_bfe_u32 v18, v20, 16, 1
	v_add3_u32 v24, v21, v24, s55
	v_and_b32_e32 v0, 0xffff0000, v0
	v_cndmask_b32_e32 v17, v12, v17, vcc
	v_cmp_o_f32_e32 vcc, v22, v22
	v_add3_u32 v18, v20, v18, s55
	v_and_b32_e32 v24, 0xffff0000, v24
	v_cndmask_b32_e32 v0, v12, v0, vcc
	v_cmp_o_f32_e32 vcc, v21, v21
	v_and_b32_e32 v18, 0xffff0000, v18
	v_cndmask_b32_e32 v21, v12, v24, vcc
	v_cmp_o_f32_e32 vcc, v20, v20
	v_cndmask_b32_e32 v18, v12, v18, vcc
	v_sub_f32_e32 v0, v0, v17
	v_add_f32_e32 v17, v18, v21
	v_bfe_u32 v18, v0, 16, 1
	v_add3_u32 v18, v0, v18, s55
	v_lshrrev_b32_e32 v18, 16, v18
	v_cmp_o_f32_e32 vcc, v0, v0
	v_cndmask_b32_e32 v0, v13, v18, vcc
	ds_write_b16 v5, v0
	ds_read_b32 v18, v5
	v_bfe_u32 v20, v17, 16, 1
	v_add3_u32 v20, v17, v20, s55
	v_lshrrev_b32_e32 v20, 16, v20
	v_cmp_o_f32_e32 vcc, v17, v17
	v_cndmask_b32_e32 v17, v13, v20, vcc
	ds_write_b16 v3, v17
	global_store_short v[8:9], v0, off
	global_store_short v[10:11], v17, off
	s_waitcnt lgkmcnt(0)
	v_div_scale_f32 v0, s[0:1], s47, s47, v18
	v_rcp_f32_e32 v8, v0
	v_div_scale_f32 v9, vcc, v18, s47, v18
	ds_read_b32 v10, v3
	v_fma_f32 v11, -v0, v8, 1.0
	v_fmac_f32_e32 v8, v11, v8
	v_mul_f32_e32 v11, v9, v8
	v_fma_f32 v17, -v0, v11, v9
	v_fmac_f32_e32 v11, v17, v8
	v_fma_f32 v0, -v0, v11, v9
	v_div_fmas_f32 v0, v0, v8, v11
	v_div_fixup_f32 v8, v0, s47, v18
	v_and_b32_sdwa v11, v8, s56 dst_sel:DWORD dst_unused:UNUSED_PAD src0_sel:BYTE_3 src1_sel:DWORD
	v_and_b32_e32 v18, 0x7f800000, v8
	v_and_b32_e32 v0, 0x7fffff, v8
	v_or_b32_e32 v9, 0x7e, v11
	v_cmp_ne_u64_e32 vcc, s[16:17], v[18:19]
	s_and_saveexec_b64 s[0:1], vcc
	s_xor_b64 s[34:35], exec, s[0:1]
	s_cbranch_execz .LBB68_24
; %bb.11:                               ;   in Loop: Header=BB68_10 Depth=1
	v_and_b32_e32 v18, 0x7fffffff, v8
	v_mov_b32_e32 v19, v1
	v_cmp_gt_u64_e32 vcc, s[20:21], v[18:19]
	s_and_saveexec_b64 s[0:1], vcc
	s_xor_b64 s[36:37], exec, s[0:1]
	s_cbranch_execz .LBB68_23
; %bb.12:                               ;   in Loop: Header=BB68_10 Depth=1
	v_cmp_ne_u32_e32 vcc, 0, v8
	v_mov_b32_e32 v9, 0
	s_and_saveexec_b64 s[38:39], vcc
	s_cbranch_execz .LBB68_22
; %bb.13:                               ;   in Loop: Header=BB68_10 Depth=1
	v_bfe_u32 v8, v8, 23, 8
	v_sub_u32_e32 v17, 0x79, v8
	v_cmp_gt_u32_e32 vcc, s57, v8
	v_cndmask_b32_e32 v17, 0, v17, vcc
	v_cmp_eq_u32_e32 vcc, 0, v8
	v_cndmask_b32_e32 v17, v17, v15, vcc
	v_add_u32_e32 v9, 0xffffff81, v8
	v_or_b32_e32 v18, 0x800000, v0
	v_add_u32_e32 v8, 20, v17
	v_cndmask_b32_e32 v19, v9, v14, vcc
	v_cndmask_b32_e32 v0, v18, v0, vcc
	v_lshlrev_b64 v[8:9], v8, -1
	v_not_b32_e32 v8, v8
	v_lshrrev_b64 v[22:23], v17, v[0:1]
	v_not_b32_e32 v9, v9
	v_and_b32_e32 v8, v0, v8
	v_add_u32_e32 v18, 19, v17
	v_lshrrev_b32_e32 v0, 23, v22
	v_and_b32_e32 v9, 0, v9
	v_lshlrev_b64 v[20:21], v18, 1
	v_add3_u32 v18, v17, v19, v0
	v_bfe_u32 v0, v22, 20, 1
	v_add_u32_e32 v0, -1, v0
	v_cmp_eq_u64_e32 vcc, v[8:9], v[20:21]
	v_cndmask_b32_e32 v0, 0, v0, vcc
	v_add_u32_e32 v0, v0, v22
	v_and_b32_e32 v0, 0xfffff, v0
	v_add_co_u32_e32 v8, vcc, v0, v22
	v_add_u32_e32 v17, 6, v18
	v_addc_co_u32_e32 v9, vcc, 0, v23, vcc
	v_cmp_ne_u32_e32 vcc, 0, v17
                                        ; implicit-def: $vgpr0
	s_and_saveexec_b64 s[0:1], vcc
	s_xor_b64 s[0:1], exec, s[0:1]
; %bb.14:                               ;   in Loop: Header=BB68_10 Depth=1
	v_add_u32_e32 v0, 7, v18
	v_cmp_lt_u64_e32 vcc, s[30:31], v[8:9]
	v_cndmask_b32_e32 v0, v17, v0, vcc
	v_cndmask_b32_e64 v17, 0, 1, vcc
	v_lshrrev_b64 v[8:9], v17, v[8:9]
; %bb.15:                               ;   in Loop: Header=BB68_10 Depth=1
	s_andn2_saveexec_b64 s[0:1], s[0:1]
; %bb.16:                               ;   in Loop: Header=BB68_10 Depth=1
	v_bfe_u32 v0, v8, 23, 1
; %bb.17:                               ;   in Loop: Header=BB68_10 Depth=1
	s_or_b64 exec, exec, s[0:1]
	v_lshrrev_b64 v[8:9], 20, v[8:9]
	v_cmp_gt_i32_e32 vcc, 16, v0
	v_cndmask_b32_e32 v9, 0, v9, vcc
	v_cndmask_b32_e32 v8, 7, v8, vcc
	v_cmp_ne_u32_e32 vcc, 0, v0
	v_cmp_ne_u64_e64 s[0:1], 0, v[8:9]
	s_or_b64 s[0:1], vcc, s[0:1]
                                        ; implicit-def: $vgpr9
	s_and_saveexec_b64 s[60:61], s[0:1]
	s_xor_b64 s[0:1], exec, s[60:61]
; %bb.18:                               ;   in Loop: Header=BB68_10 Depth=1
	v_min_i32_e32 v0, 15, v0
	v_lshl_or_b32 v0, v0, 3, v11
	v_and_or_b32 v9, v8, 7, v0
                                        ; implicit-def: $vgpr11
; %bb.19:                               ;   in Loop: Header=BB68_10 Depth=1
	s_andn2_saveexec_b64 s[0:1], s[0:1]
; %bb.20:                               ;   in Loop: Header=BB68_10 Depth=1
	v_mov_b32_e32 v9, v11
; %bb.21:                               ;   in Loop: Header=BB68_10 Depth=1
	s_or_b64 exec, exec, s[0:1]
.LBB68_22:                              ;   in Loop: Header=BB68_10 Depth=1
	s_or_b64 exec, exec, s[38:39]
.LBB68_23:                              ;   in Loop: Header=BB68_10 Depth=1
	s_andn2_saveexec_b64 s[0:1], s[36:37]
	s_or_b64 exec, exec, s[0:1]
                                        ; implicit-def: $vgpr8
.LBB68_24:                              ;   in Loop: Header=BB68_10 Depth=1
	s_andn2_saveexec_b64 s[0:1], s[34:35]
; %bb.25:                               ;   in Loop: Header=BB68_10 Depth=1
	v_or_b32_sdwa v8, v8, s58 dst_sel:DWORD dst_unused:UNUSED_PAD src0_sel:BYTE_3 src1_sel:DWORD
	v_cmp_eq_u64_e32 vcc, 0, v[0:1]
	v_cndmask_b32_e32 v9, v8, v9, vcc
; %bb.26:                               ;   in Loop: Header=BB68_10 Depth=1
	s_or_b64 exec, exec, s[0:1]
	s_waitcnt lgkmcnt(0)
	v_div_scale_f32 v0, s[0:1], s47, s47, v10
	v_rcp_f32_e32 v8, v0
	global_store_byte v[6:7], v9, off
	v_mov_b32_e32 v19, v1
	v_fma_f32 v9, -v0, v8, 1.0
	v_fmac_f32_e32 v8, v9, v8
	v_div_scale_f32 v9, vcc, v10, s47, v10
	v_mul_f32_e32 v11, v9, v8
	v_fma_f32 v17, -v0, v11, v9
	v_fmac_f32_e32 v11, v17, v8
	v_fma_f32 v0, -v0, v11, v9
	v_div_fmas_f32 v0, v0, v8, v11
	v_div_fixup_f32 v8, v0, s47, v10
	v_and_b32_sdwa v10, v8, s56 dst_sel:DWORD dst_unused:UNUSED_PAD src0_sel:BYTE_3 src1_sel:DWORD
	v_and_b32_e32 v18, 0x7f800000, v8
	v_and_b32_e32 v0, 0x7fffff, v8
	v_or_b32_e32 v9, 0x7e, v10
	v_cmp_ne_u64_e32 vcc, s[16:17], v[18:19]
	s_and_saveexec_b64 s[0:1], vcc
	s_xor_b64 s[34:35], exec, s[0:1]
	s_cbranch_execz .LBB68_40
; %bb.27:                               ;   in Loop: Header=BB68_10 Depth=1
	v_and_b32_e32 v18, 0x7fffffff, v8
	v_mov_b32_e32 v19, v1
	v_cmp_gt_u64_e32 vcc, s[20:21], v[18:19]
	s_and_saveexec_b64 s[0:1], vcc
	s_xor_b64 s[36:37], exec, s[0:1]
	s_cbranch_execz .LBB68_39
; %bb.28:                               ;   in Loop: Header=BB68_10 Depth=1
	v_cmp_ne_u32_e32 vcc, 0, v8
	v_mov_b32_e32 v9, 0
	s_and_saveexec_b64 s[38:39], vcc
	s_cbranch_execz .LBB68_38
; %bb.29:                               ;   in Loop: Header=BB68_10 Depth=1
	v_bfe_u32 v8, v8, 23, 8
	v_sub_u32_e32 v11, 0x79, v8
	v_cmp_gt_u32_e32 vcc, s57, v8
	v_cndmask_b32_e32 v11, 0, v11, vcc
	v_cmp_eq_u32_e32 vcc, 0, v8
	v_cndmask_b32_e32 v11, v11, v15, vcc
	v_add_u32_e32 v9, 0xffffff81, v8
	v_or_b32_e32 v17, 0x800000, v0
	v_add_u32_e32 v8, 20, v11
	v_cndmask_b32_e32 v22, v9, v14, vcc
	v_cndmask_b32_e32 v0, v17, v0, vcc
	v_lshlrev_b64 v[8:9], v8, -1
	v_not_b32_e32 v8, v8
	v_lshrrev_b64 v[20:21], v11, v[0:1]
	v_not_b32_e32 v9, v9
	v_and_b32_e32 v8, v0, v8
	v_add_u32_e32 v17, 19, v11
	v_lshrrev_b32_e32 v0, 23, v20
	v_and_b32_e32 v9, 0, v9
	v_lshlrev_b64 v[18:19], v17, 1
	v_add3_u32 v17, v11, v22, v0
	v_bfe_u32 v0, v20, 20, 1
	v_add_u32_e32 v0, -1, v0
	v_cmp_eq_u64_e32 vcc, v[8:9], v[18:19]
	v_cndmask_b32_e32 v0, 0, v0, vcc
	v_add_u32_e32 v0, v0, v20
	v_and_b32_e32 v0, 0xfffff, v0
	v_add_co_u32_e32 v8, vcc, v0, v20
	v_add_u32_e32 v11, 6, v17
	v_addc_co_u32_e32 v9, vcc, 0, v21, vcc
	v_cmp_ne_u32_e32 vcc, 0, v11
                                        ; implicit-def: $vgpr0
	s_and_saveexec_b64 s[0:1], vcc
	s_xor_b64 s[0:1], exec, s[0:1]
; %bb.30:                               ;   in Loop: Header=BB68_10 Depth=1
	v_add_u32_e32 v0, 7, v17
	v_cmp_lt_u64_e32 vcc, s[30:31], v[8:9]
	v_cndmask_b32_e32 v0, v11, v0, vcc
	v_cndmask_b32_e64 v11, 0, 1, vcc
	v_lshrrev_b64 v[8:9], v11, v[8:9]
; %bb.31:                               ;   in Loop: Header=BB68_10 Depth=1
	s_andn2_saveexec_b64 s[0:1], s[0:1]
; %bb.32:                               ;   in Loop: Header=BB68_10 Depth=1
	v_bfe_u32 v0, v8, 23, 1
; %bb.33:                               ;   in Loop: Header=BB68_10 Depth=1
	s_or_b64 exec, exec, s[0:1]
	v_lshrrev_b64 v[8:9], 20, v[8:9]
	v_cmp_gt_i32_e32 vcc, 16, v0
	v_cndmask_b32_e32 v9, 0, v9, vcc
	v_cndmask_b32_e32 v8, 7, v8, vcc
	v_cmp_ne_u32_e32 vcc, 0, v0
	v_cmp_ne_u64_e64 s[0:1], 0, v[8:9]
	s_or_b64 s[0:1], vcc, s[0:1]
                                        ; implicit-def: $vgpr9
	s_and_saveexec_b64 s[60:61], s[0:1]
	s_xor_b64 s[0:1], exec, s[60:61]
; %bb.34:                               ;   in Loop: Header=BB68_10 Depth=1
	v_min_i32_e32 v0, 15, v0
	v_lshl_or_b32 v0, v0, 3, v10
	v_and_or_b32 v9, v8, 7, v0
                                        ; implicit-def: $vgpr10
; %bb.35:                               ;   in Loop: Header=BB68_10 Depth=1
	s_andn2_saveexec_b64 s[0:1], s[0:1]
; %bb.36:                               ;   in Loop: Header=BB68_10 Depth=1
	v_mov_b32_e32 v9, v10
; %bb.37:                               ;   in Loop: Header=BB68_10 Depth=1
	s_or_b64 exec, exec, s[0:1]
.LBB68_38:                              ;   in Loop: Header=BB68_10 Depth=1
	s_or_b64 exec, exec, s[38:39]
.LBB68_39:                              ;   in Loop: Header=BB68_10 Depth=1
	s_andn2_saveexec_b64 s[0:1], s[36:37]
	s_or_b64 exec, exec, s[0:1]
                                        ; implicit-def: $vgpr8
.LBB68_40:                              ;   in Loop: Header=BB68_10 Depth=1
	s_andn2_saveexec_b64 s[0:1], s[34:35]
	s_cbranch_execz .LBB68_9
; %bb.41:                               ;   in Loop: Header=BB68_10 Depth=1
	v_or_b32_sdwa v8, v8, s58 dst_sel:DWORD dst_unused:UNUSED_PAD src0_sel:BYTE_3 src1_sel:DWORD
	v_cmp_eq_u64_e32 vcc, 0, v[0:1]
	v_cndmask_b32_e32 v9, v8, v9, vcc
	s_branch .LBB68_9
.LBB68_42:
	s_or_b64 exec, exec, s[28:29]
	v_cmp_gt_i32_e32 vcc, s14, v2
	s_and_saveexec_b64 s[0:1], vcc
	s_cbranch_execz .LBB68_61
; %bb.43:
	s_mul_i32 s0, s8, s19
	s_mul_hi_u32 s1, s8, s18
	s_add_i32 s1, s1, s0
	s_mul_i32 s0, s8, s18
	s_lshl_b64 s[0:1], s[0:1], 1
	s_add_u32 s18, s22, s0
	s_addc_u32 s0, s23, s1
	s_ashr_i32 s1, s12, 31
	s_mul_i32 s1, s2, s1
	s_add_i32 s1, s42, s1
	s_add_i32 s1, s1, s43
	s_add_u32 s2, s24, s44
	s_addc_u32 s1, s25, s1
	s_ashr_i32 s4, s13, 31
	s_load_dword s5, s[6:7], 0x8c
	s_mul_i32 s15, s15, s4
	s_waitcnt lgkmcnt(0)
	s_load_dword s20, s[10:11], 0x0
	s_add_i32 s4, s41, s15
	s_add_i32 s4, s4, s3
	s_add_u32 s15, s2, s40
	s_addc_u32 s19, s1, s4
	s_and_b32 s21, s5, 0xffff
	s_mov_b64 s[2:3], 0
	v_mov_b32_e32 v6, s0
	v_mov_b32_e32 v1, 0
	s_movk_i32 s22, 0x80
	s_mov_b64 s[4:5], 0x7f800000
	s_mov_b64 s[6:7], 0x43e00001
	s_movk_i32 s23, 0x7a
	s_mov_b64 s[8:9], 0xffffff
	s_movk_i32 s24, 0x7f
	v_mov_b32_e32 v7, 0xffffff82
	v_mov_b32_e32 v8, 0x78
	s_branch .LBB68_45
.LBB68_44:                              ;   in Loop: Header=BB68_45 Depth=1
	s_or_b64 exec, exec, s[0:1]
	v_mov_b32_e32 v0, s19
	v_add_co_u32_e32 v10, vcc, s15, v2
	v_addc_co_u32_e32 v11, vcc, v0, v3, vcc
	v_add_u32_e32 v2, s21, v2
	v_cmp_le_i32_e32 vcc, s14, v2
	s_or_b64 s[2:3], vcc, s[2:3]
	global_store_byte v[10:11], v5, off
	s_andn2_b64 exec, exec, s[2:3]
	s_cbranch_execz .LBB68_61
.LBB68_45:                              ; =>This Inner Loop Header: Depth=1
	v_ashrrev_i32_e32 v3, 31, v2
	v_lshlrev_b64 v[4:5], 1, v[2:3]
	v_add_co_u32_e32 v4, vcc, s18, v4
	v_addc_co_u32_e32 v5, vcc, v6, v5, vcc
	global_load_dword v0, v[4:5], off
	v_mov_b32_e32 v11, v1
	s_waitcnt vmcnt(0) lgkmcnt(0)
	v_div_scale_f32 v4, s[0:1], s20, s20, v0
	v_rcp_f32_e32 v5, v4
	v_div_scale_f32 v9, vcc, v0, s20, v0
	v_fma_f32 v10, -v4, v5, 1.0
	v_fmac_f32_e32 v5, v10, v5
	v_mul_f32_e32 v10, v9, v5
	v_fma_f32 v12, -v4, v10, v9
	v_fmac_f32_e32 v10, v12, v5
	v_fma_f32 v4, -v4, v10, v9
	v_div_fmas_f32 v4, v4, v5, v10
	v_div_fixup_f32 v4, v4, s20, v0
	v_and_b32_sdwa v9, v4, s22 dst_sel:DWORD dst_unused:UNUSED_PAD src0_sel:BYTE_3 src1_sel:DWORD
	v_and_b32_e32 v10, 0x7f800000, v4
	v_and_b32_e32 v0, 0x7fffff, v4
	v_or_b32_e32 v5, 0x7e, v9
	v_cmp_ne_u64_e32 vcc, s[4:5], v[10:11]
	s_and_saveexec_b64 s[0:1], vcc
	s_xor_b64 s[10:11], exec, s[0:1]
	s_cbranch_execz .LBB68_59
; %bb.46:                               ;   in Loop: Header=BB68_45 Depth=1
	v_and_b32_e32 v10, 0x7fffffff, v4
	v_mov_b32_e32 v11, v1
	v_cmp_gt_u64_e32 vcc, s[6:7], v[10:11]
	s_and_saveexec_b64 s[0:1], vcc
	s_xor_b64 s[12:13], exec, s[0:1]
	s_cbranch_execz .LBB68_58
; %bb.47:                               ;   in Loop: Header=BB68_45 Depth=1
	v_cmp_ne_u32_e32 vcc, 0, v4
	v_mov_b32_e32 v5, 0
	s_and_saveexec_b64 s[16:17], vcc
	s_cbranch_execz .LBB68_57
; %bb.48:                               ;   in Loop: Header=BB68_45 Depth=1
	v_bfe_u32 v4, v4, 23, 8
	v_sub_u32_e32 v10, 0x79, v4
	v_cmp_gt_u32_e32 vcc, s23, v4
	v_cndmask_b32_e32 v10, 0, v10, vcc
	v_cmp_eq_u32_e32 vcc, 0, v4
	v_cndmask_b32_e32 v10, v10, v8, vcc
	v_add_u32_e32 v5, 0xffffff81, v4
	v_or_b32_e32 v11, 0x800000, v0
	v_add_u32_e32 v4, 20, v10
	v_cndmask_b32_e32 v16, v5, v7, vcc
	v_cndmask_b32_e32 v0, v11, v0, vcc
	v_lshlrev_b64 v[4:5], v4, -1
	v_not_b32_e32 v4, v4
	v_lshrrev_b64 v[14:15], v10, v[0:1]
	v_not_b32_e32 v5, v5
	v_and_b32_e32 v4, v0, v4
	v_add_u32_e32 v11, 19, v10
	v_lshrrev_b32_e32 v0, 23, v14
	v_and_b32_e32 v5, 0, v5
	v_lshlrev_b64 v[12:13], v11, 1
	v_add3_u32 v11, v10, v16, v0
	v_bfe_u32 v0, v14, 20, 1
	v_add_u32_e32 v0, -1, v0
	v_cmp_eq_u64_e32 vcc, v[4:5], v[12:13]
	v_cndmask_b32_e32 v0, 0, v0, vcc
	v_add_u32_e32 v0, v0, v14
	v_and_b32_e32 v0, 0xfffff, v0
	v_add_co_u32_e32 v4, vcc, v0, v14
	v_add_u32_e32 v10, 6, v11
	v_addc_co_u32_e32 v5, vcc, 0, v15, vcc
	v_cmp_ne_u32_e32 vcc, 0, v10
                                        ; implicit-def: $vgpr0
	s_and_saveexec_b64 s[0:1], vcc
	s_xor_b64 s[0:1], exec, s[0:1]
; %bb.49:                               ;   in Loop: Header=BB68_45 Depth=1
	v_add_u32_e32 v0, 7, v11
	v_cmp_lt_u64_e32 vcc, s[8:9], v[4:5]
	v_cndmask_b32_e32 v0, v10, v0, vcc
	v_cndmask_b32_e64 v10, 0, 1, vcc
	v_lshrrev_b64 v[4:5], v10, v[4:5]
; %bb.50:                               ;   in Loop: Header=BB68_45 Depth=1
	s_andn2_saveexec_b64 s[0:1], s[0:1]
; %bb.51:                               ;   in Loop: Header=BB68_45 Depth=1
	v_bfe_u32 v0, v4, 23, 1
; %bb.52:                               ;   in Loop: Header=BB68_45 Depth=1
	s_or_b64 exec, exec, s[0:1]
	v_lshrrev_b64 v[4:5], 20, v[4:5]
	v_cmp_gt_i32_e32 vcc, 16, v0
	v_cndmask_b32_e32 v5, 0, v5, vcc
	v_cndmask_b32_e32 v4, 7, v4, vcc
	v_cmp_ne_u32_e32 vcc, 0, v0
	v_cmp_ne_u64_e64 s[0:1], 0, v[4:5]
	s_or_b64 s[0:1], vcc, s[0:1]
                                        ; implicit-def: $vgpr5
	s_and_saveexec_b64 s[26:27], s[0:1]
	s_xor_b64 s[0:1], exec, s[26:27]
; %bb.53:                               ;   in Loop: Header=BB68_45 Depth=1
	v_min_i32_e32 v0, 15, v0
	v_lshl_or_b32 v0, v0, 3, v9
	v_and_or_b32 v5, v4, 7, v0
                                        ; implicit-def: $vgpr9
; %bb.54:                               ;   in Loop: Header=BB68_45 Depth=1
	s_andn2_saveexec_b64 s[0:1], s[0:1]
; %bb.55:                               ;   in Loop: Header=BB68_45 Depth=1
	v_mov_b32_e32 v5, v9
; %bb.56:                               ;   in Loop: Header=BB68_45 Depth=1
	s_or_b64 exec, exec, s[0:1]
.LBB68_57:                              ;   in Loop: Header=BB68_45 Depth=1
	s_or_b64 exec, exec, s[16:17]
.LBB68_58:                              ;   in Loop: Header=BB68_45 Depth=1
	s_andn2_saveexec_b64 s[0:1], s[12:13]
	s_or_b64 exec, exec, s[0:1]
                                        ; implicit-def: $vgpr4
.LBB68_59:                              ;   in Loop: Header=BB68_45 Depth=1
	s_andn2_saveexec_b64 s[0:1], s[10:11]
	s_cbranch_execz .LBB68_44
; %bb.60:                               ;   in Loop: Header=BB68_45 Depth=1
	v_or_b32_sdwa v4, v4, s24 dst_sel:DWORD dst_unused:UNUSED_PAD src0_sel:BYTE_3 src1_sel:DWORD
	v_cmp_eq_u64_e32 vcc, 0, v[0:1]
	v_cndmask_b32_e32 v5, v4, v5, vcc
	s_branch .LBB68_44
.LBB68_61:
	s_endpgm
.LBB68_62:
                                        ; implicit-def: $sgpr2_sgpr3
	s_branch .LBB68_6
	.section	.rodata,"a",@progbits
	.p2align	6, 0x0
	.amdhsa_kernel _ZN4vllm38concat_and_cache_mla_rope_fused_kernelIN3c108BFloat16ENS1_4HalfELb1EfhLNS_18Fp8KVCacheDataTypeE1EEEvPKlPT_S8_PKS7_PKT0_illlliPT3_S6_iiiiPKf
		.amdhsa_group_segment_fixed_size 4096
		.amdhsa_private_segment_fixed_size 0
		.amdhsa_kernarg_size 384
		.amdhsa_user_sgpr_count 8
		.amdhsa_user_sgpr_private_segment_buffer 1
		.amdhsa_user_sgpr_dispatch_ptr 1
		.amdhsa_user_sgpr_queue_ptr 0
		.amdhsa_user_sgpr_kernarg_segment_ptr 1
		.amdhsa_user_sgpr_dispatch_id 0
		.amdhsa_user_sgpr_flat_scratch_init 0
		.amdhsa_user_sgpr_kernarg_preload_length 0
		.amdhsa_user_sgpr_kernarg_preload_offset 0
		.amdhsa_user_sgpr_private_segment_size 0
		.amdhsa_uses_dynamic_stack 0
		.amdhsa_system_sgpr_private_segment_wavefront_offset 0
		.amdhsa_system_sgpr_workgroup_id_x 1
		.amdhsa_system_sgpr_workgroup_id_y 0
		.amdhsa_system_sgpr_workgroup_id_z 0
		.amdhsa_system_sgpr_workgroup_info 0
		.amdhsa_system_vgpr_workitem_id 2
		.amdhsa_next_free_vgpr 27
		.amdhsa_next_free_sgpr 62
		.amdhsa_accum_offset 28
		.amdhsa_reserve_vcc 1
		.amdhsa_reserve_flat_scratch 0
		.amdhsa_float_round_mode_32 0
		.amdhsa_float_round_mode_16_64 0
		.amdhsa_float_denorm_mode_32 3
		.amdhsa_float_denorm_mode_16_64 3
		.amdhsa_dx10_clamp 1
		.amdhsa_ieee_mode 1
		.amdhsa_fp16_overflow 0
		.amdhsa_tg_split 0
		.amdhsa_exception_fp_ieee_invalid_op 0
		.amdhsa_exception_fp_denorm_src 0
		.amdhsa_exception_fp_ieee_div_zero 0
		.amdhsa_exception_fp_ieee_overflow 0
		.amdhsa_exception_fp_ieee_underflow 0
		.amdhsa_exception_fp_ieee_inexact 0
		.amdhsa_exception_int_div_zero 0
	.end_amdhsa_kernel
	.section	.text._ZN4vllm38concat_and_cache_mla_rope_fused_kernelIN3c108BFloat16ENS1_4HalfELb1EfhLNS_18Fp8KVCacheDataTypeE1EEEvPKlPT_S8_PKS7_PKT0_illlliPT3_S6_iiiiPKf,"axG",@progbits,_ZN4vllm38concat_and_cache_mla_rope_fused_kernelIN3c108BFloat16ENS1_4HalfELb1EfhLNS_18Fp8KVCacheDataTypeE1EEEvPKlPT_S8_PKS7_PKT0_illlliPT3_S6_iiiiPKf,comdat
.Lfunc_end68:
	.size	_ZN4vllm38concat_and_cache_mla_rope_fused_kernelIN3c108BFloat16ENS1_4HalfELb1EfhLNS_18Fp8KVCacheDataTypeE1EEEvPKlPT_S8_PKS7_PKT0_illlliPT3_S6_iiiiPKf, .Lfunc_end68-_ZN4vllm38concat_and_cache_mla_rope_fused_kernelIN3c108BFloat16ENS1_4HalfELb1EfhLNS_18Fp8KVCacheDataTypeE1EEEvPKlPT_S8_PKS7_PKT0_illlliPT3_S6_iiiiPKf
                                        ; -- End function
	.section	.AMDGPU.csdata,"",@progbits
; Kernel info:
; codeLenInByte = 4360
; NumSgprs: 66
; NumVgprs: 27
; NumAgprs: 0
; TotalNumVgprs: 27
; ScratchSize: 0
; MemoryBound: 0
; FloatMode: 240
; IeeeMode: 1
; LDSByteSize: 4096 bytes/workgroup (compile time only)
; SGPRBlocks: 8
; VGPRBlocks: 3
; NumSGPRsForWavesPerEU: 66
; NumVGPRsForWavesPerEU: 27
; AccumOffset: 28
; Occupancy: 8
; WaveLimiterHint : 1
; COMPUTE_PGM_RSRC2:SCRATCH_EN: 0
; COMPUTE_PGM_RSRC2:USER_SGPR: 8
; COMPUTE_PGM_RSRC2:TRAP_HANDLER: 0
; COMPUTE_PGM_RSRC2:TGID_X_EN: 1
; COMPUTE_PGM_RSRC2:TGID_Y_EN: 0
; COMPUTE_PGM_RSRC2:TGID_Z_EN: 0
; COMPUTE_PGM_RSRC2:TIDIG_COMP_CNT: 2
; COMPUTE_PGM_RSRC3_GFX90A:ACCUM_OFFSET: 6
; COMPUTE_PGM_RSRC3_GFX90A:TG_SPLIT: 0
	.section	.text._ZN4vllm38concat_and_cache_mla_rope_fused_kernelIN3c108BFloat16ENS1_4HalfELb0EfhLNS_18Fp8KVCacheDataTypeE1EEEvPKlPT_S8_PKS7_PKT0_illlliPT3_S6_iiiiPKf,"axG",@progbits,_ZN4vllm38concat_and_cache_mla_rope_fused_kernelIN3c108BFloat16ENS1_4HalfELb0EfhLNS_18Fp8KVCacheDataTypeE1EEEvPKlPT_S8_PKS7_PKT0_illlliPT3_S6_iiiiPKf,comdat
	.protected	_ZN4vllm38concat_and_cache_mla_rope_fused_kernelIN3c108BFloat16ENS1_4HalfELb0EfhLNS_18Fp8KVCacheDataTypeE1EEEvPKlPT_S8_PKS7_PKT0_illlliPT3_S6_iiiiPKf ; -- Begin function _ZN4vllm38concat_and_cache_mla_rope_fused_kernelIN3c108BFloat16ENS1_4HalfELb0EfhLNS_18Fp8KVCacheDataTypeE1EEEvPKlPT_S8_PKS7_PKT0_illlliPT3_S6_iiiiPKf
	.globl	_ZN4vllm38concat_and_cache_mla_rope_fused_kernelIN3c108BFloat16ENS1_4HalfELb0EfhLNS_18Fp8KVCacheDataTypeE1EEEvPKlPT_S8_PKS7_PKT0_illlliPT3_S6_iiiiPKf
	.p2align	8
	.type	_ZN4vllm38concat_and_cache_mla_rope_fused_kernelIN3c108BFloat16ENS1_4HalfELb0EfhLNS_18Fp8KVCacheDataTypeE1EEEvPKlPT_S8_PKS7_PKT0_illlliPT3_S6_iiiiPKf,@function
_ZN4vllm38concat_and_cache_mla_rope_fused_kernelIN3c108BFloat16ENS1_4HalfELb0EfhLNS_18Fp8KVCacheDataTypeE1EEEvPKlPT_S8_PKS7_PKT0_illlliPT3_S6_iiiiPKf: ; @_ZN4vllm38concat_and_cache_mla_rope_fused_kernelIN3c108BFloat16ENS1_4HalfELb0EfhLNS_18Fp8KVCacheDataTypeE1EEEvPKlPT_S8_PKS7_PKT0_illlliPT3_S6_iiiiPKf
; %bb.0:
	s_load_dwordx2 s[2:3], s[6:7], 0x60
	s_mov_b32 s9, 0
	s_lshl_b64 s[0:1], s[8:9], 3
	s_waitcnt lgkmcnt(0)
	s_add_u32 s2, s2, s0
	s_addc_u32 s3, s3, s1
	s_load_dwordx2 s[28:29], s[2:3], 0x0
	s_waitcnt lgkmcnt(0)
	v_cmp_lt_i64_e64 s[2:3], s[28:29], 0
	s_and_b64 vcc, exec, s[2:3]
	s_cbranch_vccnz .LBB69_61
; %bb.1:
	s_load_dword s9, s[6:7], 0x28
	s_load_dwordx2 s[2:3], s[6:7], 0x0
	s_load_dwordx2 s[30:31], s[6:7], 0x20
	s_load_dwordx4 s[20:23], s[6:7], 0x10
	v_and_b32_e32 v2, 0x3ff, v0
	s_waitcnt lgkmcnt(0)
	s_ashr_i32 s24, s9, 31
	s_add_u32 s0, s2, s0
	s_addc_u32 s1, s3, s1
	s_load_dwordx2 s[10:11], s[0:1], 0x0
	s_load_dwordx8 s[12:19], s[6:7], 0x30
	s_load_dwordx2 s[2:3], s[6:7], 0x58
	s_load_dword s25, s[6:7], 0x50
	v_lshlrev_b32_e32 v5, 1, v2
	s_waitcnt lgkmcnt(0)
	s_mul_i32 s0, s10, s24
	s_mul_hi_u32 s1, s10, s9
	s_add_i32 s0, s1, s0
	s_mul_i32 s1, s11, s9
	s_add_i32 s35, s0, s1
	s_lshr_b32 s0, s9, 31
	s_mul_i32 s34, s10, s9
	s_add_i32 s9, s9, s0
	s_ashr_i32 s10, s9, 1
	s_mul_i32 s9, s10, s25
	v_cmp_gt_i32_e32 vcc, s9, v2
	s_and_saveexec_b64 s[24:25], vcc
	s_cbranch_execz .LBB69_4
; %bb.2:
	s_lshl_b64 s[0:1], s[34:35], 1
	s_add_u32 s33, s30, s0
	s_addc_u32 s26, s31, s1
	s_load_dwordx2 s[0:1], s[6:7], 0x8
	s_mul_i32 s13, s8, s13
	s_mul_hi_u32 s27, s8, s12
	s_add_i32 s13, s27, s13
	s_load_dword s27, s[6:7], 0x8c
	s_mul_i32 s12, s8, s12
	s_ashr_i32 s11, s10, 31
	s_lshl_b64 s[12:13], s[12:13], 1
	s_waitcnt lgkmcnt(0)
	s_add_u32 s36, s0, s12
	s_addc_u32 s0, s1, s13
	s_abs_i32 s37, s10
	v_cvt_f32_u32_e32 v1, s37
	s_sub_i32 s1, 0, s37
	s_and_b32 s38, s27, 0xffff
	s_sub_i32 s39, 0, s10
	v_rcp_iflag_f32_e32 v1, v1
	s_lshl_b32 s41, s38, 1
	s_mov_b64 s[12:13], 0
	s_movk_i32 s42, 0x7fff
	v_mul_f32_e32 v1, 0x4f7ffffe, v1
	v_cvt_u32_f32_e32 v1, v1
	v_mov_b32_e32 v8, s0
	v_mov_b32_e32 v9, 0x7fc00000
	;; [unrolled: 1-line block ×3, first 2 shown]
	v_mul_lo_u32 v3, s1, v1
	v_mul_hi_u32 v3, v1, v3
	v_add_u32_e32 v1, v1, v3
	s_lshl_b32 s1, s10, 1
	v_mov_b32_e32 v3, s26
	s_lshl_b64 s[26:27], s[10:11], 1
	s_sub_i32 s40, 0, s1
	v_mov_b32_e32 v7, s27
	s_mov_b32 s27, 0x5040100
	v_mov_b32_e32 v4, v5
	v_mov_b32_e32 v6, v2
.LBB69_3:                               ; =>This Inner Loop Header: Depth=1
	v_sub_u32_e32 v12, 0, v6
	v_max_i32_e32 v12, v6, v12
	v_mul_hi_u32 v13, v12, v1
	v_mul_lo_u32 v14, v13, s37
	v_sub_u32_e32 v12, v12, v14
	v_add_u32_e32 v15, 1, v13
	v_cmp_le_u32_e32 vcc, s37, v12
	v_subrev_u32_e32 v14, s37, v12
	v_cndmask_b32_e32 v13, v13, v15, vcc
	v_cndmask_b32_e32 v12, v12, v14, vcc
	v_ashrrev_i32_e32 v11, 31, v6
	v_add_u32_e32 v14, 1, v13
	v_cmp_le_u32_e32 vcc, s37, v12
	v_xor_b32_e32 v11, s11, v11
	v_cndmask_b32_e32 v12, v13, v14, vcc
	v_xor_b32_e32 v12, v12, v11
	v_sub_u32_e32 v11, v12, v11
	v_mad_u64_u32 v[12:13], s[0:1], s39, v11, v[6:7]
	v_ashrrev_i32_e32 v13, 31, v12
	v_lshlrev_b64 v[12:13], 1, v[12:13]
	v_ashrrev_i32_e32 v18, 31, v11
	v_add_co_u32_e32 v12, vcc, s33, v12
	v_mul_lo_u32 v19, v11, s15
	v_mad_u64_u32 v[14:15], s[0:1], v11, s14, 0
	v_mad_u64_u32 v[16:17], s[0:1], s40, v11, v[4:5]
	v_mul_lo_u32 v11, v18, s14
	v_addc_co_u32_e32 v13, vcc, v3, v13, vcc
	v_add3_u32 v15, v15, v19, v11
	v_add_co_u32_e32 v18, vcc, s26, v12
	v_lshlrev_b64 v[14:15], 1, v[14:15]
	v_addc_co_u32_e32 v19, vcc, v13, v7, vcc
	v_ashrrev_i32_e32 v17, 31, v16
	v_add_co_u32_e32 v11, vcc, s36, v14
	v_lshlrev_b64 v[16:17], 1, v[16:17]
	v_addc_co_u32_e32 v14, vcc, v8, v15, vcc
	global_load_ushort v20, v[12:13], off
	global_load_ushort v21, v[18:19], off
	v_add_co_u32_e32 v12, vcc, v11, v16
	v_addc_co_u32_e32 v13, vcc, v14, v17, vcc
	global_load_dword v11, v[12:13], off
	v_add_u32_e32 v6, s38, v6
	v_cmp_le_i32_e32 vcc, s9, v6
	s_or_b64 s[12:13], vcc, s[12:13]
	v_add_u32_e32 v4, s41, v4
	s_waitcnt vmcnt(2)
	v_cvt_f32_f16_e32 v16, v20
	s_waitcnt vmcnt(1)
	v_cvt_f32_f16_e32 v17, v21
	v_cmp_o_f16_e32 vcc, v20, v20
	s_waitcnt vmcnt(0)
	v_and_b32_e32 v15, 0xffff0000, v11
	v_lshlrev_b32_e32 v14, 16, v11
	v_bfe_u32 v11, v16, 16, 1
	v_add3_u32 v11, v16, v11, s42
	v_bfe_u32 v16, v17, 16, 1
	v_and_b32_e32 v11, 0xffff0000, v11
	v_add3_u32 v16, v17, v16, s42
	v_and_b32_e32 v17, 0xffff0000, v16
	v_cndmask_b32_e32 v16, v9, v11, vcc
	v_cmp_o_f16_e32 vcc, v21, v21
	v_cndmask_b32_e32 v18, v9, v17, vcc
	v_pk_mul_f32 v[16:17], v[16:17], v[14:15] op_sel_hi:[0,1]
	v_bfe_u32 v19, v17, 16, 1
	v_bfe_u32 v11, v16, 16, 1
	v_pk_mul_f32 v[14:15], v[18:19], v[14:15] op_sel_hi:[0,1]
	v_add3_u32 v18, v17, v19, s42
	v_add3_u32 v11, v16, v11, s42
	v_bfe_u32 v19, v15, 16, 1
	v_bfe_u32 v20, v14, 16, 1
	v_and_b32_e32 v11, 0xffff0000, v11
	v_and_b32_e32 v18, 0xffff0000, v18
	v_add3_u32 v20, v14, v20, s42
	v_add3_u32 v19, v15, v19, s42
	v_cmp_o_f32_e32 vcc, v16, v16
	v_cmp_o_f32_e64 s[0:1], v17, v17
	v_and_b32_e32 v19, 0xffff0000, v19
	v_and_b32_e32 v20, 0xffff0000, v20
	v_cndmask_b32_e64 v17, v9, v18, s[0:1]
	v_cndmask_b32_e32 v16, v9, v11, vcc
	v_cmp_o_f32_e32 vcc, v15, v15
	v_cmp_o_f32_e64 s[0:1], v14, v14
	v_cndmask_b32_e64 v15, v9, v20, s[0:1]
	v_cndmask_b32_e32 v14, v9, v19, vcc
	v_pk_add_f32 v[18:19], v[16:17], v[14:15] neg_lo:[0,1] neg_hi:[0,1]
	v_pk_add_f32 v[14:15], v[16:17], v[14:15]
	v_bfe_u32 v11, v18, 16, 1
	v_bfe_u32 v14, v15, 16, 1
	v_add3_u32 v14, v15, v14, s42
	v_add3_u32 v11, v18, v11, s42
	v_lshrrev_b32_e32 v11, 16, v11
	v_lshrrev_b32_e32 v14, 16, v14
	v_cmp_o_f32_e32 vcc, v15, v15
	v_cmp_o_f32_e64 s[0:1], v18, v18
	v_cndmask_b32_e64 v11, v10, v11, s[0:1]
	v_cndmask_b32_e32 v14, v10, v14, vcc
	v_perm_b32 v11, v14, v11, s27
	global_store_dword v[12:13], v11, off
	s_andn2_b64 exec, exec, s[12:13]
	s_cbranch_execnz .LBB69_3
.LBB69_4:
	s_or_b64 exec, exec, s[24:25]
	s_load_dwordx4 s[12:15], s[6:7], 0x68
	s_waitcnt lgkmcnt(0)
	s_ashr_i32 s37, s15, 31
	s_mov_b32 s36, s15
	s_or_b64 s[0:1], s[28:29], s[36:37]
	s_mov_b32 s0, 0
	s_cmp_lg_u64 s[0:1], 0
	s_cbranch_scc0 .LBB69_62
; %bb.5:
	s_add_u32 s0, s36, s37
	s_mov_b32 s24, s37
	s_mov_b32 s25, s37
	s_addc_u32 s1, s37, s37
	s_xor_b64 s[38:39], s[0:1], s[24:25]
	v_cvt_f32_u32_e32 v1, s38
	v_cvt_f32_u32_e32 v3, s39
	s_sub_u32 s0, 0, s38
	s_subb_u32 s1, 0, s39
	v_madmk_f32 v1, v3, 0x4f800000, v1
	v_rcp_f32_e32 v1, v1
	v_mul_f32_e32 v1, 0x5f7ffffc, v1
	v_mul_f32_e32 v3, 0x2f800000, v1
	v_trunc_f32_e32 v3, v3
	v_madmk_f32 v1, v3, 0xcf800000, v1
	v_cvt_u32_f32_e32 v3, v3
	v_cvt_u32_f32_e32 v1, v1
	v_readfirstlane_b32 s9, v3
	v_readfirstlane_b32 s11, v1
	s_mul_i32 s15, s0, s9
	s_mul_hi_u32 s40, s0, s11
	s_mul_i32 s33, s1, s11
	s_add_i32 s15, s40, s15
	s_add_i32 s15, s15, s33
	s_mul_i32 s41, s0, s11
	s_mul_hi_u32 s33, s11, s15
	s_mul_i32 s40, s11, s15
	s_mul_hi_u32 s11, s11, s41
	s_add_u32 s11, s11, s40
	s_addc_u32 s33, 0, s33
	s_mul_hi_u32 s42, s9, s41
	s_mul_i32 s41, s9, s41
	s_add_u32 s11, s11, s41
	s_mul_hi_u32 s40, s9, s15
	s_addc_u32 s11, s33, s42
	s_addc_u32 s33, s40, 0
	s_mul_i32 s15, s9, s15
	s_add_u32 s11, s11, s15
	s_addc_u32 s15, 0, s33
	v_add_co_u32_e32 v1, vcc, s11, v1
	s_cmp_lg_u64 vcc, 0
	s_addc_u32 s9, s9, s15
	v_readfirstlane_b32 s15, v1
	s_mul_i32 s11, s0, s9
	s_mul_hi_u32 s33, s0, s15
	s_add_i32 s11, s33, s11
	s_mul_i32 s1, s1, s15
	s_add_i32 s11, s11, s1
	s_mul_i32 s0, s0, s15
	s_mul_hi_u32 s33, s9, s0
	s_mul_i32 s40, s9, s0
	s_mul_i32 s42, s15, s11
	s_mul_hi_u32 s0, s15, s0
	s_mul_hi_u32 s41, s15, s11
	s_add_u32 s0, s0, s42
	s_addc_u32 s15, 0, s41
	s_add_u32 s0, s0, s40
	s_mul_hi_u32 s1, s9, s11
	s_addc_u32 s0, s15, s33
	s_addc_u32 s1, s1, 0
	s_mul_i32 s11, s9, s11
	s_add_u32 s0, s0, s11
	s_addc_u32 s1, 0, s1
	v_add_co_u32_e32 v1, vcc, s0, v1
	s_cmp_lg_u64 vcc, 0
	s_addc_u32 s9, s9, s1
	s_ashr_i32 s40, s29, 31
	s_add_u32 s0, s28, s40
	s_mov_b32 s41, s40
	s_addc_u32 s1, s29, s40
	s_xor_b64 s[42:43], s[0:1], s[40:41]
	v_readfirstlane_b32 s11, v1
	s_mul_i32 s1, s42, s9
	s_mul_hi_u32 s15, s42, s11
	s_mul_hi_u32 s0, s42, s9
	s_add_u32 s1, s15, s1
	s_addc_u32 s0, 0, s0
	s_mul_hi_u32 s33, s43, s11
	s_mul_i32 s11, s43, s11
	s_add_u32 s1, s1, s11
	s_mul_hi_u32 s15, s43, s9
	s_addc_u32 s0, s0, s33
	s_addc_u32 s1, s15, 0
	s_mul_i32 s9, s43, s9
	s_add_u32 s9, s0, s9
	s_addc_u32 s11, 0, s1
	s_mul_i32 s0, s38, s11
	s_mul_hi_u32 s1, s38, s9
	s_add_i32 s0, s1, s0
	s_mul_i32 s1, s39, s9
	s_add_i32 s15, s0, s1
	s_mul_i32 s1, s38, s9
	v_mov_b32_e32 v1, s1
	s_sub_i32 s0, s43, s15
	v_sub_co_u32_e32 v1, vcc, s42, v1
	s_cmp_lg_u64 vcc, 0
	s_subb_u32 s33, s0, s39
	v_subrev_co_u32_e64 v3, s[0:1], s38, v1
	s_cmp_lg_u64 s[0:1], 0
	s_subb_u32 s0, s33, 0
	s_cmp_ge_u32 s0, s39
	v_readfirstlane_b32 s33, v3
	s_cselect_b32 s1, -1, 0
	s_cmp_ge_u32 s33, s38
	s_cselect_b32 s33, -1, 0
	s_cmp_eq_u32 s0, s39
	s_cselect_b32 s0, s33, s1
	s_add_u32 s1, s9, 1
	s_addc_u32 s33, s11, 0
	s_add_u32 s42, s9, 2
	s_addc_u32 s44, s11, 0
	s_cmp_lg_u32 s0, 0
	s_cselect_b32 s0, s42, s1
	s_cselect_b32 s1, s44, s33
	s_cmp_lg_u64 vcc, 0
	s_subb_u32 s15, s43, s15
	s_cmp_ge_u32 s15, s39
	v_readfirstlane_b32 s42, v1
	s_cselect_b32 s33, -1, 0
	s_cmp_ge_u32 s42, s38
	s_cselect_b32 s38, -1, 0
	s_cmp_eq_u32 s15, s39
	s_cselect_b32 s15, s38, s33
	s_cmp_lg_u32 s15, 0
	s_cselect_b32 s1, s1, s11
	s_cselect_b32 s0, s0, s9
	s_xor_b64 s[24:25], s[40:41], s[24:25]
	s_xor_b64 s[0:1], s[0:1], s[24:25]
	s_sub_u32 s24, s0, s24
	s_subb_u32 s25, s1, s25
	s_cbranch_execnz .LBB69_7
.LBB69_6:
	v_cvt_f32_u32_e32 v1, s36
	s_sub_i32 s0, 0, s36
	s_mov_b32 s25, 0
	v_rcp_iflag_f32_e32 v1, v1
	v_mul_f32_e32 v1, 0x4f7ffffe, v1
	v_cvt_u32_f32_e32 v1, v1
	v_readfirstlane_b32 s1, v1
	s_mul_i32 s0, s0, s1
	s_mul_hi_u32 s0, s1, s0
	s_add_i32 s1, s1, s0
	s_mul_hi_u32 s0, s28, s1
	s_mul_i32 s9, s0, s36
	s_sub_i32 s9, s28, s9
	s_add_i32 s1, s0, 1
	s_sub_i32 s11, s9, s36
	s_cmp_ge_u32 s9, s36
	s_cselect_b32 s0, s1, s0
	s_cselect_b32 s9, s11, s9
	s_add_i32 s1, s0, 1
	s_cmp_ge_u32 s9, s36
	s_cselect_b32 s24, s1, s0
.LBB69_7:
	s_mul_i32 s0, s24, s37
	s_mul_hi_u32 s1, s24, s36
	s_load_dwordx2 s[26:27], s[6:7], 0x78
	s_add_i32 s0, s1, s0
	s_mul_i32 s1, s25, s36
	s_add_i32 s0, s0, s1
	s_mul_i32 s1, s24, s36
	s_sub_u32 s9, s28, s1
	s_subb_u32 s15, s29, s0
	v_cmp_gt_i32_e32 vcc, s10, v2
	s_mul_hi_u32 s42, s24, s12
	s_mul_i32 s43, s25, s12
	s_mul_i32 s44, s24, s12
	s_mul_hi_u32 s33, s9, s13
	s_mul_i32 s15, s15, s13
	s_mul_i32 s25, s9, s13
	s_and_saveexec_b64 s[28:29], vcc
	s_cbranch_execz .LBB69_42
; %bb.8:
	s_load_dwordx2 s[0:1], s[4:5], 0x4
	v_bfe_u32 v1, v0, 10, 10
	s_ashr_i32 s4, s12, 31
	s_ashr_i32 s11, s10, 31
	;; [unrolled: 1-line block ×3, first 2 shown]
	s_waitcnt lgkmcnt(0)
	s_lshr_b32 s0, s0, 16
	s_mul_i32 s0, s0, s1
	v_mul_lo_u32 v3, s0, v2
	v_mad_u32_u24 v1, v1, s1, v3
	s_mul_i32 s0, s24, s4
	s_load_dword s1, s[6:7], 0x8c
	s_add_i32 s0, s42, s0
	s_add_i32 s4, s0, s43
	s_ashr_i32 s0, s13, 31
	s_mul_i32 s0, s9, s0
	s_add_i32 s0, s33, s0
	s_add_i32 s5, s0, s15
	s_waitcnt lgkmcnt(0)
	s_and_b32 s46, s1, 0xffff
	s_lshl_b64 s[0:1], s[34:35], 1
	s_add_u32 s0, s30, s0
	v_bfe_u32 v0, v0, 20, 10
	s_addc_u32 s1, s31, s1
	v_add_lshl_u32 v3, v1, v0, 1
	v_mov_b32_e32 v0, s1
	v_add_co_u32_e32 v11, vcc, s0, v5
	v_addc_co_u32_e32 v12, vcc, 0, v0, vcc
	s_lshl_b64 s[0:1], s[10:11], 1
	v_mov_b32_e32 v0, s1
	v_add_co_u32_e32 v13, vcc, s0, v11
	s_mul_i32 s0, s17, s8
	s_mul_hi_u32 s1, s16, s8
	s_add_i32 s1, s1, s0
	s_mul_i32 s0, s16, s8
	s_lshl_b32 s48, s46, 1
	s_lshl_b64 s[0:1], s[0:1], 1
	s_add_u32 s0, s20, s0
	v_addc_co_u32_e32 v14, vcc, v12, v0, vcc
	v_lshlrev_b32_e32 v0, 2, v2
	s_addc_u32 s1, s21, s1
	s_lshl_b32 s11, s46, 2
	v_add_co_u32_e32 v0, vcc, s0, v0
	s_add_u32 s0, s44, s25
	v_mov_b32_e32 v1, s1
	s_addc_u32 s1, s4, s5
	s_add_u32 s4, s2, s14
	s_load_dword s45, s[26:27], 0x0
	s_addc_u32 s5, s3, s36
	s_add_u32 s0, s4, s0
	v_addc_co_u32_e32 v1, vcc, 0, v1, vcc
	s_addc_u32 s1, s5, s1
	v_mov_b32_e32 v4, s1
	v_add_co_u32_e32 v15, vcc, s0, v5
	v_add_u32_e32 v10, 0x800, v3
	s_mov_b32 s47, 0
	v_addc_co_u32_e32 v16, vcc, 0, v4, vcc
	s_mov_b64 s[4:5], 0
	s_movk_i32 s49, 0x7fff
	v_mov_b32_e32 v17, 0x7fc00000
	v_mov_b32_e32 v18, 0x7fc0
	s_mov_b32 s50, 0x5040100
	v_mov_b32_e32 v5, 0
	s_movk_i32 s51, 0x80
	s_mov_b64 s[16:17], 0x7f800000
	s_mov_b64 s[20:21], 0x43e00001
	s_movk_i32 s52, 0x7a
	s_mov_b64 s[30:31], 0xffffff
	s_movk_i32 s53, 0x7f
	v_mov_b32_e32 v19, 0xffffff82
	v_mov_b32_e32 v20, 0x78
	s_mov_b64 s[34:35], 0
	v_mov_b32_e32 v21, v2
	s_branch .LBB69_10
.LBB69_9:                               ;   in Loop: Header=BB69_10 Depth=1
	s_or_b64 exec, exec, s[0:1]
	v_add_u32_e32 v21, s46, v21
	s_add_u32 s34, s34, s48
	s_addc_u32 s35, s35, 0
	v_cmp_le_i32_e32 vcc, s10, v21
	v_mov_b32_e32 v4, s47
	s_or_b64 s[4:5], vcc, s[4:5]
	v_add_co_u32_e32 v0, vcc, s11, v0
	v_addc_co_u32_e32 v1, vcc, v1, v4, vcc
	global_store_byte v[6:7], v9, off offset:1
	s_andn2_b64 exec, exec, s[4:5]
	s_cbranch_execz .LBB69_42
.LBB69_10:                              ; =>This Inner Loop Header: Depth=1
	v_mov_b32_e32 v4, s35
	v_add_co_u32_e32 v6, vcc, s34, v11
	v_addc_co_u32_e32 v7, vcc, v12, v4, vcc
	v_add_co_u32_e32 v8, vcc, s34, v13
	v_addc_co_u32_e32 v9, vcc, v14, v4, vcc
	global_load_ushort v4, v[6:7], off
	global_load_ushort v22, v[8:9], off
	global_load_dword v23, v[0:1], off
	v_mov_b32_e32 v25, v5
	s_waitcnt vmcnt(2)
	v_cvt_f32_f16_e32 v8, v4
	s_waitcnt vmcnt(1)
	v_cvt_f32_f16_e32 v9, v22
	s_waitcnt vmcnt(0)
	v_and_b32_e32 v7, 0xffff0000, v23
	v_lshlrev_b32_e32 v6, 16, v23
	v_bfe_u32 v23, v8, 16, 1
	v_bfe_u32 v24, v9, 16, 1
	v_add3_u32 v8, v8, v23, s49
	v_add3_u32 v9, v9, v24, s49
	v_and_b32_e32 v8, 0xffff0000, v8
	v_cmp_o_f16_e32 vcc, v4, v4
	v_and_b32_e32 v9, 0xffff0000, v9
	v_cndmask_b32_e32 v4, v17, v8, vcc
	v_cmp_o_f16_e32 vcc, v22, v22
	v_cndmask_b32_e32 v8, v17, v9, vcc
	v_pk_mul_f32 v[22:23], v[4:5], v[6:7] op_sel_hi:[0,1]
	v_pk_mul_f32 v[6:7], v[8:9], v[6:7] op_sel_hi:[0,1]
	v_bfe_u32 v8, v23, 16, 1
	v_bfe_u32 v4, v22, 16, 1
	;; [unrolled: 1-line block ×3, first 2 shown]
	v_add3_u32 v8, v23, v8, s49
	v_bfe_u32 v24, v6, 16, 1
	v_add3_u32 v4, v22, v4, s49
	v_add3_u32 v9, v7, v9, s49
	v_and_b32_e32 v8, 0xffff0000, v8
	v_cmp_o_f32_e32 vcc, v23, v23
	v_add3_u32 v24, v6, v24, s49
	v_and_b32_e32 v4, 0xffff0000, v4
	v_and_b32_e32 v26, 0xffff0000, v9
	v_cndmask_b32_e32 v9, v17, v8, vcc
	v_cmp_o_f32_e32 vcc, v22, v22
	v_and_b32_e32 v24, 0xffff0000, v24
	v_cndmask_b32_e32 v8, v17, v4, vcc
	v_cmp_o_f32_e32 vcc, v6, v6
	v_cndmask_b32_e32 v23, v17, v24, vcc
	v_cmp_o_f32_e32 vcc, v7, v7
	v_cndmask_b32_e32 v22, v17, v26, vcc
	v_pk_add_f32 v[6:7], v[8:9], v[22:23] neg_lo:[0,1] neg_hi:[0,1]
	v_bfe_u32 v4, v6, 16, 1
	v_pk_add_f32 v[8:9], v[8:9], v[22:23]
	v_add3_u32 v4, v6, v4, s49
	v_bfe_u32 v7, v9, 16, 1
	v_lshrrev_b32_e32 v4, 16, v4
	v_cmp_o_f32_e32 vcc, v6, v6
	v_add3_u32 v7, v9, v7, s49
	v_cndmask_b32_e32 v4, v18, v4, vcc
	v_lshrrev_b32_e32 v7, 16, v7
	v_cmp_o_f32_e32 vcc, v9, v9
	ds_write_b16 v10, v4
	v_cndmask_b32_e32 v6, v18, v7, vcc
	ds_read_b32 v7, v10
	v_perm_b32 v4, v6, v4, s50
	global_store_dword v[0:1], v4, off
	ds_write_b16 v3, v6
	ds_read_b32 v8, v3
	s_waitcnt lgkmcnt(0)
	v_div_scale_f32 v4, s[0:1], s45, s45, v7
	v_rcp_f32_e32 v6, v4
	v_div_scale_f32 v9, vcc, v7, s45, v7
	v_fma_f32 v22, -v4, v6, 1.0
	v_fmac_f32_e32 v6, v22, v6
	v_mul_f32_e32 v22, v9, v6
	v_fma_f32 v23, -v4, v22, v9
	v_fmac_f32_e32 v22, v23, v6
	v_fma_f32 v4, -v4, v22, v9
	v_div_fmas_f32 v4, v4, v6, v22
	v_div_fixup_f32 v6, v4, s45, v7
	v_and_b32_sdwa v9, v6, s51 dst_sel:DWORD dst_unused:UNUSED_PAD src0_sel:BYTE_3 src1_sel:DWORD
	v_and_b32_e32 v24, 0x7f800000, v6
	v_and_b32_e32 v4, 0x7fffff, v6
	v_or_b32_e32 v22, 0x7e, v9
	v_cmp_ne_u64_e32 vcc, s[16:17], v[24:25]
	s_and_saveexec_b64 s[0:1], vcc
	s_xor_b64 s[36:37], exec, s[0:1]
	s_cbranch_execz .LBB69_24
; %bb.11:                               ;   in Loop: Header=BB69_10 Depth=1
	v_and_b32_e32 v24, 0x7fffffff, v6
	v_mov_b32_e32 v25, v5
	v_cmp_gt_u64_e32 vcc, s[20:21], v[24:25]
	s_and_saveexec_b64 s[0:1], vcc
	s_xor_b64 s[38:39], exec, s[0:1]
	s_cbranch_execz .LBB69_23
; %bb.12:                               ;   in Loop: Header=BB69_10 Depth=1
	v_cmp_ne_u32_e32 vcc, 0, v6
	v_mov_b32_e32 v22, 0
	s_and_saveexec_b64 s[40:41], vcc
	s_cbranch_execz .LBB69_22
; %bb.13:                               ;   in Loop: Header=BB69_10 Depth=1
	v_bfe_u32 v6, v6, 23, 8
	v_sub_u32_e32 v22, 0x79, v6
	v_cmp_gt_u32_e32 vcc, s52, v6
	v_cndmask_b32_e32 v22, 0, v22, vcc
	v_cmp_eq_u32_e32 vcc, 0, v6
	v_cndmask_b32_e32 v22, v22, v20, vcc
	v_add_u32_e32 v7, 0xffffff81, v6
	v_or_b32_e32 v23, 0x800000, v4
	v_add_u32_e32 v6, 20, v22
	v_cndmask_b32_e32 v28, v7, v19, vcc
	v_cndmask_b32_e32 v4, v23, v4, vcc
	v_lshlrev_b64 v[6:7], v6, -1
	v_not_b32_e32 v6, v6
	v_lshrrev_b64 v[26:27], v22, v[4:5]
	v_not_b32_e32 v7, v7
	v_and_b32_e32 v6, v4, v6
	v_add_u32_e32 v23, 19, v22
	v_lshrrev_b32_e32 v4, 23, v26
	v_and_b32_e32 v7, 0, v7
	v_lshlrev_b64 v[24:25], v23, 1
	v_add3_u32 v23, v22, v28, v4
	v_bfe_u32 v4, v26, 20, 1
	v_add_u32_e32 v4, -1, v4
	v_cmp_eq_u64_e32 vcc, v[6:7], v[24:25]
	v_cndmask_b32_e32 v4, 0, v4, vcc
	v_add_u32_e32 v4, v4, v26
	v_and_b32_e32 v4, 0xfffff, v4
	v_add_co_u32_e32 v6, vcc, v4, v26
	v_add_u32_e32 v22, 6, v23
	v_addc_co_u32_e32 v7, vcc, 0, v27, vcc
	v_cmp_ne_u32_e32 vcc, 0, v22
                                        ; implicit-def: $vgpr4
	s_and_saveexec_b64 s[0:1], vcc
	s_xor_b64 s[0:1], exec, s[0:1]
; %bb.14:                               ;   in Loop: Header=BB69_10 Depth=1
	v_add_u32_e32 v4, 7, v23
	v_cmp_lt_u64_e32 vcc, s[30:31], v[6:7]
	v_cndmask_b32_e32 v4, v22, v4, vcc
	v_cndmask_b32_e64 v22, 0, 1, vcc
	v_lshrrev_b64 v[6:7], v22, v[6:7]
; %bb.15:                               ;   in Loop: Header=BB69_10 Depth=1
	s_andn2_saveexec_b64 s[0:1], s[0:1]
; %bb.16:                               ;   in Loop: Header=BB69_10 Depth=1
	v_bfe_u32 v4, v6, 23, 1
; %bb.17:                               ;   in Loop: Header=BB69_10 Depth=1
	s_or_b64 exec, exec, s[0:1]
	v_lshrrev_b64 v[6:7], 20, v[6:7]
	v_cmp_gt_i32_e32 vcc, 16, v4
	v_cndmask_b32_e32 v7, 0, v7, vcc
	v_cndmask_b32_e32 v6, 7, v6, vcc
	v_cmp_ne_u32_e32 vcc, 0, v4
	v_cmp_ne_u64_e64 s[0:1], 0, v[6:7]
	s_or_b64 s[0:1], vcc, s[0:1]
                                        ; implicit-def: $vgpr22
	s_and_saveexec_b64 s[54:55], s[0:1]
	s_xor_b64 s[0:1], exec, s[54:55]
; %bb.18:                               ;   in Loop: Header=BB69_10 Depth=1
	v_min_i32_e32 v4, 15, v4
	v_lshl_or_b32 v4, v4, 3, v9
	v_and_or_b32 v22, v6, 7, v4
                                        ; implicit-def: $vgpr9
; %bb.19:                               ;   in Loop: Header=BB69_10 Depth=1
	s_andn2_saveexec_b64 s[0:1], s[0:1]
; %bb.20:                               ;   in Loop: Header=BB69_10 Depth=1
	v_mov_b32_e32 v22, v9
; %bb.21:                               ;   in Loop: Header=BB69_10 Depth=1
	s_or_b64 exec, exec, s[0:1]
.LBB69_22:                              ;   in Loop: Header=BB69_10 Depth=1
	s_or_b64 exec, exec, s[40:41]
.LBB69_23:                              ;   in Loop: Header=BB69_10 Depth=1
	s_andn2_saveexec_b64 s[0:1], s[38:39]
	s_or_b64 exec, exec, s[0:1]
                                        ; implicit-def: $vgpr6
.LBB69_24:                              ;   in Loop: Header=BB69_10 Depth=1
	s_andn2_saveexec_b64 s[0:1], s[36:37]
; %bb.25:                               ;   in Loop: Header=BB69_10 Depth=1
	v_or_b32_sdwa v6, v6, s53 dst_sel:DWORD dst_unused:UNUSED_PAD src0_sel:BYTE_3 src1_sel:DWORD
	v_cmp_eq_u64_e32 vcc, 0, v[4:5]
	v_cndmask_b32_e32 v22, v6, v22, vcc
; %bb.26:                               ;   in Loop: Header=BB69_10 Depth=1
	s_or_b64 exec, exec, s[0:1]
	v_div_scale_f32 v9, s[0:1], s45, s45, v8
	v_rcp_f32_e32 v23, v9
	v_mov_b32_e32 v4, s35
	v_add_co_u32_e32 v6, vcc, s34, v15
	v_addc_co_u32_e32 v7, vcc, v16, v4, vcc
	v_fma_f32 v4, -v9, v23, 1.0
	v_fmac_f32_e32 v23, v4, v23
	v_div_scale_f32 v4, vcc, v8, s45, v8
	global_store_byte v[6:7], v22, off
	v_mul_f32_e32 v22, v4, v23
	v_fma_f32 v24, -v9, v22, v4
	v_fmac_f32_e32 v22, v24, v23
	v_fma_f32 v4, -v9, v22, v4
	v_div_fmas_f32 v4, v4, v23, v22
	v_div_fixup_f32 v8, v4, s45, v8
	v_and_b32_sdwa v22, v8, s51 dst_sel:DWORD dst_unused:UNUSED_PAD src0_sel:BYTE_3 src1_sel:DWORD
	v_and_b32_e32 v24, 0x7f800000, v8
	v_mov_b32_e32 v25, v5
	v_and_b32_e32 v4, 0x7fffff, v8
	v_or_b32_e32 v9, 0x7e, v22
	v_cmp_ne_u64_e32 vcc, s[16:17], v[24:25]
	s_and_saveexec_b64 s[0:1], vcc
	s_xor_b64 s[36:37], exec, s[0:1]
	s_cbranch_execz .LBB69_40
; %bb.27:                               ;   in Loop: Header=BB69_10 Depth=1
	v_and_b32_e32 v24, 0x7fffffff, v8
	v_mov_b32_e32 v25, v5
	v_cmp_gt_u64_e32 vcc, s[20:21], v[24:25]
	s_and_saveexec_b64 s[0:1], vcc
	s_xor_b64 s[38:39], exec, s[0:1]
	s_cbranch_execz .LBB69_39
; %bb.28:                               ;   in Loop: Header=BB69_10 Depth=1
	v_cmp_ne_u32_e32 vcc, 0, v8
	v_mov_b32_e32 v9, 0
	s_and_saveexec_b64 s[40:41], vcc
	s_cbranch_execz .LBB69_38
; %bb.29:                               ;   in Loop: Header=BB69_10 Depth=1
	v_bfe_u32 v8, v8, 23, 8
	v_sub_u32_e32 v23, 0x79, v8
	v_cmp_gt_u32_e32 vcc, s52, v8
	v_cndmask_b32_e32 v23, 0, v23, vcc
	v_cmp_eq_u32_e32 vcc, 0, v8
	v_cndmask_b32_e32 v23, v23, v20, vcc
	v_add_u32_e32 v9, 0xffffff81, v8
	v_or_b32_e32 v24, 0x800000, v4
	v_add_u32_e32 v8, 20, v23
	v_cndmask_b32_e32 v25, v9, v19, vcc
	v_cndmask_b32_e32 v4, v24, v4, vcc
	v_lshlrev_b64 v[8:9], v8, -1
	v_not_b32_e32 v8, v8
	v_lshrrev_b64 v[28:29], v23, v[4:5]
	v_not_b32_e32 v9, v9
	v_and_b32_e32 v8, v4, v8
	v_add_u32_e32 v24, 19, v23
	v_lshrrev_b32_e32 v4, 23, v28
	v_and_b32_e32 v9, 0, v9
	v_lshlrev_b64 v[26:27], v24, 1
	v_add3_u32 v24, v23, v25, v4
	v_bfe_u32 v4, v28, 20, 1
	v_add_u32_e32 v4, -1, v4
	v_cmp_eq_u64_e32 vcc, v[8:9], v[26:27]
	v_cndmask_b32_e32 v4, 0, v4, vcc
	v_add_u32_e32 v4, v4, v28
	v_and_b32_e32 v4, 0xfffff, v4
	v_add_co_u32_e32 v8, vcc, v4, v28
	v_add_u32_e32 v23, 6, v24
	v_addc_co_u32_e32 v9, vcc, 0, v29, vcc
	v_cmp_ne_u32_e32 vcc, 0, v23
                                        ; implicit-def: $vgpr4
	s_and_saveexec_b64 s[0:1], vcc
	s_xor_b64 s[0:1], exec, s[0:1]
; %bb.30:                               ;   in Loop: Header=BB69_10 Depth=1
	v_add_u32_e32 v4, 7, v24
	v_cmp_lt_u64_e32 vcc, s[30:31], v[8:9]
	v_cndmask_b32_e32 v4, v23, v4, vcc
	v_cndmask_b32_e64 v23, 0, 1, vcc
	v_lshrrev_b64 v[8:9], v23, v[8:9]
; %bb.31:                               ;   in Loop: Header=BB69_10 Depth=1
	s_andn2_saveexec_b64 s[0:1], s[0:1]
; %bb.32:                               ;   in Loop: Header=BB69_10 Depth=1
	v_bfe_u32 v4, v8, 23, 1
; %bb.33:                               ;   in Loop: Header=BB69_10 Depth=1
	s_or_b64 exec, exec, s[0:1]
	v_lshrrev_b64 v[8:9], 20, v[8:9]
	v_cmp_gt_i32_e32 vcc, 16, v4
	v_cndmask_b32_e32 v9, 0, v9, vcc
	v_cndmask_b32_e32 v8, 7, v8, vcc
	v_cmp_ne_u32_e32 vcc, 0, v4
	v_cmp_ne_u64_e64 s[0:1], 0, v[8:9]
	s_or_b64 s[0:1], vcc, s[0:1]
                                        ; implicit-def: $vgpr9
	s_and_saveexec_b64 s[54:55], s[0:1]
	s_xor_b64 s[0:1], exec, s[54:55]
; %bb.34:                               ;   in Loop: Header=BB69_10 Depth=1
	v_min_i32_e32 v4, 15, v4
	v_lshl_or_b32 v4, v4, 3, v22
	v_and_or_b32 v9, v8, 7, v4
                                        ; implicit-def: $vgpr22
; %bb.35:                               ;   in Loop: Header=BB69_10 Depth=1
	s_andn2_saveexec_b64 s[0:1], s[0:1]
; %bb.36:                               ;   in Loop: Header=BB69_10 Depth=1
	v_mov_b32_e32 v9, v22
; %bb.37:                               ;   in Loop: Header=BB69_10 Depth=1
	s_or_b64 exec, exec, s[0:1]
.LBB69_38:                              ;   in Loop: Header=BB69_10 Depth=1
	s_or_b64 exec, exec, s[40:41]
.LBB69_39:                              ;   in Loop: Header=BB69_10 Depth=1
	s_andn2_saveexec_b64 s[0:1], s[38:39]
	s_or_b64 exec, exec, s[0:1]
                                        ; implicit-def: $vgpr8
.LBB69_40:                              ;   in Loop: Header=BB69_10 Depth=1
	s_andn2_saveexec_b64 s[0:1], s[36:37]
	s_cbranch_execz .LBB69_9
; %bb.41:                               ;   in Loop: Header=BB69_10 Depth=1
	v_or_b32_sdwa v8, v8, s53 dst_sel:DWORD dst_unused:UNUSED_PAD src0_sel:BYTE_3 src1_sel:DWORD
	v_cmp_eq_u64_e32 vcc, 0, v[4:5]
	v_cndmask_b32_e32 v9, v8, v9, vcc
	s_branch .LBB69_9
.LBB69_42:
	s_or_b64 exec, exec, s[28:29]
	v_cmp_gt_i32_e32 vcc, s14, v2
	s_and_saveexec_b64 s[0:1], vcc
	s_cbranch_execz .LBB69_61
; %bb.43:
	s_mul_i32 s0, s8, s19
	s_mul_hi_u32 s1, s8, s18
	s_add_i32 s1, s1, s0
	s_mul_i32 s0, s8, s18
	s_lshl_b64 s[0:1], s[0:1], 1
	s_add_u32 s18, s22, s0
	s_addc_u32 s0, s23, s1
	s_ashr_i32 s1, s12, 31
	s_mul_i32 s1, s24, s1
	s_add_i32 s1, s42, s1
	s_add_i32 s1, s1, s43
	s_add_u32 s2, s2, s44
	s_addc_u32 s1, s3, s1
	s_ashr_i32 s3, s13, 31
	s_load_dword s4, s[6:7], 0x8c
	s_mul_i32 s9, s9, s3
	s_waitcnt lgkmcnt(0)
	s_load_dword s20, s[26:27], 0x0
	s_add_i32 s3, s33, s9
	s_add_i32 s3, s3, s15
	s_add_u32 s15, s2, s25
	s_addc_u32 s19, s1, s3
	s_and_b32 s21, s4, 0xffff
	s_mov_b64 s[2:3], 0
	v_mov_b32_e32 v6, s0
	v_mov_b32_e32 v1, 0
	s_movk_i32 s22, 0x80
	s_mov_b64 s[4:5], 0x7f800000
	s_mov_b64 s[6:7], 0x43e00001
	s_movk_i32 s23, 0x7a
	s_mov_b64 s[8:9], 0xffffff
	s_movk_i32 s24, 0x7f
	v_mov_b32_e32 v7, 0xffffff82
	v_mov_b32_e32 v8, 0x78
	s_branch .LBB69_45
.LBB69_44:                              ;   in Loop: Header=BB69_45 Depth=1
	s_or_b64 exec, exec, s[0:1]
	v_mov_b32_e32 v0, s19
	v_add_co_u32_e32 v10, vcc, s15, v2
	v_addc_co_u32_e32 v11, vcc, v0, v3, vcc
	v_add_u32_e32 v2, s21, v2
	v_cmp_le_i32_e32 vcc, s14, v2
	s_or_b64 s[2:3], vcc, s[2:3]
	global_store_byte v[10:11], v5, off
	s_andn2_b64 exec, exec, s[2:3]
	s_cbranch_execz .LBB69_61
.LBB69_45:                              ; =>This Inner Loop Header: Depth=1
	v_ashrrev_i32_e32 v3, 31, v2
	v_lshlrev_b64 v[4:5], 1, v[2:3]
	v_add_co_u32_e32 v4, vcc, s18, v4
	v_addc_co_u32_e32 v5, vcc, v6, v5, vcc
	global_load_dword v0, v[4:5], off
	v_mov_b32_e32 v11, v1
	s_waitcnt vmcnt(0) lgkmcnt(0)
	v_div_scale_f32 v4, s[0:1], s20, s20, v0
	v_rcp_f32_e32 v5, v4
	v_div_scale_f32 v9, vcc, v0, s20, v0
	v_fma_f32 v10, -v4, v5, 1.0
	v_fmac_f32_e32 v5, v10, v5
	v_mul_f32_e32 v10, v9, v5
	v_fma_f32 v12, -v4, v10, v9
	v_fmac_f32_e32 v10, v12, v5
	v_fma_f32 v4, -v4, v10, v9
	v_div_fmas_f32 v4, v4, v5, v10
	v_div_fixup_f32 v4, v4, s20, v0
	v_and_b32_sdwa v9, v4, s22 dst_sel:DWORD dst_unused:UNUSED_PAD src0_sel:BYTE_3 src1_sel:DWORD
	v_and_b32_e32 v10, 0x7f800000, v4
	v_and_b32_e32 v0, 0x7fffff, v4
	v_or_b32_e32 v5, 0x7e, v9
	v_cmp_ne_u64_e32 vcc, s[4:5], v[10:11]
	s_and_saveexec_b64 s[0:1], vcc
	s_xor_b64 s[10:11], exec, s[0:1]
	s_cbranch_execz .LBB69_59
; %bb.46:                               ;   in Loop: Header=BB69_45 Depth=1
	v_and_b32_e32 v10, 0x7fffffff, v4
	v_mov_b32_e32 v11, v1
	v_cmp_gt_u64_e32 vcc, s[6:7], v[10:11]
	s_and_saveexec_b64 s[0:1], vcc
	s_xor_b64 s[12:13], exec, s[0:1]
	s_cbranch_execz .LBB69_58
; %bb.47:                               ;   in Loop: Header=BB69_45 Depth=1
	v_cmp_ne_u32_e32 vcc, 0, v4
	v_mov_b32_e32 v5, 0
	s_and_saveexec_b64 s[16:17], vcc
	s_cbranch_execz .LBB69_57
; %bb.48:                               ;   in Loop: Header=BB69_45 Depth=1
	v_bfe_u32 v4, v4, 23, 8
	v_sub_u32_e32 v10, 0x79, v4
	v_cmp_gt_u32_e32 vcc, s23, v4
	v_cndmask_b32_e32 v10, 0, v10, vcc
	v_cmp_eq_u32_e32 vcc, 0, v4
	v_cndmask_b32_e32 v10, v10, v8, vcc
	v_add_u32_e32 v5, 0xffffff81, v4
	v_or_b32_e32 v11, 0x800000, v0
	v_add_u32_e32 v4, 20, v10
	v_cndmask_b32_e32 v16, v5, v7, vcc
	v_cndmask_b32_e32 v0, v11, v0, vcc
	v_lshlrev_b64 v[4:5], v4, -1
	v_not_b32_e32 v4, v4
	v_lshrrev_b64 v[14:15], v10, v[0:1]
	v_not_b32_e32 v5, v5
	v_and_b32_e32 v4, v0, v4
	v_add_u32_e32 v11, 19, v10
	v_lshrrev_b32_e32 v0, 23, v14
	v_and_b32_e32 v5, 0, v5
	v_lshlrev_b64 v[12:13], v11, 1
	v_add3_u32 v11, v10, v16, v0
	v_bfe_u32 v0, v14, 20, 1
	v_add_u32_e32 v0, -1, v0
	v_cmp_eq_u64_e32 vcc, v[4:5], v[12:13]
	v_cndmask_b32_e32 v0, 0, v0, vcc
	v_add_u32_e32 v0, v0, v14
	v_and_b32_e32 v0, 0xfffff, v0
	v_add_co_u32_e32 v4, vcc, v0, v14
	v_add_u32_e32 v10, 6, v11
	v_addc_co_u32_e32 v5, vcc, 0, v15, vcc
	v_cmp_ne_u32_e32 vcc, 0, v10
                                        ; implicit-def: $vgpr0
	s_and_saveexec_b64 s[0:1], vcc
	s_xor_b64 s[0:1], exec, s[0:1]
; %bb.49:                               ;   in Loop: Header=BB69_45 Depth=1
	v_add_u32_e32 v0, 7, v11
	v_cmp_lt_u64_e32 vcc, s[8:9], v[4:5]
	v_cndmask_b32_e32 v0, v10, v0, vcc
	v_cndmask_b32_e64 v10, 0, 1, vcc
	v_lshrrev_b64 v[4:5], v10, v[4:5]
; %bb.50:                               ;   in Loop: Header=BB69_45 Depth=1
	s_andn2_saveexec_b64 s[0:1], s[0:1]
; %bb.51:                               ;   in Loop: Header=BB69_45 Depth=1
	v_bfe_u32 v0, v4, 23, 1
; %bb.52:                               ;   in Loop: Header=BB69_45 Depth=1
	s_or_b64 exec, exec, s[0:1]
	v_lshrrev_b64 v[4:5], 20, v[4:5]
	v_cmp_gt_i32_e32 vcc, 16, v0
	v_cndmask_b32_e32 v5, 0, v5, vcc
	v_cndmask_b32_e32 v4, 7, v4, vcc
	v_cmp_ne_u32_e32 vcc, 0, v0
	v_cmp_ne_u64_e64 s[0:1], 0, v[4:5]
	s_or_b64 s[0:1], vcc, s[0:1]
                                        ; implicit-def: $vgpr5
	s_and_saveexec_b64 s[26:27], s[0:1]
	s_xor_b64 s[0:1], exec, s[26:27]
; %bb.53:                               ;   in Loop: Header=BB69_45 Depth=1
	v_min_i32_e32 v0, 15, v0
	v_lshl_or_b32 v0, v0, 3, v9
	v_and_or_b32 v5, v4, 7, v0
                                        ; implicit-def: $vgpr9
; %bb.54:                               ;   in Loop: Header=BB69_45 Depth=1
	s_andn2_saveexec_b64 s[0:1], s[0:1]
; %bb.55:                               ;   in Loop: Header=BB69_45 Depth=1
	v_mov_b32_e32 v5, v9
; %bb.56:                               ;   in Loop: Header=BB69_45 Depth=1
	s_or_b64 exec, exec, s[0:1]
.LBB69_57:                              ;   in Loop: Header=BB69_45 Depth=1
	s_or_b64 exec, exec, s[16:17]
.LBB69_58:                              ;   in Loop: Header=BB69_45 Depth=1
	s_andn2_saveexec_b64 s[0:1], s[12:13]
	s_or_b64 exec, exec, s[0:1]
                                        ; implicit-def: $vgpr4
.LBB69_59:                              ;   in Loop: Header=BB69_45 Depth=1
	s_andn2_saveexec_b64 s[0:1], s[10:11]
	s_cbranch_execz .LBB69_44
; %bb.60:                               ;   in Loop: Header=BB69_45 Depth=1
	v_or_b32_sdwa v4, v4, s24 dst_sel:DWORD dst_unused:UNUSED_PAD src0_sel:BYTE_3 src1_sel:DWORD
	v_cmp_eq_u64_e32 vcc, 0, v[0:1]
	v_cndmask_b32_e32 v5, v4, v5, vcc
	s_branch .LBB69_44
.LBB69_61:
	s_endpgm
.LBB69_62:
                                        ; implicit-def: $sgpr24_sgpr25
	s_branch .LBB69_6
	.section	.rodata,"a",@progbits
	.p2align	6, 0x0
	.amdhsa_kernel _ZN4vllm38concat_and_cache_mla_rope_fused_kernelIN3c108BFloat16ENS1_4HalfELb0EfhLNS_18Fp8KVCacheDataTypeE1EEEvPKlPT_S8_PKS7_PKT0_illlliPT3_S6_iiiiPKf
		.amdhsa_group_segment_fixed_size 4096
		.amdhsa_private_segment_fixed_size 0
		.amdhsa_kernarg_size 384
		.amdhsa_user_sgpr_count 8
		.amdhsa_user_sgpr_private_segment_buffer 1
		.amdhsa_user_sgpr_dispatch_ptr 1
		.amdhsa_user_sgpr_queue_ptr 0
		.amdhsa_user_sgpr_kernarg_segment_ptr 1
		.amdhsa_user_sgpr_dispatch_id 0
		.amdhsa_user_sgpr_flat_scratch_init 0
		.amdhsa_user_sgpr_kernarg_preload_length 0
		.amdhsa_user_sgpr_kernarg_preload_offset 0
		.amdhsa_user_sgpr_private_segment_size 0
		.amdhsa_uses_dynamic_stack 0
		.amdhsa_system_sgpr_private_segment_wavefront_offset 0
		.amdhsa_system_sgpr_workgroup_id_x 1
		.amdhsa_system_sgpr_workgroup_id_y 0
		.amdhsa_system_sgpr_workgroup_id_z 0
		.amdhsa_system_sgpr_workgroup_info 0
		.amdhsa_system_vgpr_workitem_id 2
		.amdhsa_next_free_vgpr 30
		.amdhsa_next_free_sgpr 56
		.amdhsa_accum_offset 32
		.amdhsa_reserve_vcc 1
		.amdhsa_reserve_flat_scratch 0
		.amdhsa_float_round_mode_32 0
		.amdhsa_float_round_mode_16_64 0
		.amdhsa_float_denorm_mode_32 3
		.amdhsa_float_denorm_mode_16_64 3
		.amdhsa_dx10_clamp 1
		.amdhsa_ieee_mode 1
		.amdhsa_fp16_overflow 0
		.amdhsa_tg_split 0
		.amdhsa_exception_fp_ieee_invalid_op 0
		.amdhsa_exception_fp_denorm_src 0
		.amdhsa_exception_fp_ieee_div_zero 0
		.amdhsa_exception_fp_ieee_overflow 0
		.amdhsa_exception_fp_ieee_underflow 0
		.amdhsa_exception_fp_ieee_inexact 0
		.amdhsa_exception_int_div_zero 0
	.end_amdhsa_kernel
	.section	.text._ZN4vllm38concat_and_cache_mla_rope_fused_kernelIN3c108BFloat16ENS1_4HalfELb0EfhLNS_18Fp8KVCacheDataTypeE1EEEvPKlPT_S8_PKS7_PKT0_illlliPT3_S6_iiiiPKf,"axG",@progbits,_ZN4vllm38concat_and_cache_mla_rope_fused_kernelIN3c108BFloat16ENS1_4HalfELb0EfhLNS_18Fp8KVCacheDataTypeE1EEEvPKlPT_S8_PKS7_PKT0_illlliPT3_S6_iiiiPKf,comdat
.Lfunc_end69:
	.size	_ZN4vllm38concat_and_cache_mla_rope_fused_kernelIN3c108BFloat16ENS1_4HalfELb0EfhLNS_18Fp8KVCacheDataTypeE1EEEvPKlPT_S8_PKS7_PKT0_illlliPT3_S6_iiiiPKf, .Lfunc_end69-_ZN4vllm38concat_and_cache_mla_rope_fused_kernelIN3c108BFloat16ENS1_4HalfELb0EfhLNS_18Fp8KVCacheDataTypeE1EEEvPKlPT_S8_PKS7_PKT0_illlliPT3_S6_iiiiPKf
                                        ; -- End function
	.section	.AMDGPU.csdata,"",@progbits
; Kernel info:
; codeLenInByte = 4360
; NumSgprs: 60
; NumVgprs: 30
; NumAgprs: 0
; TotalNumVgprs: 30
; ScratchSize: 0
; MemoryBound: 0
; FloatMode: 240
; IeeeMode: 1
; LDSByteSize: 4096 bytes/workgroup (compile time only)
; SGPRBlocks: 7
; VGPRBlocks: 3
; NumSGPRsForWavesPerEU: 60
; NumVGPRsForWavesPerEU: 30
; AccumOffset: 32
; Occupancy: 8
; WaveLimiterHint : 1
; COMPUTE_PGM_RSRC2:SCRATCH_EN: 0
; COMPUTE_PGM_RSRC2:USER_SGPR: 8
; COMPUTE_PGM_RSRC2:TRAP_HANDLER: 0
; COMPUTE_PGM_RSRC2:TGID_X_EN: 1
; COMPUTE_PGM_RSRC2:TGID_Y_EN: 0
; COMPUTE_PGM_RSRC2:TGID_Z_EN: 0
; COMPUTE_PGM_RSRC2:TIDIG_COMP_CNT: 2
; COMPUTE_PGM_RSRC3_GFX90A:ACCUM_OFFSET: 7
; COMPUTE_PGM_RSRC3_GFX90A:TG_SPLIT: 0
	.section	.text._ZN4vllm38concat_and_cache_mla_rope_fused_kernelIN3c108BFloat16ES2_Lb1EfhLNS_18Fp8KVCacheDataTypeE1EEEvPKlPT_S7_PKS6_PKT0_illlliPT3_S5_iiiiPKf,"axG",@progbits,_ZN4vllm38concat_and_cache_mla_rope_fused_kernelIN3c108BFloat16ES2_Lb1EfhLNS_18Fp8KVCacheDataTypeE1EEEvPKlPT_S7_PKS6_PKT0_illlliPT3_S5_iiiiPKf,comdat
	.protected	_ZN4vllm38concat_and_cache_mla_rope_fused_kernelIN3c108BFloat16ES2_Lb1EfhLNS_18Fp8KVCacheDataTypeE1EEEvPKlPT_S7_PKS6_PKT0_illlliPT3_S5_iiiiPKf ; -- Begin function _ZN4vllm38concat_and_cache_mla_rope_fused_kernelIN3c108BFloat16ES2_Lb1EfhLNS_18Fp8KVCacheDataTypeE1EEEvPKlPT_S7_PKS6_PKT0_illlliPT3_S5_iiiiPKf
	.globl	_ZN4vllm38concat_and_cache_mla_rope_fused_kernelIN3c108BFloat16ES2_Lb1EfhLNS_18Fp8KVCacheDataTypeE1EEEvPKlPT_S7_PKS6_PKT0_illlliPT3_S5_iiiiPKf
	.p2align	8
	.type	_ZN4vllm38concat_and_cache_mla_rope_fused_kernelIN3c108BFloat16ES2_Lb1EfhLNS_18Fp8KVCacheDataTypeE1EEEvPKlPT_S7_PKS6_PKT0_illlliPT3_S5_iiiiPKf,@function
_ZN4vllm38concat_and_cache_mla_rope_fused_kernelIN3c108BFloat16ES2_Lb1EfhLNS_18Fp8KVCacheDataTypeE1EEEvPKlPT_S7_PKS6_PKT0_illlliPT3_S5_iiiiPKf: ; @_ZN4vllm38concat_and_cache_mla_rope_fused_kernelIN3c108BFloat16ES2_Lb1EfhLNS_18Fp8KVCacheDataTypeE1EEEvPKlPT_S7_PKS6_PKT0_illlliPT3_S5_iiiiPKf
; %bb.0:
	s_load_dwordx2 s[2:3], s[6:7], 0x60
	s_mov_b32 s9, 0
	s_lshl_b64 s[0:1], s[8:9], 3
	s_waitcnt lgkmcnt(0)
	s_add_u32 s2, s2, s0
	s_addc_u32 s3, s3, s1
	s_load_dwordx2 s[28:29], s[2:3], 0x0
	s_waitcnt lgkmcnt(0)
	v_cmp_lt_i64_e64 s[2:3], s[28:29], 0
	s_and_b64 vcc, exec, s[2:3]
	s_cbranch_vccnz .LBB70_61
; %bb.1:
	s_load_dword s10, s[6:7], 0x28
	s_load_dwordx2 s[2:3], s[6:7], 0x0
	s_load_dwordx2 s[30:31], s[6:7], 0x20
	s_load_dwordx4 s[20:23], s[6:7], 0x10
	v_and_b32_e32 v2, 0x3ff, v0
	s_waitcnt lgkmcnt(0)
	s_ashr_i32 s9, s10, 31
	s_add_u32 s0, s2, s0
	s_addc_u32 s1, s3, s1
	s_load_dwordx2 s[2:3], s[0:1], 0x0
	s_load_dwordx8 s[12:19], s[6:7], 0x30
	s_load_dwordx2 s[24:25], s[6:7], 0x58
	s_load_dword s11, s[6:7], 0x50
	s_waitcnt lgkmcnt(0)
	s_mul_i32 s0, s2, s9
	s_mul_hi_u32 s1, s2, s10
	s_add_i32 s0, s1, s0
	s_mul_i32 s1, s3, s10
	s_add_i32 s1, s0, s1
	s_mul_i32 s0, s2, s10
	s_lshl_b64 s[34:35], s[0:1], 1
	s_add_u32 s9, s30, s34
	s_addc_u32 s33, s31, s35
	s_lshr_b32 s0, s10, 31
	s_add_i32 s10, s10, s0
	s_ashr_i32 s26, s10, 1
	s_mul_i32 s40, s26, s11
	v_cmp_gt_i32_e32 vcc, s40, v2
	s_and_saveexec_b64 s[36:37], vcc
	s_cbranch_execz .LBB70_4
; %bb.2:
	s_load_dwordx2 s[0:1], s[6:7], 0x8
	s_load_dword s10, s[6:7], 0x8c
	s_mul_i32 s2, s8, s13
	s_mul_hi_u32 s3, s8, s12
	s_add_i32 s3, s3, s2
	s_mul_i32 s2, s8, s12
	s_ashr_i32 s27, s26, 31
	s_lshl_b64 s[2:3], s[2:3], 1
	s_waitcnt lgkmcnt(0)
	s_add_u32 s41, s0, s2
	s_addc_u32 s0, s1, s3
	s_abs_i32 s42, s26
	v_cvt_f32_u32_e32 v1, s42
	s_sub_i32 s1, 0, s42
	s_lshl_b64 s[38:39], s[26:27], 1
	s_mov_b64 s[12:13], 0
	v_rcp_iflag_f32_e32 v3, v1
	v_mov_b32_e32 v1, s33
	s_and_b32 s43, s10, 0xffff
	s_sub_i32 s44, 0, s26
	v_mul_f32_e32 v3, 0x4f7ffffe, v3
	v_cvt_u32_f32_e32 v3, v3
	v_mov_b32_e32 v5, s39
	v_mov_b32_e32 v6, s0
	s_movk_i32 s39, 0x7fff
	v_mul_lo_u32 v4, s1, v3
	v_mul_hi_u32 v4, v3, v4
	v_add_u32_e32 v3, v3, v4
	v_mov_b32_e32 v7, 0x7fc00000
	v_mov_b32_e32 v8, 0x7fc0
	;; [unrolled: 1-line block ×3, first 2 shown]
.LBB70_3:                               ; =>This Inner Loop Header: Depth=1
	v_sub_u32_e32 v10, 0, v4
	v_max_i32_e32 v10, v4, v10
	v_mul_hi_u32 v11, v10, v3
	v_mul_lo_u32 v12, v11, s42
	v_sub_u32_e32 v10, v10, v12
	v_add_u32_e32 v13, 1, v11
	v_cmp_le_u32_e32 vcc, s42, v10
	v_subrev_u32_e32 v12, s42, v10
	v_cndmask_b32_e32 v11, v11, v13, vcc
	v_cndmask_b32_e32 v10, v10, v12, vcc
	v_ashrrev_i32_e32 v9, 31, v4
	v_add_u32_e32 v12, 1, v11
	v_cmp_le_u32_e32 vcc, s42, v10
	v_xor_b32_e32 v9, s27, v9
	v_cndmask_b32_e32 v10, v11, v12, vcc
	v_xor_b32_e32 v10, v10, v9
	v_sub_u32_e32 v9, v10, v9
	v_mad_u64_u32 v[10:11], s[0:1], s44, v9, v[4:5]
	v_ashrrev_i32_e32 v11, 31, v10
	v_ashrrev_i32_e32 v14, 31, v9
	v_lshlrev_b64 v[10:11], 1, v[10:11]
	v_mul_lo_u32 v15, v9, s15
	v_mad_u64_u32 v[12:13], s[0:1], v9, s14, 0
	v_mul_lo_u32 v9, v14, s14
	v_add_co_u32_e32 v14, vcc, s9, v10
	v_add3_u32 v13, v13, v15, v9
	v_addc_co_u32_e32 v15, vcc, v1, v11, vcc
	v_add_co_u32_e32 v16, vcc, s38, v14
	v_lshlrev_b64 v[12:13], 1, v[12:13]
	v_addc_co_u32_e32 v17, vcc, v15, v5, vcc
	v_add_co_u32_e32 v9, vcc, s41, v12
	v_addc_co_u32_e32 v12, vcc, v6, v13, vcc
	v_add_co_u32_e32 v10, vcc, v9, v10
	v_addc_co_u32_e32 v11, vcc, v12, v11, vcc
	global_load_ushort v9, v[16:17], off
	global_load_ushort v18, v[14:15], off
	v_add_co_u32_e32 v12, vcc, s38, v10
	v_addc_co_u32_e32 v13, vcc, v11, v5, vcc
	global_load_ushort v19, v[10:11], off
	global_load_ushort v20, v[12:13], off
	v_add_u32_e32 v4, s43, v4
	v_cmp_le_i32_e32 vcc, s40, v4
	s_or_b64 s[12:13], vcc, s[12:13]
	s_waitcnt vmcnt(3)
	v_lshlrev_b32_e32 v14, 16, v9
	s_waitcnt vmcnt(2)
	v_lshlrev_b32_e32 v15, 16, v18
	v_mov_b32_e32 v16, v15
	v_mov_b32_e32 v17, v14
	s_waitcnt vmcnt(1)
	v_lshlrev_b32_e32 v18, 16, v19
	s_waitcnt vmcnt(0)
	v_lshlrev_b32_e32 v19, 16, v20
	v_pk_mul_f32 v[16:17], v[16:17], v[18:19]
	v_pk_mul_f32 v[14:15], v[14:15], v[18:19]
	v_bfe_u32 v9, v16, 16, 1
	v_bfe_u32 v18, v17, 16, 1
	;; [unrolled: 1-line block ×4, first 2 shown]
	v_add3_u32 v18, v17, v18, s39
	v_add3_u32 v9, v16, v9, s39
	;; [unrolled: 1-line block ×4, first 2 shown]
	v_and_b32_e32 v9, 0xffff0000, v9
	v_and_b32_e32 v18, 0xffff0000, v18
	v_cmp_o_f32_e32 vcc, v16, v16
	v_cmp_o_f32_e64 s[10:11], v17, v17
	v_and_b32_e32 v16, 0xffff0000, v19
	v_and_b32_e32 v19, 0xffff0000, v20
	v_cmp_o_f32_e64 s[0:1], v15, v15
	v_cmp_o_f32_e64 s[2:3], v14, v14
	v_cndmask_b32_e64 v14, v7, v18, s[10:11]
	v_cndmask_b32_e32 v9, v7, v9, vcc
	v_cndmask_b32_e64 v15, v7, v19, s[0:1]
	v_cndmask_b32_e64 v16, v7, v16, s[2:3]
	v_sub_f32_e32 v9, v9, v14
	v_add_f32_e32 v14, v16, v15
	v_bfe_u32 v15, v9, 16, 1
	v_bfe_u32 v16, v14, 16, 1
	v_add3_u32 v15, v9, v15, s39
	v_add3_u32 v16, v14, v16, s39
	v_lshrrev_b32_e32 v15, 16, v15
	v_cmp_o_f32_e64 s[0:1], v9, v9
	v_lshrrev_b32_e32 v16, 16, v16
	v_cmp_o_f32_e32 vcc, v14, v14
	v_cndmask_b32_e64 v9, v8, v15, s[0:1]
	v_cndmask_b32_e32 v14, v8, v16, vcc
	global_store_short v[10:11], v9, off
	global_store_short v[12:13], v14, off
	s_andn2_b64 exec, exec, s[12:13]
	s_cbranch_execnz .LBB70_3
.LBB70_4:
	s_or_b64 exec, exec, s[36:37]
	s_load_dwordx4 s[12:15], s[6:7], 0x68
	s_waitcnt lgkmcnt(0)
	s_ashr_i32 s37, s15, 31
	s_mov_b32 s36, s15
	s_or_b64 s[0:1], s[28:29], s[36:37]
	s_mov_b32 s0, 0
	s_cmp_lg_u64 s[0:1], 0
	s_cbranch_scc0 .LBB70_62
; %bb.5:
	s_add_u32 s0, s36, s37
	s_mov_b32 s2, s37
	s_mov_b32 s3, s37
	s_addc_u32 s1, s37, s37
	s_xor_b64 s[38:39], s[0:1], s[2:3]
	v_cvt_f32_u32_e32 v1, s38
	v_cvt_f32_u32_e32 v3, s39
	s_sub_u32 s0, 0, s38
	s_subb_u32 s1, 0, s39
	v_madmk_f32 v1, v3, 0x4f800000, v1
	v_rcp_f32_e32 v1, v1
	v_mul_f32_e32 v1, 0x5f7ffffc, v1
	v_mul_f32_e32 v3, 0x2f800000, v1
	v_trunc_f32_e32 v3, v3
	v_madmk_f32 v1, v3, 0xcf800000, v1
	v_cvt_u32_f32_e32 v3, v3
	v_cvt_u32_f32_e32 v1, v1
	v_readfirstlane_b32 s15, v3
	v_readfirstlane_b32 s27, v1
	s_mul_i32 s40, s0, s15
	s_mul_hi_u32 s42, s0, s27
	s_mul_i32 s41, s1, s27
	s_add_i32 s40, s42, s40
	s_add_i32 s40, s40, s41
	s_mul_i32 s43, s0, s27
	s_mul_hi_u32 s41, s27, s40
	s_mul_i32 s42, s27, s40
	s_mul_hi_u32 s27, s27, s43
	s_add_u32 s27, s27, s42
	s_addc_u32 s41, 0, s41
	s_mul_hi_u32 s44, s15, s43
	s_mul_i32 s43, s15, s43
	s_add_u32 s27, s27, s43
	s_mul_hi_u32 s42, s15, s40
	s_addc_u32 s27, s41, s44
	s_addc_u32 s41, s42, 0
	s_mul_i32 s40, s15, s40
	s_add_u32 s27, s27, s40
	s_addc_u32 s40, 0, s41
	v_add_co_u32_e32 v1, vcc, s27, v1
	s_cmp_lg_u64 vcc, 0
	s_addc_u32 s15, s15, s40
	v_readfirstlane_b32 s40, v1
	s_mul_i32 s27, s0, s15
	s_mul_hi_u32 s41, s0, s40
	s_add_i32 s27, s41, s27
	s_mul_i32 s1, s1, s40
	s_add_i32 s27, s27, s1
	s_mul_i32 s0, s0, s40
	s_mul_hi_u32 s41, s15, s0
	s_mul_i32 s42, s15, s0
	s_mul_i32 s44, s40, s27
	s_mul_hi_u32 s0, s40, s0
	s_mul_hi_u32 s43, s40, s27
	s_add_u32 s0, s0, s44
	s_addc_u32 s40, 0, s43
	s_add_u32 s0, s0, s42
	s_mul_hi_u32 s1, s15, s27
	s_addc_u32 s0, s40, s41
	s_addc_u32 s1, s1, 0
	s_mul_i32 s27, s15, s27
	s_add_u32 s0, s0, s27
	s_addc_u32 s1, 0, s1
	v_add_co_u32_e32 v1, vcc, s0, v1
	s_cmp_lg_u64 vcc, 0
	s_addc_u32 s15, s15, s1
	s_ashr_i32 s40, s29, 31
	s_add_u32 s0, s28, s40
	s_mov_b32 s41, s40
	s_addc_u32 s1, s29, s40
	s_xor_b64 s[42:43], s[0:1], s[40:41]
	v_readfirstlane_b32 s27, v1
	s_mul_i32 s1, s42, s15
	s_mul_hi_u32 s44, s42, s27
	s_mul_hi_u32 s0, s42, s15
	s_add_u32 s1, s44, s1
	s_addc_u32 s0, 0, s0
	s_mul_hi_u32 s45, s43, s27
	s_mul_i32 s27, s43, s27
	s_add_u32 s1, s1, s27
	s_mul_hi_u32 s44, s43, s15
	s_addc_u32 s0, s0, s45
	s_addc_u32 s1, s44, 0
	s_mul_i32 s15, s43, s15
	s_add_u32 s15, s0, s15
	s_addc_u32 s27, 0, s1
	s_mul_i32 s0, s38, s27
	s_mul_hi_u32 s1, s38, s15
	s_add_i32 s0, s1, s0
	s_mul_i32 s1, s39, s15
	s_add_i32 s44, s0, s1
	s_mul_i32 s1, s38, s15
	v_mov_b32_e32 v1, s1
	s_sub_i32 s0, s43, s44
	v_sub_co_u32_e32 v1, vcc, s42, v1
	s_cmp_lg_u64 vcc, 0
	s_subb_u32 s42, s0, s39
	v_subrev_co_u32_e64 v3, s[0:1], s38, v1
	s_cmp_lg_u64 s[0:1], 0
	s_subb_u32 s0, s42, 0
	s_cmp_ge_u32 s0, s39
	v_readfirstlane_b32 s42, v3
	s_cselect_b32 s1, -1, 0
	s_cmp_ge_u32 s42, s38
	s_cselect_b32 s42, -1, 0
	s_cmp_eq_u32 s0, s39
	s_cselect_b32 s0, s42, s1
	s_add_u32 s1, s15, 1
	s_addc_u32 s42, s27, 0
	s_add_u32 s45, s15, 2
	s_addc_u32 s46, s27, 0
	s_cmp_lg_u32 s0, 0
	s_cselect_b32 s0, s45, s1
	s_cselect_b32 s1, s46, s42
	s_cmp_lg_u64 vcc, 0
	s_subb_u32 s42, s43, s44
	s_cmp_ge_u32 s42, s39
	v_readfirstlane_b32 s44, v1
	s_cselect_b32 s43, -1, 0
	s_cmp_ge_u32 s44, s38
	s_cselect_b32 s38, -1, 0
	s_cmp_eq_u32 s42, s39
	s_cselect_b32 s38, s38, s43
	s_cmp_lg_u32 s38, 0
	s_cselect_b32 s1, s1, s27
	s_cselect_b32 s0, s0, s15
	s_xor_b64 s[2:3], s[40:41], s[2:3]
	s_xor_b64 s[0:1], s[0:1], s[2:3]
	s_sub_u32 s2, s0, s2
	s_subb_u32 s3, s1, s3
	s_cbranch_execnz .LBB70_7
.LBB70_6:
	v_cvt_f32_u32_e32 v1, s36
	s_sub_i32 s0, 0, s36
	s_mov_b32 s3, 0
	v_rcp_iflag_f32_e32 v1, v1
	v_mul_f32_e32 v1, 0x4f7ffffe, v1
	v_cvt_u32_f32_e32 v1, v1
	v_readfirstlane_b32 s1, v1
	s_mul_i32 s0, s0, s1
	s_mul_hi_u32 s0, s1, s0
	s_add_i32 s1, s1, s0
	s_mul_hi_u32 s0, s28, s1
	s_mul_i32 s2, s0, s36
	s_sub_i32 s2, s28, s2
	s_add_i32 s1, s0, 1
	s_sub_i32 s10, s2, s36
	s_cmp_ge_u32 s2, s36
	s_cselect_b32 s0, s1, s0
	s_cselect_b32 s2, s10, s2
	s_add_i32 s1, s0, 1
	s_cmp_ge_u32 s2, s36
	s_cselect_b32 s2, s1, s0
.LBB70_7:
	s_mul_i32 s0, s2, s37
	s_mul_hi_u32 s1, s2, s36
	s_load_dwordx2 s[10:11], s[6:7], 0x78
	s_add_i32 s0, s1, s0
	s_mul_i32 s1, s3, s36
	s_add_i32 s0, s0, s1
	s_mul_i32 s1, s2, s36
	s_sub_u32 s15, s28, s1
	s_subb_u32 s0, s29, s0
	v_cmp_gt_i32_e32 vcc, s26, v2
	s_mul_hi_u32 s42, s2, s12
	s_mul_i32 s43, s3, s12
	s_mul_i32 s44, s2, s12
	s_mul_hi_u32 s41, s15, s13
	s_mul_i32 s3, s0, s13
	s_mul_i32 s40, s15, s13
	s_and_saveexec_b64 s[28:29], vcc
	s_cbranch_execz .LBB70_42
; %bb.8:
	s_load_dwordx2 s[0:1], s[4:5], 0x4
	v_bfe_u32 v1, v0, 10, 10
	s_mul_i32 s4, s8, s17
	s_ashr_i32 s27, s26, 31
	s_load_dword s5, s[6:7], 0x8c
	s_waitcnt lgkmcnt(0)
	s_lshr_b32 s0, s0, 16
	s_mul_i32 s0, s0, s1
	v_mul_lo_u32 v3, s0, v2
	s_mul_hi_u32 s0, s8, s16
	v_mad_u32_u24 v1, v1, s1, v3
	s_add_i32 s1, s0, s4
	s_mul_i32 s0, s8, s16
	s_lshl_b64 s[0:1], s[0:1], 1
	s_add_u32 s45, s20, s0
	s_addc_u32 s46, s21, s1
	s_ashr_i32 s4, s12, 31
	s_mul_i32 s4, s2, s4
	s_add_i32 s4, s42, s4
	s_add_i32 s16, s4, s43
	s_ashr_i32 s4, s13, 31
	s_mul_i32 s4, s15, s4
	s_add_i32 s4, s41, s4
	s_and_b32 s48, s5, 0xffff
	s_add_i32 s17, s4, s3
	s_ashr_i32 s36, s14, 31
	s_lshl_b32 s50, s48, 1
	s_lshl_b64 s[4:5], s[26:27], 1
	s_add_u32 s34, s34, s4
	s_addc_u32 s35, s35, s5
	s_add_u32 s51, s30, s34
	s_addc_u32 s52, s31, s35
	;; [unrolled: 2-line block ×5, first 2 shown]
	s_add_u32 s0, s0, s14
	s_load_dword s47, s[10:11], 0x0
	s_addc_u32 s1, s1, s36
	s_add_u32 s0, s24, s0
	v_bfe_u32 v0, v0, 20, 10
	s_addc_u32 s1, s25, s1
	v_add_lshl_u32 v3, v1, v0, 1
	v_mov_b32_e32 v0, s1
	v_add_co_u32_e32 v6, vcc, s0, v2
	v_add_u32_e32 v5, 0x800, v3
	s_mov_b32 s49, 0
	v_mov_b32_e32 v1, 0
	v_lshlrev_b32_e32 v4, 1, v2
	v_addc_co_u32_e32 v7, vcc, 0, v0, vcc
	s_mov_b64 s[4:5], 0
	s_movk_i32 s55, 0x7fff
	v_mov_b32_e32 v10, 0x7fc00000
	v_mov_b32_e32 v11, 0x7fc0
	s_movk_i32 s56, 0x80
	s_mov_b64 s[16:17], 0x7f800000
	s_mov_b64 s[20:21], 0x43e00001
	s_movk_i32 s57, 0x7a
	s_mov_b64 s[30:31], 0xffffff
	s_movk_i32 s58, 0x7f
	v_mov_b32_e32 v12, 0xffffff82
	v_mov_b32_e32 v13, 0x78
	;; [unrolled: 1-line block ×3, first 2 shown]
	s_branch .LBB70_10
.LBB70_9:                               ;   in Loop: Header=BB70_10 Depth=1
	s_or_b64 exec, exec, s[0:1]
	s_add_u32 s9, s9, s50
	s_addc_u32 s33, s33, 0
	s_add_u32 s51, s51, s50
	s_addc_u32 s52, s52, 0
	s_add_u32 s53, s53, s50
	v_mov_b32_e32 v0, s27
	v_add_co_u32_e32 v16, vcc, s26, v6
	s_addc_u32 s54, s54, 0
	v_addc_co_u32_e32 v17, vcc, v7, v0, vcc
	v_add_u32_e32 v14, s48, v14
	s_add_u32 s45, s45, s50
	s_addc_u32 s46, s46, 0
	v_cmp_le_i32_e32 vcc, s26, v14
	v_mov_b32_e32 v0, s49
	s_or_b64 s[4:5], vcc, s[4:5]
	v_add_co_u32_e32 v6, vcc, s48, v6
	v_addc_co_u32_e32 v7, vcc, v7, v0, vcc
	global_store_byte v[16:17], v9, off
	s_andn2_b64 exec, exec, s[4:5]
	s_cbranch_execz .LBB70_42
.LBB70_10:                              ; =>This Inner Loop Header: Depth=1
	v_mov_b32_e32 v0, s33
	v_add_co_u32_e32 v16, vcc, s9, v4
	v_addc_co_u32_e32 v17, vcc, 0, v0, vcc
	v_mov_b32_e32 v0, s52
	v_add_co_u32_e32 v18, vcc, s51, v4
	v_addc_co_u32_e32 v19, vcc, 0, v0, vcc
	v_mov_b32_e32 v0, s46
	v_add_co_u32_e32 v8, vcc, s45, v4
	v_addc_co_u32_e32 v9, vcc, 0, v0, vcc
	v_mov_b32_e32 v0, s54
	v_add_co_u32_e32 v20, vcc, s53, v4
	v_addc_co_u32_e32 v21, vcc, 0, v0, vcc
	global_load_ushort v0, v[20:21], off
	global_load_ushort v15, v[8:9], off
	;; [unrolled: 1-line block ×3, first 2 shown]
	s_nop 0
	global_load_ushort v18, v[18:19], off
	v_mov_b32_e32 v19, v1
	s_waitcnt vmcnt(3)
	v_lshlrev_b32_e32 v17, 16, v0
	s_waitcnt vmcnt(2)
	v_lshlrev_b32_e32 v16, 16, v15
	;; [unrolled: 2-line block ×4, first 2 shown]
	v_mov_b32_e32 v24, v23
	v_mov_b32_e32 v25, v22
	v_pk_mul_f32 v[22:23], v[22:23], v[16:17]
	v_bfe_u32 v15, v23, 16, 1
	v_pk_mul_f32 v[16:17], v[24:25], v[16:17]
	v_bfe_u32 v0, v22, 16, 1
	v_add3_u32 v15, v23, v15, s55
	v_bfe_u32 v24, v17, 16, 1
	v_add3_u32 v0, v22, v0, s55
	v_and_b32_e32 v15, 0xffff0000, v15
	v_cmp_o_f32_e32 vcc, v23, v23
	v_bfe_u32 v18, v16, 16, 1
	v_add3_u32 v24, v17, v24, s55
	v_and_b32_e32 v0, 0xffff0000, v0
	v_cndmask_b32_e32 v15, v10, v15, vcc
	v_cmp_o_f32_e32 vcc, v22, v22
	v_add3_u32 v18, v16, v18, s55
	v_and_b32_e32 v24, 0xffff0000, v24
	v_cndmask_b32_e32 v0, v10, v0, vcc
	v_cmp_o_f32_e32 vcc, v17, v17
	v_and_b32_e32 v18, 0xffff0000, v18
	v_cndmask_b32_e32 v17, v10, v24, vcc
	v_cmp_o_f32_e32 vcc, v16, v16
	v_cndmask_b32_e32 v16, v10, v18, vcc
	v_add_f32_e32 v0, v0, v15
	v_sub_f32_e32 v15, v16, v17
	v_bfe_u32 v16, v0, 16, 1
	v_bfe_u32 v17, v15, 16, 1
	v_add3_u32 v16, v0, v16, s55
	v_add3_u32 v17, v15, v17, s55
	v_lshrrev_b32_e32 v16, 16, v16
	v_cmp_o_f32_e32 vcc, v0, v0
	v_lshrrev_b32_e32 v17, 16, v17
	v_cndmask_b32_e32 v0, v11, v16, vcc
	v_cmp_o_f32_e32 vcc, v15, v15
	v_cndmask_b32_e32 v15, v11, v17, vcc
	ds_write_b16 v5, v15
	ds_read_b32 v16, v5
	ds_write_b16 v3, v0
	global_store_short v[8:9], v15, off
	global_store_short v[20:21], v0, off
	ds_read_b32 v15, v3
	s_waitcnt lgkmcnt(0)
	v_div_scale_f32 v0, s[0:1], s47, s47, v16
	v_rcp_f32_e32 v8, v0
	v_div_scale_f32 v9, vcc, v16, s47, v16
	v_fma_f32 v17, -v0, v8, 1.0
	v_fmac_f32_e32 v8, v17, v8
	v_mul_f32_e32 v17, v9, v8
	v_fma_f32 v18, -v0, v17, v9
	v_fmac_f32_e32 v17, v18, v8
	v_fma_f32 v0, -v0, v17, v9
	v_div_fmas_f32 v0, v0, v8, v17
	v_div_fixup_f32 v8, v0, s47, v16
	v_and_b32_sdwa v16, v8, s56 dst_sel:DWORD dst_unused:UNUSED_PAD src0_sel:BYTE_3 src1_sel:DWORD
	v_and_b32_e32 v18, 0x7f800000, v8
	v_and_b32_e32 v0, 0x7fffff, v8
	v_or_b32_e32 v9, 0x7e, v16
	v_cmp_ne_u64_e32 vcc, s[16:17], v[18:19]
	s_and_saveexec_b64 s[0:1], vcc
	s_xor_b64 s[34:35], exec, s[0:1]
	s_cbranch_execz .LBB70_24
; %bb.11:                               ;   in Loop: Header=BB70_10 Depth=1
	v_and_b32_e32 v18, 0x7fffffff, v8
	v_mov_b32_e32 v19, v1
	v_cmp_gt_u64_e32 vcc, s[20:21], v[18:19]
	s_and_saveexec_b64 s[0:1], vcc
	s_xor_b64 s[36:37], exec, s[0:1]
	s_cbranch_execz .LBB70_23
; %bb.12:                               ;   in Loop: Header=BB70_10 Depth=1
	v_cmp_ne_u32_e32 vcc, 0, v8
	v_mov_b32_e32 v9, 0
	s_and_saveexec_b64 s[38:39], vcc
	s_cbranch_execz .LBB70_22
; %bb.13:                               ;   in Loop: Header=BB70_10 Depth=1
	v_bfe_u32 v8, v8, 23, 8
	v_sub_u32_e32 v17, 0x79, v8
	v_cmp_gt_u32_e32 vcc, s57, v8
	v_cndmask_b32_e32 v17, 0, v17, vcc
	v_cmp_eq_u32_e32 vcc, 0, v8
	v_cndmask_b32_e32 v17, v17, v13, vcc
	v_add_u32_e32 v9, 0xffffff81, v8
	v_or_b32_e32 v18, 0x800000, v0
	v_add_u32_e32 v8, 20, v17
	v_cndmask_b32_e32 v19, v9, v12, vcc
	v_cndmask_b32_e32 v0, v18, v0, vcc
	v_lshlrev_b64 v[8:9], v8, -1
	v_not_b32_e32 v8, v8
	v_lshrrev_b64 v[22:23], v17, v[0:1]
	v_not_b32_e32 v9, v9
	v_and_b32_e32 v8, v0, v8
	v_add_u32_e32 v18, 19, v17
	v_lshrrev_b32_e32 v0, 23, v22
	v_and_b32_e32 v9, 0, v9
	v_lshlrev_b64 v[20:21], v18, 1
	v_add3_u32 v18, v17, v19, v0
	v_bfe_u32 v0, v22, 20, 1
	v_add_u32_e32 v0, -1, v0
	v_cmp_eq_u64_e32 vcc, v[8:9], v[20:21]
	v_cndmask_b32_e32 v0, 0, v0, vcc
	v_add_u32_e32 v0, v0, v22
	v_and_b32_e32 v0, 0xfffff, v0
	v_add_co_u32_e32 v8, vcc, v0, v22
	v_add_u32_e32 v17, 6, v18
	v_addc_co_u32_e32 v9, vcc, 0, v23, vcc
	v_cmp_ne_u32_e32 vcc, 0, v17
                                        ; implicit-def: $vgpr0
	s_and_saveexec_b64 s[0:1], vcc
	s_xor_b64 s[0:1], exec, s[0:1]
; %bb.14:                               ;   in Loop: Header=BB70_10 Depth=1
	v_add_u32_e32 v0, 7, v18
	v_cmp_lt_u64_e32 vcc, s[30:31], v[8:9]
	v_cndmask_b32_e32 v0, v17, v0, vcc
	v_cndmask_b32_e64 v17, 0, 1, vcc
	v_lshrrev_b64 v[8:9], v17, v[8:9]
; %bb.15:                               ;   in Loop: Header=BB70_10 Depth=1
	s_andn2_saveexec_b64 s[0:1], s[0:1]
; %bb.16:                               ;   in Loop: Header=BB70_10 Depth=1
	v_bfe_u32 v0, v8, 23, 1
; %bb.17:                               ;   in Loop: Header=BB70_10 Depth=1
	s_or_b64 exec, exec, s[0:1]
	v_lshrrev_b64 v[8:9], 20, v[8:9]
	v_cmp_gt_i32_e32 vcc, 16, v0
	v_cndmask_b32_e32 v9, 0, v9, vcc
	v_cndmask_b32_e32 v8, 7, v8, vcc
	v_cmp_ne_u32_e32 vcc, 0, v0
	v_cmp_ne_u64_e64 s[0:1], 0, v[8:9]
	s_or_b64 s[0:1], vcc, s[0:1]
                                        ; implicit-def: $vgpr9
	s_and_saveexec_b64 s[60:61], s[0:1]
	s_xor_b64 s[0:1], exec, s[60:61]
; %bb.18:                               ;   in Loop: Header=BB70_10 Depth=1
	v_min_i32_e32 v0, 15, v0
	v_lshl_or_b32 v0, v0, 3, v16
	v_and_or_b32 v9, v8, 7, v0
                                        ; implicit-def: $vgpr16
; %bb.19:                               ;   in Loop: Header=BB70_10 Depth=1
	s_andn2_saveexec_b64 s[0:1], s[0:1]
; %bb.20:                               ;   in Loop: Header=BB70_10 Depth=1
	v_mov_b32_e32 v9, v16
; %bb.21:                               ;   in Loop: Header=BB70_10 Depth=1
	s_or_b64 exec, exec, s[0:1]
.LBB70_22:                              ;   in Loop: Header=BB70_10 Depth=1
	s_or_b64 exec, exec, s[38:39]
.LBB70_23:                              ;   in Loop: Header=BB70_10 Depth=1
	s_andn2_saveexec_b64 s[0:1], s[36:37]
	s_or_b64 exec, exec, s[0:1]
                                        ; implicit-def: $vgpr8
.LBB70_24:                              ;   in Loop: Header=BB70_10 Depth=1
	s_andn2_saveexec_b64 s[0:1], s[34:35]
; %bb.25:                               ;   in Loop: Header=BB70_10 Depth=1
	v_or_b32_sdwa v8, v8, s58 dst_sel:DWORD dst_unused:UNUSED_PAD src0_sel:BYTE_3 src1_sel:DWORD
	v_cmp_eq_u64_e32 vcc, 0, v[0:1]
	v_cndmask_b32_e32 v9, v8, v9, vcc
; %bb.26:                               ;   in Loop: Header=BB70_10 Depth=1
	s_or_b64 exec, exec, s[0:1]
	v_div_scale_f32 v0, s[0:1], s47, s47, v15
	v_rcp_f32_e32 v8, v0
	global_store_byte v[6:7], v9, off
	v_fma_f32 v9, -v0, v8, 1.0
	v_fmac_f32_e32 v8, v9, v8
	v_div_scale_f32 v9, vcc, v15, s47, v15
	v_mul_f32_e32 v16, v9, v8
	v_fma_f32 v17, -v0, v16, v9
	v_fmac_f32_e32 v16, v17, v8
	v_fma_f32 v0, -v0, v16, v9
	v_div_fmas_f32 v0, v0, v8, v16
	v_div_fixup_f32 v8, v0, s47, v15
	v_and_b32_sdwa v15, v8, s56 dst_sel:DWORD dst_unused:UNUSED_PAD src0_sel:BYTE_3 src1_sel:DWORD
	v_and_b32_e32 v16, 0x7f800000, v8
	v_mov_b32_e32 v17, v1
	v_and_b32_e32 v0, 0x7fffff, v8
	v_or_b32_e32 v9, 0x7e, v15
	v_cmp_ne_u64_e32 vcc, s[16:17], v[16:17]
	s_and_saveexec_b64 s[0:1], vcc
	s_xor_b64 s[34:35], exec, s[0:1]
	s_cbranch_execz .LBB70_40
; %bb.27:                               ;   in Loop: Header=BB70_10 Depth=1
	v_and_b32_e32 v16, 0x7fffffff, v8
	v_mov_b32_e32 v17, v1
	v_cmp_gt_u64_e32 vcc, s[20:21], v[16:17]
	s_and_saveexec_b64 s[0:1], vcc
	s_xor_b64 s[36:37], exec, s[0:1]
	s_cbranch_execz .LBB70_39
; %bb.28:                               ;   in Loop: Header=BB70_10 Depth=1
	v_cmp_ne_u32_e32 vcc, 0, v8
	v_mov_b32_e32 v9, 0
	s_and_saveexec_b64 s[38:39], vcc
	s_cbranch_execz .LBB70_38
; %bb.29:                               ;   in Loop: Header=BB70_10 Depth=1
	v_bfe_u32 v8, v8, 23, 8
	v_sub_u32_e32 v16, 0x79, v8
	v_cmp_gt_u32_e32 vcc, s57, v8
	v_cndmask_b32_e32 v16, 0, v16, vcc
	v_cmp_eq_u32_e32 vcc, 0, v8
	v_cndmask_b32_e32 v16, v16, v13, vcc
	v_add_u32_e32 v9, 0xffffff81, v8
	v_or_b32_e32 v17, 0x800000, v0
	v_add_u32_e32 v8, 20, v16
	v_cndmask_b32_e32 v22, v9, v12, vcc
	v_cndmask_b32_e32 v0, v17, v0, vcc
	v_lshlrev_b64 v[8:9], v8, -1
	v_not_b32_e32 v8, v8
	v_lshrrev_b64 v[20:21], v16, v[0:1]
	v_not_b32_e32 v9, v9
	v_and_b32_e32 v8, v0, v8
	v_add_u32_e32 v17, 19, v16
	v_lshrrev_b32_e32 v0, 23, v20
	v_and_b32_e32 v9, 0, v9
	v_lshlrev_b64 v[18:19], v17, 1
	v_add3_u32 v17, v16, v22, v0
	v_bfe_u32 v0, v20, 20, 1
	v_add_u32_e32 v0, -1, v0
	v_cmp_eq_u64_e32 vcc, v[8:9], v[18:19]
	v_cndmask_b32_e32 v0, 0, v0, vcc
	v_add_u32_e32 v0, v0, v20
	v_and_b32_e32 v0, 0xfffff, v0
	v_add_co_u32_e32 v8, vcc, v0, v20
	v_add_u32_e32 v16, 6, v17
	v_addc_co_u32_e32 v9, vcc, 0, v21, vcc
	v_cmp_ne_u32_e32 vcc, 0, v16
                                        ; implicit-def: $vgpr0
	s_and_saveexec_b64 s[0:1], vcc
	s_xor_b64 s[0:1], exec, s[0:1]
; %bb.30:                               ;   in Loop: Header=BB70_10 Depth=1
	v_add_u32_e32 v0, 7, v17
	v_cmp_lt_u64_e32 vcc, s[30:31], v[8:9]
	v_cndmask_b32_e32 v0, v16, v0, vcc
	v_cndmask_b32_e64 v16, 0, 1, vcc
	v_lshrrev_b64 v[8:9], v16, v[8:9]
; %bb.31:                               ;   in Loop: Header=BB70_10 Depth=1
	s_andn2_saveexec_b64 s[0:1], s[0:1]
; %bb.32:                               ;   in Loop: Header=BB70_10 Depth=1
	v_bfe_u32 v0, v8, 23, 1
; %bb.33:                               ;   in Loop: Header=BB70_10 Depth=1
	s_or_b64 exec, exec, s[0:1]
	v_lshrrev_b64 v[8:9], 20, v[8:9]
	v_cmp_gt_i32_e32 vcc, 16, v0
	v_cndmask_b32_e32 v9, 0, v9, vcc
	v_cndmask_b32_e32 v8, 7, v8, vcc
	v_cmp_ne_u32_e32 vcc, 0, v0
	v_cmp_ne_u64_e64 s[0:1], 0, v[8:9]
	s_or_b64 s[0:1], vcc, s[0:1]
                                        ; implicit-def: $vgpr9
	s_and_saveexec_b64 s[60:61], s[0:1]
	s_xor_b64 s[0:1], exec, s[60:61]
; %bb.34:                               ;   in Loop: Header=BB70_10 Depth=1
	v_min_i32_e32 v0, 15, v0
	v_lshl_or_b32 v0, v0, 3, v15
	v_and_or_b32 v9, v8, 7, v0
                                        ; implicit-def: $vgpr15
; %bb.35:                               ;   in Loop: Header=BB70_10 Depth=1
	s_andn2_saveexec_b64 s[0:1], s[0:1]
; %bb.36:                               ;   in Loop: Header=BB70_10 Depth=1
	v_mov_b32_e32 v9, v15
; %bb.37:                               ;   in Loop: Header=BB70_10 Depth=1
	s_or_b64 exec, exec, s[0:1]
.LBB70_38:                              ;   in Loop: Header=BB70_10 Depth=1
	s_or_b64 exec, exec, s[38:39]
.LBB70_39:                              ;   in Loop: Header=BB70_10 Depth=1
	s_andn2_saveexec_b64 s[0:1], s[36:37]
	s_or_b64 exec, exec, s[0:1]
                                        ; implicit-def: $vgpr8
.LBB70_40:                              ;   in Loop: Header=BB70_10 Depth=1
	s_andn2_saveexec_b64 s[0:1], s[34:35]
	s_cbranch_execz .LBB70_9
; %bb.41:                               ;   in Loop: Header=BB70_10 Depth=1
	v_or_b32_sdwa v8, v8, s58 dst_sel:DWORD dst_unused:UNUSED_PAD src0_sel:BYTE_3 src1_sel:DWORD
	v_cmp_eq_u64_e32 vcc, 0, v[0:1]
	v_cndmask_b32_e32 v9, v8, v9, vcc
	s_branch .LBB70_9
.LBB70_42:
	s_or_b64 exec, exec, s[28:29]
	v_cmp_gt_i32_e32 vcc, s14, v2
	s_and_saveexec_b64 s[0:1], vcc
	s_cbranch_execz .LBB70_61
; %bb.43:
	s_mul_i32 s0, s8, s19
	s_mul_hi_u32 s1, s8, s18
	s_add_i32 s1, s1, s0
	s_mul_i32 s0, s8, s18
	s_lshl_b64 s[0:1], s[0:1], 1
	s_add_u32 s18, s22, s0
	s_addc_u32 s0, s23, s1
	s_ashr_i32 s1, s12, 31
	s_mul_i32 s1, s2, s1
	s_add_i32 s1, s42, s1
	s_add_i32 s1, s1, s43
	s_add_u32 s2, s24, s44
	s_addc_u32 s1, s25, s1
	s_ashr_i32 s4, s13, 31
	s_load_dword s5, s[6:7], 0x8c
	s_mul_i32 s15, s15, s4
	s_waitcnt lgkmcnt(0)
	s_load_dword s20, s[10:11], 0x0
	s_add_i32 s4, s41, s15
	s_add_i32 s4, s4, s3
	s_add_u32 s15, s2, s40
	s_addc_u32 s19, s1, s4
	s_and_b32 s21, s5, 0xffff
	s_mov_b64 s[2:3], 0
	v_mov_b32_e32 v6, s0
	v_mov_b32_e32 v1, 0
	s_movk_i32 s22, 0x80
	s_mov_b64 s[4:5], 0x7f800000
	s_mov_b64 s[6:7], 0x43e00001
	s_movk_i32 s23, 0x7a
	s_mov_b64 s[8:9], 0xffffff
	s_movk_i32 s24, 0x7f
	v_mov_b32_e32 v7, 0xffffff82
	v_mov_b32_e32 v8, 0x78
	s_branch .LBB70_45
.LBB70_44:                              ;   in Loop: Header=BB70_45 Depth=1
	s_or_b64 exec, exec, s[0:1]
	v_mov_b32_e32 v0, s19
	v_add_co_u32_e32 v10, vcc, s15, v2
	v_addc_co_u32_e32 v11, vcc, v0, v3, vcc
	v_add_u32_e32 v2, s21, v2
	v_cmp_le_i32_e32 vcc, s14, v2
	s_or_b64 s[2:3], vcc, s[2:3]
	global_store_byte v[10:11], v5, off
	s_andn2_b64 exec, exec, s[2:3]
	s_cbranch_execz .LBB70_61
.LBB70_45:                              ; =>This Inner Loop Header: Depth=1
	v_ashrrev_i32_e32 v3, 31, v2
	v_lshlrev_b64 v[4:5], 1, v[2:3]
	v_add_co_u32_e32 v4, vcc, s18, v4
	v_addc_co_u32_e32 v5, vcc, v6, v5, vcc
	global_load_dword v0, v[4:5], off
	v_mov_b32_e32 v11, v1
	s_waitcnt vmcnt(0) lgkmcnt(0)
	v_div_scale_f32 v4, s[0:1], s20, s20, v0
	v_rcp_f32_e32 v5, v4
	v_div_scale_f32 v9, vcc, v0, s20, v0
	v_fma_f32 v10, -v4, v5, 1.0
	v_fmac_f32_e32 v5, v10, v5
	v_mul_f32_e32 v10, v9, v5
	v_fma_f32 v12, -v4, v10, v9
	v_fmac_f32_e32 v10, v12, v5
	v_fma_f32 v4, -v4, v10, v9
	v_div_fmas_f32 v4, v4, v5, v10
	v_div_fixup_f32 v4, v4, s20, v0
	v_and_b32_sdwa v9, v4, s22 dst_sel:DWORD dst_unused:UNUSED_PAD src0_sel:BYTE_3 src1_sel:DWORD
	v_and_b32_e32 v10, 0x7f800000, v4
	v_and_b32_e32 v0, 0x7fffff, v4
	v_or_b32_e32 v5, 0x7e, v9
	v_cmp_ne_u64_e32 vcc, s[4:5], v[10:11]
	s_and_saveexec_b64 s[0:1], vcc
	s_xor_b64 s[10:11], exec, s[0:1]
	s_cbranch_execz .LBB70_59
; %bb.46:                               ;   in Loop: Header=BB70_45 Depth=1
	v_and_b32_e32 v10, 0x7fffffff, v4
	v_mov_b32_e32 v11, v1
	v_cmp_gt_u64_e32 vcc, s[6:7], v[10:11]
	s_and_saveexec_b64 s[0:1], vcc
	s_xor_b64 s[12:13], exec, s[0:1]
	s_cbranch_execz .LBB70_58
; %bb.47:                               ;   in Loop: Header=BB70_45 Depth=1
	v_cmp_ne_u32_e32 vcc, 0, v4
	v_mov_b32_e32 v5, 0
	s_and_saveexec_b64 s[16:17], vcc
	s_cbranch_execz .LBB70_57
; %bb.48:                               ;   in Loop: Header=BB70_45 Depth=1
	v_bfe_u32 v4, v4, 23, 8
	v_sub_u32_e32 v10, 0x79, v4
	v_cmp_gt_u32_e32 vcc, s23, v4
	v_cndmask_b32_e32 v10, 0, v10, vcc
	v_cmp_eq_u32_e32 vcc, 0, v4
	v_cndmask_b32_e32 v10, v10, v8, vcc
	v_add_u32_e32 v5, 0xffffff81, v4
	v_or_b32_e32 v11, 0x800000, v0
	v_add_u32_e32 v4, 20, v10
	v_cndmask_b32_e32 v16, v5, v7, vcc
	v_cndmask_b32_e32 v0, v11, v0, vcc
	v_lshlrev_b64 v[4:5], v4, -1
	v_not_b32_e32 v4, v4
	v_lshrrev_b64 v[14:15], v10, v[0:1]
	v_not_b32_e32 v5, v5
	v_and_b32_e32 v4, v0, v4
	v_add_u32_e32 v11, 19, v10
	v_lshrrev_b32_e32 v0, 23, v14
	v_and_b32_e32 v5, 0, v5
	v_lshlrev_b64 v[12:13], v11, 1
	v_add3_u32 v11, v10, v16, v0
	v_bfe_u32 v0, v14, 20, 1
	v_add_u32_e32 v0, -1, v0
	v_cmp_eq_u64_e32 vcc, v[4:5], v[12:13]
	v_cndmask_b32_e32 v0, 0, v0, vcc
	v_add_u32_e32 v0, v0, v14
	v_and_b32_e32 v0, 0xfffff, v0
	v_add_co_u32_e32 v4, vcc, v0, v14
	v_add_u32_e32 v10, 6, v11
	v_addc_co_u32_e32 v5, vcc, 0, v15, vcc
	v_cmp_ne_u32_e32 vcc, 0, v10
                                        ; implicit-def: $vgpr0
	s_and_saveexec_b64 s[0:1], vcc
	s_xor_b64 s[0:1], exec, s[0:1]
; %bb.49:                               ;   in Loop: Header=BB70_45 Depth=1
	v_add_u32_e32 v0, 7, v11
	v_cmp_lt_u64_e32 vcc, s[8:9], v[4:5]
	v_cndmask_b32_e32 v0, v10, v0, vcc
	v_cndmask_b32_e64 v10, 0, 1, vcc
	v_lshrrev_b64 v[4:5], v10, v[4:5]
; %bb.50:                               ;   in Loop: Header=BB70_45 Depth=1
	s_andn2_saveexec_b64 s[0:1], s[0:1]
; %bb.51:                               ;   in Loop: Header=BB70_45 Depth=1
	v_bfe_u32 v0, v4, 23, 1
; %bb.52:                               ;   in Loop: Header=BB70_45 Depth=1
	s_or_b64 exec, exec, s[0:1]
	v_lshrrev_b64 v[4:5], 20, v[4:5]
	v_cmp_gt_i32_e32 vcc, 16, v0
	v_cndmask_b32_e32 v5, 0, v5, vcc
	v_cndmask_b32_e32 v4, 7, v4, vcc
	v_cmp_ne_u32_e32 vcc, 0, v0
	v_cmp_ne_u64_e64 s[0:1], 0, v[4:5]
	s_or_b64 s[0:1], vcc, s[0:1]
                                        ; implicit-def: $vgpr5
	s_and_saveexec_b64 s[26:27], s[0:1]
	s_xor_b64 s[0:1], exec, s[26:27]
; %bb.53:                               ;   in Loop: Header=BB70_45 Depth=1
	v_min_i32_e32 v0, 15, v0
	v_lshl_or_b32 v0, v0, 3, v9
	v_and_or_b32 v5, v4, 7, v0
                                        ; implicit-def: $vgpr9
; %bb.54:                               ;   in Loop: Header=BB70_45 Depth=1
	s_andn2_saveexec_b64 s[0:1], s[0:1]
; %bb.55:                               ;   in Loop: Header=BB70_45 Depth=1
	v_mov_b32_e32 v5, v9
; %bb.56:                               ;   in Loop: Header=BB70_45 Depth=1
	s_or_b64 exec, exec, s[0:1]
.LBB70_57:                              ;   in Loop: Header=BB70_45 Depth=1
	s_or_b64 exec, exec, s[16:17]
.LBB70_58:                              ;   in Loop: Header=BB70_45 Depth=1
	s_andn2_saveexec_b64 s[0:1], s[12:13]
	s_or_b64 exec, exec, s[0:1]
                                        ; implicit-def: $vgpr4
.LBB70_59:                              ;   in Loop: Header=BB70_45 Depth=1
	s_andn2_saveexec_b64 s[0:1], s[10:11]
	s_cbranch_execz .LBB70_44
; %bb.60:                               ;   in Loop: Header=BB70_45 Depth=1
	v_or_b32_sdwa v4, v4, s24 dst_sel:DWORD dst_unused:UNUSED_PAD src0_sel:BYTE_3 src1_sel:DWORD
	v_cmp_eq_u64_e32 vcc, 0, v[0:1]
	v_cndmask_b32_e32 v5, v4, v5, vcc
	s_branch .LBB70_44
.LBB70_61:
	s_endpgm
.LBB70_62:
                                        ; implicit-def: $sgpr2_sgpr3
	s_branch .LBB70_6
	.section	.rodata,"a",@progbits
	.p2align	6, 0x0
	.amdhsa_kernel _ZN4vllm38concat_and_cache_mla_rope_fused_kernelIN3c108BFloat16ES2_Lb1EfhLNS_18Fp8KVCacheDataTypeE1EEEvPKlPT_S7_PKS6_PKT0_illlliPT3_S5_iiiiPKf
		.amdhsa_group_segment_fixed_size 4096
		.amdhsa_private_segment_fixed_size 0
		.amdhsa_kernarg_size 384
		.amdhsa_user_sgpr_count 8
		.amdhsa_user_sgpr_private_segment_buffer 1
		.amdhsa_user_sgpr_dispatch_ptr 1
		.amdhsa_user_sgpr_queue_ptr 0
		.amdhsa_user_sgpr_kernarg_segment_ptr 1
		.amdhsa_user_sgpr_dispatch_id 0
		.amdhsa_user_sgpr_flat_scratch_init 0
		.amdhsa_user_sgpr_kernarg_preload_length 0
		.amdhsa_user_sgpr_kernarg_preload_offset 0
		.amdhsa_user_sgpr_private_segment_size 0
		.amdhsa_uses_dynamic_stack 0
		.amdhsa_system_sgpr_private_segment_wavefront_offset 0
		.amdhsa_system_sgpr_workgroup_id_x 1
		.amdhsa_system_sgpr_workgroup_id_y 0
		.amdhsa_system_sgpr_workgroup_id_z 0
		.amdhsa_system_sgpr_workgroup_info 0
		.amdhsa_system_vgpr_workitem_id 2
		.amdhsa_next_free_vgpr 26
		.amdhsa_next_free_sgpr 62
		.amdhsa_accum_offset 28
		.amdhsa_reserve_vcc 1
		.amdhsa_reserve_flat_scratch 0
		.amdhsa_float_round_mode_32 0
		.amdhsa_float_round_mode_16_64 0
		.amdhsa_float_denorm_mode_32 3
		.amdhsa_float_denorm_mode_16_64 3
		.amdhsa_dx10_clamp 1
		.amdhsa_ieee_mode 1
		.amdhsa_fp16_overflow 0
		.amdhsa_tg_split 0
		.amdhsa_exception_fp_ieee_invalid_op 0
		.amdhsa_exception_fp_denorm_src 0
		.amdhsa_exception_fp_ieee_div_zero 0
		.amdhsa_exception_fp_ieee_overflow 0
		.amdhsa_exception_fp_ieee_underflow 0
		.amdhsa_exception_fp_ieee_inexact 0
		.amdhsa_exception_int_div_zero 0
	.end_amdhsa_kernel
	.section	.text._ZN4vllm38concat_and_cache_mla_rope_fused_kernelIN3c108BFloat16ES2_Lb1EfhLNS_18Fp8KVCacheDataTypeE1EEEvPKlPT_S7_PKS6_PKT0_illlliPT3_S5_iiiiPKf,"axG",@progbits,_ZN4vllm38concat_and_cache_mla_rope_fused_kernelIN3c108BFloat16ES2_Lb1EfhLNS_18Fp8KVCacheDataTypeE1EEEvPKlPT_S7_PKS6_PKT0_illlliPT3_S5_iiiiPKf,comdat
.Lfunc_end70:
	.size	_ZN4vllm38concat_and_cache_mla_rope_fused_kernelIN3c108BFloat16ES2_Lb1EfhLNS_18Fp8KVCacheDataTypeE1EEEvPKlPT_S7_PKS6_PKT0_illlliPT3_S5_iiiiPKf, .Lfunc_end70-_ZN4vllm38concat_and_cache_mla_rope_fused_kernelIN3c108BFloat16ES2_Lb1EfhLNS_18Fp8KVCacheDataTypeE1EEEvPKlPT_S7_PKS6_PKT0_illlliPT3_S5_iiiiPKf
                                        ; -- End function
	.section	.AMDGPU.csdata,"",@progbits
; Kernel info:
; codeLenInByte = 4232
; NumSgprs: 66
; NumVgprs: 26
; NumAgprs: 0
; TotalNumVgprs: 26
; ScratchSize: 0
; MemoryBound: 0
; FloatMode: 240
; IeeeMode: 1
; LDSByteSize: 4096 bytes/workgroup (compile time only)
; SGPRBlocks: 8
; VGPRBlocks: 3
; NumSGPRsForWavesPerEU: 66
; NumVGPRsForWavesPerEU: 26
; AccumOffset: 28
; Occupancy: 8
; WaveLimiterHint : 1
; COMPUTE_PGM_RSRC2:SCRATCH_EN: 0
; COMPUTE_PGM_RSRC2:USER_SGPR: 8
; COMPUTE_PGM_RSRC2:TRAP_HANDLER: 0
; COMPUTE_PGM_RSRC2:TGID_X_EN: 1
; COMPUTE_PGM_RSRC2:TGID_Y_EN: 0
; COMPUTE_PGM_RSRC2:TGID_Z_EN: 0
; COMPUTE_PGM_RSRC2:TIDIG_COMP_CNT: 2
; COMPUTE_PGM_RSRC3_GFX90A:ACCUM_OFFSET: 6
; COMPUTE_PGM_RSRC3_GFX90A:TG_SPLIT: 0
	.section	.text._ZN4vllm38concat_and_cache_mla_rope_fused_kernelIN3c108BFloat16ES2_Lb0EfhLNS_18Fp8KVCacheDataTypeE1EEEvPKlPT_S7_PKS6_PKT0_illlliPT3_S5_iiiiPKf,"axG",@progbits,_ZN4vllm38concat_and_cache_mla_rope_fused_kernelIN3c108BFloat16ES2_Lb0EfhLNS_18Fp8KVCacheDataTypeE1EEEvPKlPT_S7_PKS6_PKT0_illlliPT3_S5_iiiiPKf,comdat
	.protected	_ZN4vllm38concat_and_cache_mla_rope_fused_kernelIN3c108BFloat16ES2_Lb0EfhLNS_18Fp8KVCacheDataTypeE1EEEvPKlPT_S7_PKS6_PKT0_illlliPT3_S5_iiiiPKf ; -- Begin function _ZN4vllm38concat_and_cache_mla_rope_fused_kernelIN3c108BFloat16ES2_Lb0EfhLNS_18Fp8KVCacheDataTypeE1EEEvPKlPT_S7_PKS6_PKT0_illlliPT3_S5_iiiiPKf
	.globl	_ZN4vllm38concat_and_cache_mla_rope_fused_kernelIN3c108BFloat16ES2_Lb0EfhLNS_18Fp8KVCacheDataTypeE1EEEvPKlPT_S7_PKS6_PKT0_illlliPT3_S5_iiiiPKf
	.p2align	8
	.type	_ZN4vllm38concat_and_cache_mla_rope_fused_kernelIN3c108BFloat16ES2_Lb0EfhLNS_18Fp8KVCacheDataTypeE1EEEvPKlPT_S7_PKS6_PKT0_illlliPT3_S5_iiiiPKf,@function
_ZN4vllm38concat_and_cache_mla_rope_fused_kernelIN3c108BFloat16ES2_Lb0EfhLNS_18Fp8KVCacheDataTypeE1EEEvPKlPT_S7_PKS6_PKT0_illlliPT3_S5_iiiiPKf: ; @_ZN4vllm38concat_and_cache_mla_rope_fused_kernelIN3c108BFloat16ES2_Lb0EfhLNS_18Fp8KVCacheDataTypeE1EEEvPKlPT_S7_PKS6_PKT0_illlliPT3_S5_iiiiPKf
; %bb.0:
	s_load_dwordx2 s[2:3], s[6:7], 0x60
	s_mov_b32 s9, 0
	s_lshl_b64 s[0:1], s[8:9], 3
	s_waitcnt lgkmcnt(0)
	s_add_u32 s2, s2, s0
	s_addc_u32 s3, s3, s1
	s_load_dwordx2 s[28:29], s[2:3], 0x0
	s_waitcnt lgkmcnt(0)
	v_cmp_lt_i64_e64 s[2:3], s[28:29], 0
	s_and_b64 vcc, exec, s[2:3]
	s_cbranch_vccnz .LBB71_61
; %bb.1:
	s_load_dword s9, s[6:7], 0x28
	s_load_dwordx2 s[2:3], s[6:7], 0x0
	s_load_dwordx2 s[30:31], s[6:7], 0x20
	s_load_dwordx4 s[20:23], s[6:7], 0x10
	v_and_b32_e32 v2, 0x3ff, v0
	s_waitcnt lgkmcnt(0)
	s_ashr_i32 s24, s9, 31
	s_add_u32 s0, s2, s0
	s_addc_u32 s1, s3, s1
	s_load_dwordx2 s[10:11], s[0:1], 0x0
	s_load_dwordx8 s[12:19], s[6:7], 0x30
	s_load_dwordx2 s[2:3], s[6:7], 0x58
	s_load_dword s25, s[6:7], 0x50
	v_lshlrev_b32_e32 v7, 1, v2
	s_waitcnt lgkmcnt(0)
	s_mul_i32 s0, s10, s24
	s_mul_hi_u32 s1, s10, s9
	s_add_i32 s0, s1, s0
	s_mul_i32 s1, s11, s9
	s_add_i32 s35, s0, s1
	s_lshr_b32 s0, s9, 31
	s_mul_i32 s34, s10, s9
	s_add_i32 s9, s9, s0
	s_ashr_i32 s10, s9, 1
	s_mul_i32 s9, s10, s25
	v_cmp_gt_i32_e32 vcc, s9, v2
	s_and_saveexec_b64 s[24:25], vcc
	s_cbranch_execz .LBB71_4
; %bb.2:
	s_lshl_b64 s[0:1], s[34:35], 1
	s_add_u32 s33, s30, s0
	s_addc_u32 s26, s31, s1
	s_load_dwordx2 s[0:1], s[6:7], 0x8
	s_mul_i32 s13, s8, s13
	s_mul_hi_u32 s27, s8, s12
	s_add_i32 s13, s27, s13
	s_load_dword s27, s[6:7], 0x8c
	s_mul_i32 s12, s8, s12
	s_ashr_i32 s11, s10, 31
	s_lshl_b64 s[12:13], s[12:13], 1
	s_waitcnt lgkmcnt(0)
	s_add_u32 s36, s0, s12
	s_addc_u32 s0, s1, s13
	s_abs_i32 s37, s10
	v_cvt_f32_u32_e32 v1, s37
	s_sub_i32 s1, 0, s37
	s_and_b32 s38, s27, 0xffff
	s_sub_i32 s39, 0, s10
	v_rcp_iflag_f32_e32 v1, v1
	s_lshl_b32 s41, s38, 1
	s_mov_b64 s[12:13], 0
	v_mov_b32_e32 v8, s0
	v_mul_f32_e32 v1, 0x4f7ffffe, v1
	v_cvt_u32_f32_e32 v1, v1
	v_mov_b32_e32 v9, 0x7fc00000
	v_mov_b32_e32 v10, 0x7fc0
	s_mov_b32 s42, 0x5040100
	v_mul_lo_u32 v3, s1, v1
	v_mul_hi_u32 v3, v1, v3
	v_add_u32_e32 v1, v1, v3
	s_lshl_b32 s1, s10, 1
	v_mov_b32_e32 v3, s26
	s_lshl_b64 s[26:27], s[10:11], 1
	s_sub_i32 s40, 0, s1
	v_mov_b32_e32 v5, s27
	s_movk_i32 s27, 0x7fff
	v_mov_b32_e32 v4, v7
	v_mov_b32_e32 v6, v2
.LBB71_3:                               ; =>This Inner Loop Header: Depth=1
	v_sub_u32_e32 v12, 0, v6
	v_max_i32_e32 v12, v6, v12
	v_mul_hi_u32 v13, v12, v1
	v_mul_lo_u32 v14, v13, s37
	v_sub_u32_e32 v12, v12, v14
	v_add_u32_e32 v15, 1, v13
	v_cmp_le_u32_e32 vcc, s37, v12
	v_subrev_u32_e32 v14, s37, v12
	v_cndmask_b32_e32 v13, v13, v15, vcc
	v_cndmask_b32_e32 v12, v12, v14, vcc
	v_ashrrev_i32_e32 v11, 31, v6
	v_add_u32_e32 v14, 1, v13
	v_cmp_le_u32_e32 vcc, s37, v12
	v_xor_b32_e32 v11, s11, v11
	v_cndmask_b32_e32 v12, v13, v14, vcc
	v_xor_b32_e32 v12, v12, v11
	v_sub_u32_e32 v11, v12, v11
	v_mad_u64_u32 v[12:13], s[0:1], s39, v11, v[6:7]
	v_ashrrev_i32_e32 v13, 31, v12
	v_lshlrev_b64 v[12:13], 1, v[12:13]
	v_ashrrev_i32_e32 v18, 31, v11
	v_add_co_u32_e32 v12, vcc, s33, v12
	v_mul_lo_u32 v19, v11, s15
	v_mad_u64_u32 v[14:15], s[0:1], v11, s14, 0
	v_mad_u64_u32 v[16:17], s[0:1], s40, v11, v[4:5]
	v_mul_lo_u32 v11, v18, s14
	v_addc_co_u32_e32 v13, vcc, v3, v13, vcc
	v_add3_u32 v15, v15, v19, v11
	v_add_co_u32_e32 v18, vcc, s26, v12
	v_lshlrev_b64 v[14:15], 1, v[14:15]
	v_addc_co_u32_e32 v19, vcc, v13, v5, vcc
	v_ashrrev_i32_e32 v17, 31, v16
	v_add_co_u32_e32 v11, vcc, s36, v14
	v_lshlrev_b64 v[16:17], 1, v[16:17]
	v_addc_co_u32_e32 v14, vcc, v8, v15, vcc
	global_load_ushort v15, v[12:13], off
	global_load_ushort v20, v[18:19], off
	v_add_co_u32_e32 v12, vcc, v11, v16
	v_addc_co_u32_e32 v13, vcc, v14, v17, vcc
	global_load_dword v11, v[12:13], off
	v_add_u32_e32 v6, s38, v6
	v_cmp_le_i32_e32 vcc, s9, v6
	s_or_b64 s[12:13], vcc, s[12:13]
	v_add_u32_e32 v4, s41, v4
	s_waitcnt vmcnt(2)
	v_lshlrev_b32_e32 v15, 16, v15
	s_waitcnt vmcnt(1)
	v_lshlrev_b32_e32 v17, 16, v20
	v_mov_b32_e32 v14, v17
	v_mov_b32_e32 v18, v15
	s_waitcnt vmcnt(0)
	v_and_b32_e32 v20, 0xffff0000, v11
	v_lshlrev_b32_e32 v16, 16, v11
	v_pk_mul_f32 v[14:15], v[14:15], v[20:21] op_sel_hi:[1,0]
	v_mov_b32_e32 v19, v16
	v_bfe_u32 v11, v14, 16, 1
	v_bfe_u32 v20, v15, 16, 1
	v_pk_mul_f32 v[16:17], v[18:19], v[16:17]
	v_add3_u32 v18, v15, v20, s27
	v_add3_u32 v11, v14, v11, s27
	v_bfe_u32 v19, v16, 16, 1
	v_bfe_u32 v20, v17, 16, 1
	v_and_b32_e32 v11, 0xffff0000, v11
	v_and_b32_e32 v18, 0xffff0000, v18
	v_add3_u32 v20, v17, v20, s27
	v_add3_u32 v19, v16, v19, s27
	v_cmp_o_f32_e32 vcc, v14, v14
	v_cmp_o_f32_e64 s[0:1], v15, v15
	v_and_b32_e32 v19, 0xffff0000, v19
	v_and_b32_e32 v20, 0xffff0000, v20
	v_cndmask_b32_e64 v15, v9, v18, s[0:1]
	v_cndmask_b32_e32 v14, v9, v11, vcc
	v_cmp_o_f32_e32 vcc, v16, v16
	v_cmp_o_f32_e64 s[0:1], v17, v17
	v_cndmask_b32_e64 v17, v9, v20, s[0:1]
	v_cndmask_b32_e32 v16, v9, v19, vcc
	v_pk_add_f32 v[18:19], v[16:17], v[14:15] neg_lo:[0,1] neg_hi:[0,1]
	v_pk_add_f32 v[14:15], v[16:17], v[14:15]
	v_bfe_u32 v11, v18, 16, 1
	v_bfe_u32 v14, v15, 16, 1
	v_add3_u32 v14, v15, v14, s27
	v_add3_u32 v11, v18, v11, s27
	v_lshrrev_b32_e32 v11, 16, v11
	v_lshrrev_b32_e32 v14, 16, v14
	v_cmp_o_f32_e32 vcc, v15, v15
	v_cmp_o_f32_e64 s[0:1], v18, v18
	v_cndmask_b32_e64 v11, v10, v11, s[0:1]
	v_cndmask_b32_e32 v14, v10, v14, vcc
	v_perm_b32 v11, v14, v11, s42
	global_store_dword v[12:13], v11, off
	s_andn2_b64 exec, exec, s[12:13]
	s_cbranch_execnz .LBB71_3
.LBB71_4:
	s_or_b64 exec, exec, s[24:25]
	s_load_dwordx4 s[12:15], s[6:7], 0x68
	s_waitcnt lgkmcnt(0)
	s_ashr_i32 s37, s15, 31
	s_mov_b32 s36, s15
	s_or_b64 s[0:1], s[28:29], s[36:37]
	s_mov_b32 s0, 0
	s_cmp_lg_u64 s[0:1], 0
	s_cbranch_scc0 .LBB71_62
; %bb.5:
	s_add_u32 s0, s36, s37
	s_mov_b32 s24, s37
	s_mov_b32 s25, s37
	s_addc_u32 s1, s37, s37
	s_xor_b64 s[38:39], s[0:1], s[24:25]
	v_cvt_f32_u32_e32 v1, s38
	v_cvt_f32_u32_e32 v3, s39
	s_sub_u32 s0, 0, s38
	s_subb_u32 s1, 0, s39
	v_madmk_f32 v1, v3, 0x4f800000, v1
	v_rcp_f32_e32 v1, v1
	v_mul_f32_e32 v1, 0x5f7ffffc, v1
	v_mul_f32_e32 v3, 0x2f800000, v1
	v_trunc_f32_e32 v3, v3
	v_madmk_f32 v1, v3, 0xcf800000, v1
	v_cvt_u32_f32_e32 v3, v3
	v_cvt_u32_f32_e32 v1, v1
	v_readfirstlane_b32 s9, v3
	v_readfirstlane_b32 s11, v1
	s_mul_i32 s15, s0, s9
	s_mul_hi_u32 s40, s0, s11
	s_mul_i32 s33, s1, s11
	s_add_i32 s15, s40, s15
	s_add_i32 s15, s15, s33
	s_mul_i32 s41, s0, s11
	s_mul_hi_u32 s33, s11, s15
	s_mul_i32 s40, s11, s15
	s_mul_hi_u32 s11, s11, s41
	s_add_u32 s11, s11, s40
	s_addc_u32 s33, 0, s33
	s_mul_hi_u32 s42, s9, s41
	s_mul_i32 s41, s9, s41
	s_add_u32 s11, s11, s41
	s_mul_hi_u32 s40, s9, s15
	s_addc_u32 s11, s33, s42
	s_addc_u32 s33, s40, 0
	s_mul_i32 s15, s9, s15
	s_add_u32 s11, s11, s15
	s_addc_u32 s15, 0, s33
	v_add_co_u32_e32 v1, vcc, s11, v1
	s_cmp_lg_u64 vcc, 0
	s_addc_u32 s9, s9, s15
	v_readfirstlane_b32 s15, v1
	s_mul_i32 s11, s0, s9
	s_mul_hi_u32 s33, s0, s15
	s_add_i32 s11, s33, s11
	s_mul_i32 s1, s1, s15
	s_add_i32 s11, s11, s1
	s_mul_i32 s0, s0, s15
	s_mul_hi_u32 s33, s9, s0
	s_mul_i32 s40, s9, s0
	s_mul_i32 s42, s15, s11
	s_mul_hi_u32 s0, s15, s0
	s_mul_hi_u32 s41, s15, s11
	s_add_u32 s0, s0, s42
	s_addc_u32 s15, 0, s41
	s_add_u32 s0, s0, s40
	s_mul_hi_u32 s1, s9, s11
	s_addc_u32 s0, s15, s33
	s_addc_u32 s1, s1, 0
	s_mul_i32 s11, s9, s11
	s_add_u32 s0, s0, s11
	s_addc_u32 s1, 0, s1
	v_add_co_u32_e32 v1, vcc, s0, v1
	s_cmp_lg_u64 vcc, 0
	s_addc_u32 s9, s9, s1
	s_ashr_i32 s40, s29, 31
	s_add_u32 s0, s28, s40
	s_mov_b32 s41, s40
	s_addc_u32 s1, s29, s40
	s_xor_b64 s[42:43], s[0:1], s[40:41]
	v_readfirstlane_b32 s11, v1
	s_mul_i32 s1, s42, s9
	s_mul_hi_u32 s15, s42, s11
	s_mul_hi_u32 s0, s42, s9
	s_add_u32 s1, s15, s1
	s_addc_u32 s0, 0, s0
	s_mul_hi_u32 s33, s43, s11
	s_mul_i32 s11, s43, s11
	s_add_u32 s1, s1, s11
	s_mul_hi_u32 s15, s43, s9
	s_addc_u32 s0, s0, s33
	s_addc_u32 s1, s15, 0
	s_mul_i32 s9, s43, s9
	s_add_u32 s9, s0, s9
	s_addc_u32 s11, 0, s1
	s_mul_i32 s0, s38, s11
	s_mul_hi_u32 s1, s38, s9
	s_add_i32 s0, s1, s0
	s_mul_i32 s1, s39, s9
	s_add_i32 s15, s0, s1
	s_mul_i32 s1, s38, s9
	v_mov_b32_e32 v1, s1
	s_sub_i32 s0, s43, s15
	v_sub_co_u32_e32 v1, vcc, s42, v1
	s_cmp_lg_u64 vcc, 0
	s_subb_u32 s33, s0, s39
	v_subrev_co_u32_e64 v3, s[0:1], s38, v1
	s_cmp_lg_u64 s[0:1], 0
	s_subb_u32 s0, s33, 0
	s_cmp_ge_u32 s0, s39
	v_readfirstlane_b32 s33, v3
	s_cselect_b32 s1, -1, 0
	s_cmp_ge_u32 s33, s38
	s_cselect_b32 s33, -1, 0
	s_cmp_eq_u32 s0, s39
	s_cselect_b32 s0, s33, s1
	s_add_u32 s1, s9, 1
	s_addc_u32 s33, s11, 0
	s_add_u32 s42, s9, 2
	s_addc_u32 s44, s11, 0
	s_cmp_lg_u32 s0, 0
	s_cselect_b32 s0, s42, s1
	s_cselect_b32 s1, s44, s33
	s_cmp_lg_u64 vcc, 0
	s_subb_u32 s15, s43, s15
	s_cmp_ge_u32 s15, s39
	v_readfirstlane_b32 s42, v1
	s_cselect_b32 s33, -1, 0
	s_cmp_ge_u32 s42, s38
	s_cselect_b32 s38, -1, 0
	s_cmp_eq_u32 s15, s39
	s_cselect_b32 s15, s38, s33
	s_cmp_lg_u32 s15, 0
	s_cselect_b32 s1, s1, s11
	s_cselect_b32 s0, s0, s9
	s_xor_b64 s[24:25], s[40:41], s[24:25]
	s_xor_b64 s[0:1], s[0:1], s[24:25]
	s_sub_u32 s24, s0, s24
	s_subb_u32 s25, s1, s25
	s_cbranch_execnz .LBB71_7
.LBB71_6:
	v_cvt_f32_u32_e32 v1, s36
	s_sub_i32 s0, 0, s36
	s_mov_b32 s25, 0
	v_rcp_iflag_f32_e32 v1, v1
	v_mul_f32_e32 v1, 0x4f7ffffe, v1
	v_cvt_u32_f32_e32 v1, v1
	v_readfirstlane_b32 s1, v1
	s_mul_i32 s0, s0, s1
	s_mul_hi_u32 s0, s1, s0
	s_add_i32 s1, s1, s0
	s_mul_hi_u32 s0, s28, s1
	s_mul_i32 s9, s0, s36
	s_sub_i32 s9, s28, s9
	s_add_i32 s1, s0, 1
	s_sub_i32 s11, s9, s36
	s_cmp_ge_u32 s9, s36
	s_cselect_b32 s0, s1, s0
	s_cselect_b32 s9, s11, s9
	s_add_i32 s1, s0, 1
	s_cmp_ge_u32 s9, s36
	s_cselect_b32 s24, s1, s0
.LBB71_7:
	s_mul_i32 s0, s24, s37
	s_mul_hi_u32 s1, s24, s36
	s_load_dwordx2 s[26:27], s[6:7], 0x78
	s_add_i32 s0, s1, s0
	s_mul_i32 s1, s25, s36
	s_add_i32 s0, s0, s1
	s_mul_i32 s1, s24, s36
	s_sub_u32 s9, s28, s1
	s_subb_u32 s15, s29, s0
	v_cmp_gt_i32_e32 vcc, s10, v2
	s_mul_hi_u32 s42, s24, s12
	s_mul_i32 s43, s25, s12
	s_mul_i32 s44, s24, s12
	s_mul_hi_u32 s33, s9, s13
	s_mul_i32 s15, s15, s13
	s_mul_i32 s25, s9, s13
	s_and_saveexec_b64 s[28:29], vcc
	s_cbranch_execz .LBB71_42
; %bb.8:
	s_load_dwordx2 s[0:1], s[4:5], 0x4
	v_bfe_u32 v1, v0, 10, 10
	s_ashr_i32 s4, s12, 31
	s_ashr_i32 s11, s10, 31
	;; [unrolled: 1-line block ×3, first 2 shown]
	s_waitcnt lgkmcnt(0)
	s_lshr_b32 s0, s0, 16
	s_mul_i32 s0, s0, s1
	v_mul_lo_u32 v3, s0, v2
	v_mad_u32_u24 v1, v1, s1, v3
	s_mul_i32 s0, s24, s4
	s_load_dword s1, s[6:7], 0x8c
	s_add_i32 s0, s42, s0
	s_add_i32 s36, s0, s43
	s_ashr_i32 s0, s13, 31
	s_mul_i32 s0, s9, s0
	s_add_i32 s0, s33, s0
	s_add_i32 s37, s0, s15
	s_waitcnt lgkmcnt(0)
	s_and_b32 s46, s1, 0xffff
	s_lshl_b64 s[0:1], s[34:35], 1
	s_add_u32 s0, s30, s0
	v_bfe_u32 v0, v0, 20, 10
	s_addc_u32 s1, s31, s1
	v_add_lshl_u32 v3, v1, v0, 1
	v_mov_b32_e32 v1, s1
	v_add_co_u32_e32 v0, vcc, s0, v7
	s_mul_i32 s0, s17, s8
	s_mul_hi_u32 s1, s16, s8
	s_add_i32 s1, s1, s0
	s_mul_i32 s0, s16, s8
	s_lshl_b32 s48, s46, 1
	s_lshl_b64 s[4:5], s[10:11], 1
	s_lshl_b64 s[0:1], s[0:1], 1
	s_add_u32 s0, s20, s0
	v_addc_co_u32_e32 v1, vcc, 0, v1, vcc
	v_lshlrev_b32_e32 v4, 2, v2
	s_addc_u32 s1, s21, s1
	s_lshl_b32 s11, s46, 2
	v_add_co_u32_e32 v4, vcc, s0, v4
	s_add_u32 s0, s44, s25
	v_mov_b32_e32 v5, s1
	s_addc_u32 s1, s36, s37
	s_add_u32 s16, s2, s14
	v_addc_co_u32_e32 v5, vcc, 0, v5, vcc
	s_addc_u32 s17, s3, s38
	v_add_co_u32_e32 v4, vcc, 2, v4
	s_add_u32 s0, s16, s0
	s_load_dword s45, s[26:27], 0x0
	v_addc_co_u32_e32 v5, vcc, 0, v5, vcc
	s_addc_u32 s1, s17, s1
	v_mov_b32_e32 v6, s1
	v_add_co_u32_e32 v7, vcc, s0, v7
	v_addc_co_u32_e32 v8, vcc, 0, v6, vcc
	s_mov_b32 s47, 0
	v_add_co_u32_e32 v6, vcc, 1, v7
	v_add_u32_e32 v12, 0x800, v3
	s_mov_b32 s49, s47
	v_addc_co_u32_e32 v7, vcc, 0, v8, vcc
	s_mov_b64 s[16:17], 0
	v_mov_b32_e32 v13, s5
	s_movk_i32 s5, 0x7fff
	v_mov_b32_e32 v14, 0x7fc00000
	v_mov_b32_e32 v15, 0x7fc0
	s_mov_b32 s50, 0x5040100
	v_mov_b32_e32 v9, 0
	s_movk_i32 s51, 0x80
	s_mov_b64 s[20:21], 0x7f800000
	s_mov_b64 s[30:31], 0x43e00001
	s_movk_i32 s52, 0x7a
	s_mov_b64 s[34:35], 0xffffff
	s_movk_i32 s53, 0x7f
	v_mov_b32_e32 v16, 0xffffff82
	v_mov_b32_e32 v17, 0x78
	;; [unrolled: 1-line block ×3, first 2 shown]
	s_branch .LBB71_10
.LBB71_9:                               ;   in Loop: Header=BB71_10 Depth=1
	s_or_b64 exec, exec, s[0:1]
	v_mov_b32_e32 v8, s47
	v_add_co_u32_e32 v0, vcc, s48, v0
	v_addc_co_u32_e32 v1, vcc, v1, v8, vcc
	v_mov_b32_e32 v10, s49
	v_add_co_u32_e32 v4, vcc, s11, v4
	v_add_u32_e32 v18, s46, v18
	v_addc_co_u32_e32 v5, vcc, v5, v10, vcc
	v_cmp_le_i32_e32 vcc, s10, v18
	global_store_byte v[6:7], v11, off
	s_or_b64 s[16:17], vcc, s[16:17]
	v_add_co_u32_e32 v6, vcc, s48, v6
	v_addc_co_u32_e32 v7, vcc, v7, v8, vcc
	s_andn2_b64 exec, exec, s[16:17]
	s_cbranch_execz .LBB71_42
.LBB71_10:                              ; =>This Inner Loop Header: Depth=1
	v_add_co_u32_e32 v10, vcc, s4, v0
	global_load_dword v19, v[4:5], off offset:-2
	global_load_ushort v8, v[0:1], off
	v_addc_co_u32_e32 v11, vcc, v1, v13, vcc
	global_load_ushort v10, v[10:11], off
	v_mov_b32_e32 v23, v9
	s_waitcnt vmcnt(2)
	v_lshlrev_b32_e32 v20, 16, v19
	s_waitcnt vmcnt(1)
	v_lshlrev_b32_e32 v11, 16, v8
	v_mov_b32_e32 v24, v11
	v_mov_b32_e32 v25, v20
	s_waitcnt vmcnt(0)
	v_lshlrev_b32_e32 v21, 16, v10
	v_mov_b32_e32 v10, v21
	v_pk_mul_f32 v[20:21], v[24:25], v[20:21]
	v_and_b32_e32 v8, 0xffff0000, v19
	v_bfe_u32 v19, v21, 16, 1
	v_pk_mul_f32 v[10:11], v[10:11], v[8:9] op_sel_hi:[1,0]
	v_bfe_u32 v8, v20, 16, 1
	v_add3_u32 v19, v21, v19, s5
	v_bfe_u32 v24, v11, 16, 1
	v_add3_u32 v8, v20, v8, s5
	v_and_b32_e32 v19, 0xffff0000, v19
	v_cmp_o_f32_e32 vcc, v21, v21
	v_bfe_u32 v22, v10, 16, 1
	v_add3_u32 v24, v11, v24, s5
	v_and_b32_e32 v8, 0xffff0000, v8
	v_cndmask_b32_e32 v21, v14, v19, vcc
	v_cmp_o_f32_e32 vcc, v20, v20
	v_add3_u32 v22, v10, v22, s5
	v_and_b32_e32 v24, 0xffff0000, v24
	v_cndmask_b32_e32 v20, v14, v8, vcc
	v_cmp_o_f32_e32 vcc, v11, v11
	v_and_b32_e32 v22, 0xffff0000, v22
	v_cndmask_b32_e32 v11, v14, v24, vcc
	v_cmp_o_f32_e32 vcc, v10, v10
	v_cndmask_b32_e32 v10, v14, v22, vcc
	v_pk_add_f32 v[24:25], v[20:21], v[10:11] neg_lo:[0,1] neg_hi:[0,1]
	v_bfe_u32 v8, v24, 16, 1
	v_add3_u32 v8, v24, v8, s5
	v_lshrrev_b32_e32 v8, 16, v8
	v_cmp_o_f32_e32 vcc, v24, v24
	v_pk_add_f32 v[10:11], v[20:21], v[10:11]
	v_cndmask_b32_e32 v8, v15, v8, vcc
	v_bfe_u32 v10, v11, 16, 1
	ds_write_b16 v12, v8
	v_add3_u32 v10, v11, v10, s5
	v_cmp_o_f32_e32 vcc, v11, v11
	ds_read_b32 v11, v12
	v_lshrrev_b32_e32 v10, 16, v10
	v_cndmask_b32_e32 v10, v15, v10, vcc
	v_perm_b32 v8, v10, v8, s50
	global_store_dword v[4:5], v8, off offset:-2
	s_waitcnt lgkmcnt(0)
	v_div_scale_f32 v8, s[0:1], s45, s45, v11
	ds_write_b16 v3, v10
	v_rcp_f32_e32 v10, v8
	v_div_scale_f32 v20, vcc, v11, s45, v11
	ds_read_b32 v19, v3
	v_fma_f32 v21, -v8, v10, 1.0
	v_fmac_f32_e32 v10, v21, v10
	v_mul_f32_e32 v21, v20, v10
	v_fma_f32 v22, -v8, v21, v20
	v_fmac_f32_e32 v21, v22, v10
	v_fma_f32 v8, -v8, v21, v20
	v_div_fmas_f32 v8, v8, v10, v21
	v_div_fixup_f32 v10, v8, s45, v11
	v_and_b32_sdwa v20, v10, s51 dst_sel:DWORD dst_unused:UNUSED_PAD src0_sel:BYTE_3 src1_sel:DWORD
	v_and_b32_e32 v22, 0x7f800000, v10
	v_and_b32_e32 v8, 0x7fffff, v10
	v_or_b32_e32 v11, 0x7e, v20
	v_cmp_ne_u64_e32 vcc, s[20:21], v[22:23]
	s_and_saveexec_b64 s[0:1], vcc
	s_xor_b64 s[36:37], exec, s[0:1]
	s_cbranch_execz .LBB71_24
; %bb.11:                               ;   in Loop: Header=BB71_10 Depth=1
	v_and_b32_e32 v22, 0x7fffffff, v10
	v_mov_b32_e32 v23, v9
	v_cmp_gt_u64_e32 vcc, s[30:31], v[22:23]
	s_and_saveexec_b64 s[0:1], vcc
	s_xor_b64 s[38:39], exec, s[0:1]
	s_cbranch_execz .LBB71_23
; %bb.12:                               ;   in Loop: Header=BB71_10 Depth=1
	v_cmp_ne_u32_e32 vcc, 0, v10
	v_mov_b32_e32 v11, 0
	s_and_saveexec_b64 s[40:41], vcc
	s_cbranch_execz .LBB71_22
; %bb.13:                               ;   in Loop: Header=BB71_10 Depth=1
	v_bfe_u32 v10, v10, 23, 8
	v_sub_u32_e32 v21, 0x79, v10
	v_cmp_gt_u32_e32 vcc, s52, v10
	v_cndmask_b32_e32 v21, 0, v21, vcc
	v_cmp_eq_u32_e32 vcc, 0, v10
	v_cndmask_b32_e32 v21, v21, v17, vcc
	v_add_u32_e32 v11, 0xffffff81, v10
	v_or_b32_e32 v22, 0x800000, v8
	v_add_u32_e32 v10, 20, v21
	v_cndmask_b32_e32 v23, v11, v16, vcc
	v_cndmask_b32_e32 v8, v22, v8, vcc
	v_lshlrev_b64 v[10:11], v10, -1
	v_not_b32_e32 v10, v10
	v_lshrrev_b64 v[26:27], v21, v[8:9]
	v_not_b32_e32 v11, v11
	v_and_b32_e32 v10, v8, v10
	v_add_u32_e32 v22, 19, v21
	v_lshrrev_b32_e32 v8, 23, v26
	v_and_b32_e32 v11, 0, v11
	v_lshlrev_b64 v[24:25], v22, 1
	v_add3_u32 v22, v21, v23, v8
	v_bfe_u32 v8, v26, 20, 1
	v_add_u32_e32 v8, -1, v8
	v_cmp_eq_u64_e32 vcc, v[10:11], v[24:25]
	v_cndmask_b32_e32 v8, 0, v8, vcc
	v_add_u32_e32 v8, v8, v26
	v_and_b32_e32 v8, 0xfffff, v8
	v_add_co_u32_e32 v10, vcc, v8, v26
	v_add_u32_e32 v21, 6, v22
	v_addc_co_u32_e32 v11, vcc, 0, v27, vcc
	v_cmp_ne_u32_e32 vcc, 0, v21
                                        ; implicit-def: $vgpr8
	s_and_saveexec_b64 s[0:1], vcc
	s_xor_b64 s[0:1], exec, s[0:1]
; %bb.14:                               ;   in Loop: Header=BB71_10 Depth=1
	v_add_u32_e32 v8, 7, v22
	v_cmp_lt_u64_e32 vcc, s[34:35], v[10:11]
	v_cndmask_b32_e32 v8, v21, v8, vcc
	v_cndmask_b32_e64 v21, 0, 1, vcc
	v_lshrrev_b64 v[10:11], v21, v[10:11]
; %bb.15:                               ;   in Loop: Header=BB71_10 Depth=1
	s_andn2_saveexec_b64 s[0:1], s[0:1]
; %bb.16:                               ;   in Loop: Header=BB71_10 Depth=1
	v_bfe_u32 v8, v10, 23, 1
; %bb.17:                               ;   in Loop: Header=BB71_10 Depth=1
	s_or_b64 exec, exec, s[0:1]
	v_lshrrev_b64 v[10:11], 20, v[10:11]
	v_cmp_gt_i32_e32 vcc, 16, v8
	v_cndmask_b32_e32 v11, 0, v11, vcc
	v_cndmask_b32_e32 v10, 7, v10, vcc
	v_cmp_ne_u32_e32 vcc, 0, v8
	v_cmp_ne_u64_e64 s[0:1], 0, v[10:11]
	s_or_b64 s[0:1], vcc, s[0:1]
                                        ; implicit-def: $vgpr11
	s_and_saveexec_b64 s[54:55], s[0:1]
	s_xor_b64 s[0:1], exec, s[54:55]
; %bb.18:                               ;   in Loop: Header=BB71_10 Depth=1
	v_min_i32_e32 v8, 15, v8
	v_lshl_or_b32 v8, v8, 3, v20
	v_and_or_b32 v11, v10, 7, v8
                                        ; implicit-def: $vgpr20
; %bb.19:                               ;   in Loop: Header=BB71_10 Depth=1
	s_andn2_saveexec_b64 s[0:1], s[0:1]
; %bb.20:                               ;   in Loop: Header=BB71_10 Depth=1
	v_mov_b32_e32 v11, v20
; %bb.21:                               ;   in Loop: Header=BB71_10 Depth=1
	s_or_b64 exec, exec, s[0:1]
.LBB71_22:                              ;   in Loop: Header=BB71_10 Depth=1
	s_or_b64 exec, exec, s[40:41]
.LBB71_23:                              ;   in Loop: Header=BB71_10 Depth=1
	s_andn2_saveexec_b64 s[0:1], s[38:39]
	s_or_b64 exec, exec, s[0:1]
                                        ; implicit-def: $vgpr10
.LBB71_24:                              ;   in Loop: Header=BB71_10 Depth=1
	s_andn2_saveexec_b64 s[0:1], s[36:37]
; %bb.25:                               ;   in Loop: Header=BB71_10 Depth=1
	v_or_b32_sdwa v10, v10, s53 dst_sel:DWORD dst_unused:UNUSED_PAD src0_sel:BYTE_3 src1_sel:DWORD
	v_cmp_eq_u64_e32 vcc, 0, v[8:9]
	v_cndmask_b32_e32 v11, v10, v11, vcc
; %bb.26:                               ;   in Loop: Header=BB71_10 Depth=1
	s_or_b64 exec, exec, s[0:1]
	s_waitcnt lgkmcnt(0)
	v_div_scale_f32 v8, s[0:1], s45, s45, v19
	v_rcp_f32_e32 v10, v8
	global_store_byte v[6:7], v11, off offset:-1
	v_fma_f32 v11, -v8, v10, 1.0
	v_fmac_f32_e32 v10, v11, v10
	v_div_scale_f32 v11, vcc, v19, s45, v19
	v_mul_f32_e32 v20, v11, v10
	v_fma_f32 v21, -v8, v20, v11
	v_fmac_f32_e32 v20, v21, v10
	v_fma_f32 v8, -v8, v20, v11
	v_div_fmas_f32 v8, v8, v10, v20
	v_div_fixup_f32 v10, v8, s45, v19
	v_and_b32_sdwa v19, v10, s51 dst_sel:DWORD dst_unused:UNUSED_PAD src0_sel:BYTE_3 src1_sel:DWORD
	v_and_b32_e32 v20, 0x7f800000, v10
	v_mov_b32_e32 v21, v9
	v_and_b32_e32 v8, 0x7fffff, v10
	v_or_b32_e32 v11, 0x7e, v19
	v_cmp_ne_u64_e32 vcc, s[20:21], v[20:21]
	s_and_saveexec_b64 s[0:1], vcc
	s_xor_b64 s[36:37], exec, s[0:1]
	s_cbranch_execz .LBB71_40
; %bb.27:                               ;   in Loop: Header=BB71_10 Depth=1
	v_and_b32_e32 v20, 0x7fffffff, v10
	v_mov_b32_e32 v21, v9
	v_cmp_gt_u64_e32 vcc, s[30:31], v[20:21]
	s_and_saveexec_b64 s[0:1], vcc
	s_xor_b64 s[38:39], exec, s[0:1]
	s_cbranch_execz .LBB71_39
; %bb.28:                               ;   in Loop: Header=BB71_10 Depth=1
	v_cmp_ne_u32_e32 vcc, 0, v10
	v_mov_b32_e32 v11, 0
	s_and_saveexec_b64 s[40:41], vcc
	s_cbranch_execz .LBB71_38
; %bb.29:                               ;   in Loop: Header=BB71_10 Depth=1
	v_bfe_u32 v10, v10, 23, 8
	v_sub_u32_e32 v20, 0x79, v10
	v_cmp_gt_u32_e32 vcc, s52, v10
	v_cndmask_b32_e32 v20, 0, v20, vcc
	v_cmp_eq_u32_e32 vcc, 0, v10
	v_cndmask_b32_e32 v20, v20, v17, vcc
	v_add_u32_e32 v11, 0xffffff81, v10
	v_or_b32_e32 v21, 0x800000, v8
	v_add_u32_e32 v10, 20, v20
	v_cndmask_b32_e32 v26, v11, v16, vcc
	v_cndmask_b32_e32 v8, v21, v8, vcc
	v_lshlrev_b64 v[10:11], v10, -1
	v_not_b32_e32 v10, v10
	v_lshrrev_b64 v[24:25], v20, v[8:9]
	v_not_b32_e32 v11, v11
	v_and_b32_e32 v10, v8, v10
	v_add_u32_e32 v21, 19, v20
	v_lshrrev_b32_e32 v8, 23, v24
	v_and_b32_e32 v11, 0, v11
	v_lshlrev_b64 v[22:23], v21, 1
	v_add3_u32 v21, v20, v26, v8
	v_bfe_u32 v8, v24, 20, 1
	v_add_u32_e32 v8, -1, v8
	v_cmp_eq_u64_e32 vcc, v[10:11], v[22:23]
	v_cndmask_b32_e32 v8, 0, v8, vcc
	v_add_u32_e32 v8, v8, v24
	v_and_b32_e32 v8, 0xfffff, v8
	v_add_co_u32_e32 v10, vcc, v8, v24
	v_add_u32_e32 v20, 6, v21
	v_addc_co_u32_e32 v11, vcc, 0, v25, vcc
	v_cmp_ne_u32_e32 vcc, 0, v20
                                        ; implicit-def: $vgpr8
	s_and_saveexec_b64 s[0:1], vcc
	s_xor_b64 s[0:1], exec, s[0:1]
; %bb.30:                               ;   in Loop: Header=BB71_10 Depth=1
	v_add_u32_e32 v8, 7, v21
	v_cmp_lt_u64_e32 vcc, s[34:35], v[10:11]
	v_cndmask_b32_e32 v8, v20, v8, vcc
	v_cndmask_b32_e64 v20, 0, 1, vcc
	v_lshrrev_b64 v[10:11], v20, v[10:11]
; %bb.31:                               ;   in Loop: Header=BB71_10 Depth=1
	s_andn2_saveexec_b64 s[0:1], s[0:1]
; %bb.32:                               ;   in Loop: Header=BB71_10 Depth=1
	v_bfe_u32 v8, v10, 23, 1
; %bb.33:                               ;   in Loop: Header=BB71_10 Depth=1
	s_or_b64 exec, exec, s[0:1]
	v_lshrrev_b64 v[10:11], 20, v[10:11]
	v_cmp_gt_i32_e32 vcc, 16, v8
	v_cndmask_b32_e32 v11, 0, v11, vcc
	v_cndmask_b32_e32 v10, 7, v10, vcc
	v_cmp_ne_u32_e32 vcc, 0, v8
	v_cmp_ne_u64_e64 s[0:1], 0, v[10:11]
	s_or_b64 s[0:1], vcc, s[0:1]
                                        ; implicit-def: $vgpr11
	s_and_saveexec_b64 s[54:55], s[0:1]
	s_xor_b64 s[0:1], exec, s[54:55]
; %bb.34:                               ;   in Loop: Header=BB71_10 Depth=1
	v_min_i32_e32 v8, 15, v8
	v_lshl_or_b32 v8, v8, 3, v19
	v_and_or_b32 v11, v10, 7, v8
                                        ; implicit-def: $vgpr19
; %bb.35:                               ;   in Loop: Header=BB71_10 Depth=1
	s_andn2_saveexec_b64 s[0:1], s[0:1]
; %bb.36:                               ;   in Loop: Header=BB71_10 Depth=1
	v_mov_b32_e32 v11, v19
; %bb.37:                               ;   in Loop: Header=BB71_10 Depth=1
	s_or_b64 exec, exec, s[0:1]
.LBB71_38:                              ;   in Loop: Header=BB71_10 Depth=1
	s_or_b64 exec, exec, s[40:41]
.LBB71_39:                              ;   in Loop: Header=BB71_10 Depth=1
	s_andn2_saveexec_b64 s[0:1], s[38:39]
	s_or_b64 exec, exec, s[0:1]
                                        ; implicit-def: $vgpr10
.LBB71_40:                              ;   in Loop: Header=BB71_10 Depth=1
	s_andn2_saveexec_b64 s[0:1], s[36:37]
	s_cbranch_execz .LBB71_9
; %bb.41:                               ;   in Loop: Header=BB71_10 Depth=1
	v_or_b32_sdwa v10, v10, s53 dst_sel:DWORD dst_unused:UNUSED_PAD src0_sel:BYTE_3 src1_sel:DWORD
	v_cmp_eq_u64_e32 vcc, 0, v[8:9]
	v_cndmask_b32_e32 v11, v10, v11, vcc
	s_branch .LBB71_9
.LBB71_42:
	s_or_b64 exec, exec, s[28:29]
	v_cmp_gt_i32_e32 vcc, s14, v2
	s_and_saveexec_b64 s[0:1], vcc
	s_cbranch_execz .LBB71_61
; %bb.43:
	s_mul_i32 s0, s8, s19
	s_mul_hi_u32 s1, s8, s18
	s_add_i32 s1, s1, s0
	s_mul_i32 s0, s8, s18
	s_lshl_b64 s[0:1], s[0:1], 1
	s_add_u32 s18, s22, s0
	s_addc_u32 s0, s23, s1
	s_ashr_i32 s1, s12, 31
	s_mul_i32 s1, s24, s1
	s_add_i32 s1, s42, s1
	s_add_i32 s1, s1, s43
	s_add_u32 s2, s2, s44
	s_addc_u32 s1, s3, s1
	s_ashr_i32 s3, s13, 31
	s_load_dword s4, s[6:7], 0x8c
	s_mul_i32 s9, s9, s3
	s_waitcnt lgkmcnt(0)
	s_load_dword s20, s[26:27], 0x0
	s_add_i32 s3, s33, s9
	s_add_i32 s3, s3, s15
	s_add_u32 s15, s2, s25
	s_addc_u32 s19, s1, s3
	s_and_b32 s21, s4, 0xffff
	s_mov_b64 s[2:3], 0
	v_mov_b32_e32 v6, s0
	v_mov_b32_e32 v1, 0
	s_movk_i32 s22, 0x80
	s_mov_b64 s[4:5], 0x7f800000
	s_mov_b64 s[6:7], 0x43e00001
	s_movk_i32 s23, 0x7a
	s_mov_b64 s[8:9], 0xffffff
	s_movk_i32 s24, 0x7f
	v_mov_b32_e32 v7, 0xffffff82
	v_mov_b32_e32 v8, 0x78
	s_branch .LBB71_45
.LBB71_44:                              ;   in Loop: Header=BB71_45 Depth=1
	s_or_b64 exec, exec, s[0:1]
	v_mov_b32_e32 v0, s19
	v_add_co_u32_e32 v10, vcc, s15, v2
	v_addc_co_u32_e32 v11, vcc, v0, v3, vcc
	v_add_u32_e32 v2, s21, v2
	v_cmp_le_i32_e32 vcc, s14, v2
	s_or_b64 s[2:3], vcc, s[2:3]
	global_store_byte v[10:11], v5, off
	s_andn2_b64 exec, exec, s[2:3]
	s_cbranch_execz .LBB71_61
.LBB71_45:                              ; =>This Inner Loop Header: Depth=1
	v_ashrrev_i32_e32 v3, 31, v2
	v_lshlrev_b64 v[4:5], 1, v[2:3]
	v_add_co_u32_e32 v4, vcc, s18, v4
	v_addc_co_u32_e32 v5, vcc, v6, v5, vcc
	global_load_dword v0, v[4:5], off
	v_mov_b32_e32 v11, v1
	s_waitcnt vmcnt(0) lgkmcnt(0)
	v_div_scale_f32 v4, s[0:1], s20, s20, v0
	v_rcp_f32_e32 v5, v4
	v_div_scale_f32 v9, vcc, v0, s20, v0
	v_fma_f32 v10, -v4, v5, 1.0
	v_fmac_f32_e32 v5, v10, v5
	v_mul_f32_e32 v10, v9, v5
	v_fma_f32 v12, -v4, v10, v9
	v_fmac_f32_e32 v10, v12, v5
	v_fma_f32 v4, -v4, v10, v9
	v_div_fmas_f32 v4, v4, v5, v10
	v_div_fixup_f32 v4, v4, s20, v0
	v_and_b32_sdwa v9, v4, s22 dst_sel:DWORD dst_unused:UNUSED_PAD src0_sel:BYTE_3 src1_sel:DWORD
	v_and_b32_e32 v10, 0x7f800000, v4
	v_and_b32_e32 v0, 0x7fffff, v4
	v_or_b32_e32 v5, 0x7e, v9
	v_cmp_ne_u64_e32 vcc, s[4:5], v[10:11]
	s_and_saveexec_b64 s[0:1], vcc
	s_xor_b64 s[10:11], exec, s[0:1]
	s_cbranch_execz .LBB71_59
; %bb.46:                               ;   in Loop: Header=BB71_45 Depth=1
	v_and_b32_e32 v10, 0x7fffffff, v4
	v_mov_b32_e32 v11, v1
	v_cmp_gt_u64_e32 vcc, s[6:7], v[10:11]
	s_and_saveexec_b64 s[0:1], vcc
	s_xor_b64 s[12:13], exec, s[0:1]
	s_cbranch_execz .LBB71_58
; %bb.47:                               ;   in Loop: Header=BB71_45 Depth=1
	v_cmp_ne_u32_e32 vcc, 0, v4
	v_mov_b32_e32 v5, 0
	s_and_saveexec_b64 s[16:17], vcc
	s_cbranch_execz .LBB71_57
; %bb.48:                               ;   in Loop: Header=BB71_45 Depth=1
	v_bfe_u32 v4, v4, 23, 8
	v_sub_u32_e32 v10, 0x79, v4
	v_cmp_gt_u32_e32 vcc, s23, v4
	v_cndmask_b32_e32 v10, 0, v10, vcc
	v_cmp_eq_u32_e32 vcc, 0, v4
	v_cndmask_b32_e32 v10, v10, v8, vcc
	v_add_u32_e32 v5, 0xffffff81, v4
	v_or_b32_e32 v11, 0x800000, v0
	v_add_u32_e32 v4, 20, v10
	v_cndmask_b32_e32 v16, v5, v7, vcc
	v_cndmask_b32_e32 v0, v11, v0, vcc
	v_lshlrev_b64 v[4:5], v4, -1
	v_not_b32_e32 v4, v4
	v_lshrrev_b64 v[14:15], v10, v[0:1]
	v_not_b32_e32 v5, v5
	v_and_b32_e32 v4, v0, v4
	v_add_u32_e32 v11, 19, v10
	v_lshrrev_b32_e32 v0, 23, v14
	v_and_b32_e32 v5, 0, v5
	v_lshlrev_b64 v[12:13], v11, 1
	v_add3_u32 v11, v10, v16, v0
	v_bfe_u32 v0, v14, 20, 1
	v_add_u32_e32 v0, -1, v0
	v_cmp_eq_u64_e32 vcc, v[4:5], v[12:13]
	v_cndmask_b32_e32 v0, 0, v0, vcc
	v_add_u32_e32 v0, v0, v14
	v_and_b32_e32 v0, 0xfffff, v0
	v_add_co_u32_e32 v4, vcc, v0, v14
	v_add_u32_e32 v10, 6, v11
	v_addc_co_u32_e32 v5, vcc, 0, v15, vcc
	v_cmp_ne_u32_e32 vcc, 0, v10
                                        ; implicit-def: $vgpr0
	s_and_saveexec_b64 s[0:1], vcc
	s_xor_b64 s[0:1], exec, s[0:1]
; %bb.49:                               ;   in Loop: Header=BB71_45 Depth=1
	v_add_u32_e32 v0, 7, v11
	v_cmp_lt_u64_e32 vcc, s[8:9], v[4:5]
	v_cndmask_b32_e32 v0, v10, v0, vcc
	v_cndmask_b32_e64 v10, 0, 1, vcc
	v_lshrrev_b64 v[4:5], v10, v[4:5]
; %bb.50:                               ;   in Loop: Header=BB71_45 Depth=1
	s_andn2_saveexec_b64 s[0:1], s[0:1]
; %bb.51:                               ;   in Loop: Header=BB71_45 Depth=1
	v_bfe_u32 v0, v4, 23, 1
; %bb.52:                               ;   in Loop: Header=BB71_45 Depth=1
	s_or_b64 exec, exec, s[0:1]
	v_lshrrev_b64 v[4:5], 20, v[4:5]
	v_cmp_gt_i32_e32 vcc, 16, v0
	v_cndmask_b32_e32 v5, 0, v5, vcc
	v_cndmask_b32_e32 v4, 7, v4, vcc
	v_cmp_ne_u32_e32 vcc, 0, v0
	v_cmp_ne_u64_e64 s[0:1], 0, v[4:5]
	s_or_b64 s[0:1], vcc, s[0:1]
                                        ; implicit-def: $vgpr5
	s_and_saveexec_b64 s[26:27], s[0:1]
	s_xor_b64 s[0:1], exec, s[26:27]
; %bb.53:                               ;   in Loop: Header=BB71_45 Depth=1
	v_min_i32_e32 v0, 15, v0
	v_lshl_or_b32 v0, v0, 3, v9
	v_and_or_b32 v5, v4, 7, v0
                                        ; implicit-def: $vgpr9
; %bb.54:                               ;   in Loop: Header=BB71_45 Depth=1
	s_andn2_saveexec_b64 s[0:1], s[0:1]
; %bb.55:                               ;   in Loop: Header=BB71_45 Depth=1
	v_mov_b32_e32 v5, v9
; %bb.56:                               ;   in Loop: Header=BB71_45 Depth=1
	s_or_b64 exec, exec, s[0:1]
.LBB71_57:                              ;   in Loop: Header=BB71_45 Depth=1
	s_or_b64 exec, exec, s[16:17]
.LBB71_58:                              ;   in Loop: Header=BB71_45 Depth=1
	s_andn2_saveexec_b64 s[0:1], s[12:13]
	s_or_b64 exec, exec, s[0:1]
                                        ; implicit-def: $vgpr4
.LBB71_59:                              ;   in Loop: Header=BB71_45 Depth=1
	s_andn2_saveexec_b64 s[0:1], s[10:11]
	s_cbranch_execz .LBB71_44
; %bb.60:                               ;   in Loop: Header=BB71_45 Depth=1
	v_or_b32_sdwa v4, v4, s24 dst_sel:DWORD dst_unused:UNUSED_PAD src0_sel:BYTE_3 src1_sel:DWORD
	v_cmp_eq_u64_e32 vcc, 0, v[0:1]
	v_cndmask_b32_e32 v5, v4, v5, vcc
	s_branch .LBB71_44
.LBB71_61:
	s_endpgm
.LBB71_62:
                                        ; implicit-def: $sgpr24_sgpr25
	s_branch .LBB71_6
	.section	.rodata,"a",@progbits
	.p2align	6, 0x0
	.amdhsa_kernel _ZN4vllm38concat_and_cache_mla_rope_fused_kernelIN3c108BFloat16ES2_Lb0EfhLNS_18Fp8KVCacheDataTypeE1EEEvPKlPT_S7_PKS6_PKT0_illlliPT3_S5_iiiiPKf
		.amdhsa_group_segment_fixed_size 4096
		.amdhsa_private_segment_fixed_size 0
		.amdhsa_kernarg_size 384
		.amdhsa_user_sgpr_count 8
		.amdhsa_user_sgpr_private_segment_buffer 1
		.amdhsa_user_sgpr_dispatch_ptr 1
		.amdhsa_user_sgpr_queue_ptr 0
		.amdhsa_user_sgpr_kernarg_segment_ptr 1
		.amdhsa_user_sgpr_dispatch_id 0
		.amdhsa_user_sgpr_flat_scratch_init 0
		.amdhsa_user_sgpr_kernarg_preload_length 0
		.amdhsa_user_sgpr_kernarg_preload_offset 0
		.amdhsa_user_sgpr_private_segment_size 0
		.amdhsa_uses_dynamic_stack 0
		.amdhsa_system_sgpr_private_segment_wavefront_offset 0
		.amdhsa_system_sgpr_workgroup_id_x 1
		.amdhsa_system_sgpr_workgroup_id_y 0
		.amdhsa_system_sgpr_workgroup_id_z 0
		.amdhsa_system_sgpr_workgroup_info 0
		.amdhsa_system_vgpr_workitem_id 2
		.amdhsa_next_free_vgpr 28
		.amdhsa_next_free_sgpr 56
		.amdhsa_accum_offset 28
		.amdhsa_reserve_vcc 1
		.amdhsa_reserve_flat_scratch 0
		.amdhsa_float_round_mode_32 0
		.amdhsa_float_round_mode_16_64 0
		.amdhsa_float_denorm_mode_32 3
		.amdhsa_float_denorm_mode_16_64 3
		.amdhsa_dx10_clamp 1
		.amdhsa_ieee_mode 1
		.amdhsa_fp16_overflow 0
		.amdhsa_tg_split 0
		.amdhsa_exception_fp_ieee_invalid_op 0
		.amdhsa_exception_fp_denorm_src 0
		.amdhsa_exception_fp_ieee_div_zero 0
		.amdhsa_exception_fp_ieee_overflow 0
		.amdhsa_exception_fp_ieee_underflow 0
		.amdhsa_exception_fp_ieee_inexact 0
		.amdhsa_exception_int_div_zero 0
	.end_amdhsa_kernel
	.section	.text._ZN4vllm38concat_and_cache_mla_rope_fused_kernelIN3c108BFloat16ES2_Lb0EfhLNS_18Fp8KVCacheDataTypeE1EEEvPKlPT_S7_PKS6_PKT0_illlliPT3_S5_iiiiPKf,"axG",@progbits,_ZN4vllm38concat_and_cache_mla_rope_fused_kernelIN3c108BFloat16ES2_Lb0EfhLNS_18Fp8KVCacheDataTypeE1EEEvPKlPT_S7_PKS6_PKT0_illlliPT3_S5_iiiiPKf,comdat
.Lfunc_end71:
	.size	_ZN4vllm38concat_and_cache_mla_rope_fused_kernelIN3c108BFloat16ES2_Lb0EfhLNS_18Fp8KVCacheDataTypeE1EEEvPKlPT_S7_PKS6_PKT0_illlliPT3_S5_iiiiPKf, .Lfunc_end71-_ZN4vllm38concat_and_cache_mla_rope_fused_kernelIN3c108BFloat16ES2_Lb0EfhLNS_18Fp8KVCacheDataTypeE1EEEvPKlPT_S7_PKS6_PKT0_illlliPT3_S5_iiiiPKf
                                        ; -- End function
	.section	.AMDGPU.csdata,"",@progbits
; Kernel info:
; codeLenInByte = 4256
; NumSgprs: 60
; NumVgprs: 28
; NumAgprs: 0
; TotalNumVgprs: 28
; ScratchSize: 0
; MemoryBound: 0
; FloatMode: 240
; IeeeMode: 1
; LDSByteSize: 4096 bytes/workgroup (compile time only)
; SGPRBlocks: 7
; VGPRBlocks: 3
; NumSGPRsForWavesPerEU: 60
; NumVGPRsForWavesPerEU: 28
; AccumOffset: 28
; Occupancy: 8
; WaveLimiterHint : 1
; COMPUTE_PGM_RSRC2:SCRATCH_EN: 0
; COMPUTE_PGM_RSRC2:USER_SGPR: 8
; COMPUTE_PGM_RSRC2:TRAP_HANDLER: 0
; COMPUTE_PGM_RSRC2:TGID_X_EN: 1
; COMPUTE_PGM_RSRC2:TGID_Y_EN: 0
; COMPUTE_PGM_RSRC2:TGID_Z_EN: 0
; COMPUTE_PGM_RSRC2:TIDIG_COMP_CNT: 2
; COMPUTE_PGM_RSRC3_GFX90A:ACCUM_OFFSET: 6
; COMPUTE_PGM_RSRC3_GFX90A:TG_SPLIT: 0
	.section	.text._ZN4vllm38concat_and_cache_mla_rope_fused_kernelIffLb1EthLNS_18Fp8KVCacheDataTypeE1EEEvPKlPT_S5_PKS4_PKT0_illlliPT3_S3_iiiiPKf,"axG",@progbits,_ZN4vllm38concat_and_cache_mla_rope_fused_kernelIffLb1EthLNS_18Fp8KVCacheDataTypeE1EEEvPKlPT_S5_PKS4_PKT0_illlliPT3_S3_iiiiPKf,comdat
	.protected	_ZN4vllm38concat_and_cache_mla_rope_fused_kernelIffLb1EthLNS_18Fp8KVCacheDataTypeE1EEEvPKlPT_S5_PKS4_PKT0_illlliPT3_S3_iiiiPKf ; -- Begin function _ZN4vllm38concat_and_cache_mla_rope_fused_kernelIffLb1EthLNS_18Fp8KVCacheDataTypeE1EEEvPKlPT_S5_PKS4_PKT0_illlliPT3_S3_iiiiPKf
	.globl	_ZN4vllm38concat_and_cache_mla_rope_fused_kernelIffLb1EthLNS_18Fp8KVCacheDataTypeE1EEEvPKlPT_S5_PKS4_PKT0_illlliPT3_S3_iiiiPKf
	.p2align	8
	.type	_ZN4vllm38concat_and_cache_mla_rope_fused_kernelIffLb1EthLNS_18Fp8KVCacheDataTypeE1EEEvPKlPT_S5_PKS4_PKT0_illlliPT3_S3_iiiiPKf,@function
_ZN4vllm38concat_and_cache_mla_rope_fused_kernelIffLb1EthLNS_18Fp8KVCacheDataTypeE1EEEvPKlPT_S5_PKS4_PKT0_illlliPT3_S3_iiiiPKf: ; @_ZN4vllm38concat_and_cache_mla_rope_fused_kernelIffLb1EthLNS_18Fp8KVCacheDataTypeE1EEEvPKlPT_S5_PKS4_PKT0_illlliPT3_S3_iiiiPKf
; %bb.0:
	s_load_dwordx2 s[2:3], s[4:5], 0x60
	s_mov_b32 s7, 0
	s_lshl_b64 s[0:1], s[6:7], 3
	s_waitcnt lgkmcnt(0)
	s_add_u32 s2, s2, s0
	s_addc_u32 s3, s3, s1
	s_load_dwordx2 s[26:27], s[2:3], 0x0
	s_waitcnt lgkmcnt(0)
	v_cmp_lt_i64_e64 s[2:3], s[26:27], 0
	s_and_b64 vcc, exec, s[2:3]
	s_cbranch_vccnz .LBB72_61
; %bb.1:
	s_load_dword s22, s[4:5], 0x28
	s_load_dwordx2 s[2:3], s[4:5], 0x0
	s_load_dwordx4 s[16:19], s[4:5], 0x10
	s_waitcnt lgkmcnt(0)
	s_ashr_i32 s7, s22, 31
	s_add_u32 s0, s2, s0
	s_addc_u32 s1, s3, s1
	s_load_dwordx2 s[20:21], s[0:1], 0x0
	s_load_dwordx2 s[28:29], s[4:5], 0x20
	s_load_dwordx8 s[8:15], s[4:5], 0x30
	s_load_dwordx2 s[2:3], s[4:5], 0x58
	s_load_dword s23, s[4:5], 0x50
	s_waitcnt lgkmcnt(0)
	s_mul_i32 s0, s20, s7
	s_mul_hi_u32 s1, s20, s22
	s_mul_i32 s7, s21, s22
	s_add_i32 s0, s1, s0
	s_add_i32 s1, s0, s7
	s_mul_i32 s0, s20, s22
	s_lshl_b64 s[30:31], s[0:1], 2
	s_add_u32 s7, s28, s30
	s_addc_u32 s33, s29, s31
	s_lshr_b32 s0, s22, 31
	s_add_i32 s22, s22, s0
	s_ashr_i32 s20, s22, 1
	s_mul_i32 s24, s20, s23
	v_cmp_gt_i32_e32 vcc, s24, v0
	s_and_saveexec_b64 s[0:1], vcc
	s_cbranch_execz .LBB72_4
; %bb.2:
	s_load_dwordx2 s[22:23], s[4:5], 0x8
	s_load_dword s35, s[4:5], 0x8c
	s_mul_i32 s9, s6, s9
	s_mul_hi_u32 s25, s6, s8
	s_add_i32 s9, s25, s9
	s_mul_i32 s8, s6, s8
	s_ashr_i32 s21, s20, 31
	s_lshl_b64 s[8:9], s[8:9], 2
	s_waitcnt lgkmcnt(0)
	s_add_u32 s25, s22, s8
	s_addc_u32 s37, s23, s9
	s_abs_i32 s34, s20
	v_cvt_f32_u32_e32 v1, s34
	s_sub_i32 s22, 0, s34
	s_mov_b64 s[8:9], 0
	s_and_b32 s35, s35, 0xffff
	v_rcp_iflag_f32_e32 v2, v1
	v_mov_b32_e32 v1, s33
	s_sub_i32 s36, 0, s20
	v_mov_b32_e32 v5, s37
	v_mul_f32_e32 v2, 0x4f7ffffe, v2
	v_cvt_u32_f32_e32 v2, v2
	v_mul_lo_u32 v3, s22, v2
	v_mul_hi_u32 v3, v2, v3
	s_lshl_b64 s[22:23], s[20:21], 2
	v_add_u32_e32 v3, v2, v3
	v_mov_b32_e32 v4, s23
	v_mov_b32_e32 v2, v0
.LBB72_3:                               ; =>This Inner Loop Header: Depth=1
	v_sub_u32_e32 v7, 0, v2
	v_max_i32_e32 v7, v2, v7
	v_mul_hi_u32 v8, v7, v3
	v_mul_lo_u32 v9, v8, s34
	v_sub_u32_e32 v7, v7, v9
	v_add_u32_e32 v10, 1, v8
	v_cmp_le_u32_e32 vcc, s34, v7
	v_subrev_u32_e32 v9, s34, v7
	v_cndmask_b32_e32 v8, v8, v10, vcc
	v_cndmask_b32_e32 v7, v7, v9, vcc
	v_ashrrev_i32_e32 v6, 31, v2
	v_add_u32_e32 v9, 1, v8
	v_cmp_le_u32_e32 vcc, s34, v7
	v_xor_b32_e32 v6, s21, v6
	v_cndmask_b32_e32 v7, v8, v9, vcc
	v_xor_b32_e32 v7, v7, v6
	v_sub_u32_e32 v8, v7, v6
	v_mad_u64_u32 v[6:7], s[38:39], s36, v8, v[2:3]
	v_ashrrev_i32_e32 v10, 31, v8
	v_ashrrev_i32_e32 v7, 31, v6
	v_mul_lo_u32 v11, v8, s11
	v_mad_u64_u32 v[8:9], s[38:39], v8, s10, 0
	v_mul_lo_u32 v10, v10, s10
	v_lshlrev_b64 v[6:7], 2, v[6:7]
	v_add3_u32 v9, v9, v11, v10
	v_add_co_u32_e32 v10, vcc, s7, v6
	v_addc_co_u32_e32 v11, vcc, v1, v7, vcc
	v_add_co_u32_e32 v12, vcc, s22, v10
	v_lshlrev_b64 v[8:9], 2, v[8:9]
	v_addc_co_u32_e32 v13, vcc, v11, v4, vcc
	v_add_co_u32_e32 v8, vcc, s25, v8
	v_addc_co_u32_e32 v9, vcc, v5, v9, vcc
	v_add_co_u32_e32 v6, vcc, v8, v6
	;; [unrolled: 2-line block ×3, first 2 shown]
	global_load_dword v14, v[10:11], off
	global_load_dword v15, v[12:13], off
	v_addc_co_u32_e32 v9, vcc, v7, v4, vcc
	global_load_dword v10, v[6:7], off
	global_load_dword v11, v[8:9], off
	v_add_u32_e32 v2, s35, v2
	v_cmp_le_i32_e32 vcc, s24, v2
	s_or_b64 s[8:9], vcc, s[8:9]
	s_waitcnt vmcnt(0)
	v_mul_f32_e32 v12, v15, v11
	v_mul_f32_e32 v11, v14, v11
	v_fma_f32 v12, v14, v10, -v12
	v_fmac_f32_e32 v11, v15, v10
	global_store_dword v[6:7], v12, off
	global_store_dword v[8:9], v11, off
	s_andn2_b64 exec, exec, s[8:9]
	s_cbranch_execnz .LBB72_3
.LBB72_4:
	s_or_b64 exec, exec, s[0:1]
	s_load_dwordx4 s[8:11], s[4:5], 0x68
	s_waitcnt lgkmcnt(0)
	s_ashr_i32 s35, s11, 31
	s_mov_b32 s34, s11
	s_or_b64 s[0:1], s[26:27], s[34:35]
	s_mov_b32 s0, 0
	s_cmp_lg_u64 s[0:1], 0
	s_cbranch_scc0 .LBB72_62
; %bb.5:
	s_add_u32 s0, s34, s35
	s_mov_b32 s22, s35
	s_mov_b32 s23, s35
	s_addc_u32 s1, s35, s35
	s_xor_b64 s[36:37], s[0:1], s[22:23]
	v_cvt_f32_u32_e32 v1, s36
	v_cvt_f32_u32_e32 v2, s37
	s_sub_u32 s0, 0, s36
	s_subb_u32 s1, 0, s37
	v_madmk_f32 v1, v2, 0x4f800000, v1
	v_rcp_f32_e32 v1, v1
	v_mul_f32_e32 v1, 0x5f7ffffc, v1
	v_mul_f32_e32 v2, 0x2f800000, v1
	v_trunc_f32_e32 v2, v2
	v_madmk_f32 v1, v2, 0xcf800000, v1
	v_cvt_u32_f32_e32 v2, v2
	v_cvt_u32_f32_e32 v1, v1
	v_readfirstlane_b32 s11, v2
	v_readfirstlane_b32 s21, v1
	s_mul_i32 s38, s0, s11
	s_mul_hi_u32 s40, s0, s21
	s_mul_i32 s39, s1, s21
	s_add_i32 s38, s40, s38
	s_add_i32 s38, s38, s39
	s_mul_i32 s41, s0, s21
	s_mul_hi_u32 s39, s21, s38
	s_mul_i32 s40, s21, s38
	s_mul_hi_u32 s21, s21, s41
	s_add_u32 s21, s21, s40
	s_addc_u32 s39, 0, s39
	s_mul_hi_u32 s42, s11, s41
	s_mul_i32 s41, s11, s41
	s_add_u32 s21, s21, s41
	s_mul_hi_u32 s40, s11, s38
	s_addc_u32 s21, s39, s42
	s_addc_u32 s39, s40, 0
	s_mul_i32 s38, s11, s38
	s_add_u32 s21, s21, s38
	s_addc_u32 s38, 0, s39
	v_add_co_u32_e32 v1, vcc, s21, v1
	s_cmp_lg_u64 vcc, 0
	s_addc_u32 s11, s11, s38
	v_readfirstlane_b32 s38, v1
	s_mul_i32 s21, s0, s11
	s_mul_hi_u32 s39, s0, s38
	s_add_i32 s21, s39, s21
	s_mul_i32 s1, s1, s38
	s_add_i32 s21, s21, s1
	s_mul_i32 s0, s0, s38
	s_mul_hi_u32 s39, s11, s0
	s_mul_i32 s40, s11, s0
	s_mul_i32 s42, s38, s21
	s_mul_hi_u32 s0, s38, s0
	s_mul_hi_u32 s41, s38, s21
	s_add_u32 s0, s0, s42
	s_addc_u32 s38, 0, s41
	s_add_u32 s0, s0, s40
	s_mul_hi_u32 s1, s11, s21
	s_addc_u32 s0, s38, s39
	s_addc_u32 s1, s1, 0
	s_mul_i32 s21, s11, s21
	s_add_u32 s0, s0, s21
	s_addc_u32 s1, 0, s1
	v_add_co_u32_e32 v1, vcc, s0, v1
	s_cmp_lg_u64 vcc, 0
	s_addc_u32 s11, s11, s1
	s_ashr_i32 s38, s27, 31
	s_add_u32 s0, s26, s38
	s_mov_b32 s39, s38
	s_addc_u32 s1, s27, s38
	s_xor_b64 s[40:41], s[0:1], s[38:39]
	v_readfirstlane_b32 s21, v1
	s_mul_i32 s1, s40, s11
	s_mul_hi_u32 s42, s40, s21
	s_mul_hi_u32 s0, s40, s11
	s_add_u32 s1, s42, s1
	s_addc_u32 s0, 0, s0
	s_mul_hi_u32 s43, s41, s21
	s_mul_i32 s21, s41, s21
	s_add_u32 s1, s1, s21
	s_mul_hi_u32 s42, s41, s11
	s_addc_u32 s0, s0, s43
	s_addc_u32 s1, s42, 0
	s_mul_i32 s11, s41, s11
	s_add_u32 s11, s0, s11
	s_addc_u32 s21, 0, s1
	s_mul_i32 s0, s36, s21
	s_mul_hi_u32 s1, s36, s11
	s_add_i32 s0, s1, s0
	s_mul_i32 s1, s37, s11
	s_add_i32 s42, s0, s1
	s_mul_i32 s1, s36, s11
	v_mov_b32_e32 v1, s1
	s_sub_i32 s0, s41, s42
	v_sub_co_u32_e32 v1, vcc, s40, v1
	s_cmp_lg_u64 vcc, 0
	s_subb_u32 s40, s0, s37
	v_subrev_co_u32_e64 v2, s[0:1], s36, v1
	s_cmp_lg_u64 s[0:1], 0
	s_subb_u32 s0, s40, 0
	s_cmp_ge_u32 s0, s37
	v_readfirstlane_b32 s40, v2
	s_cselect_b32 s1, -1, 0
	s_cmp_ge_u32 s40, s36
	s_cselect_b32 s40, -1, 0
	s_cmp_eq_u32 s0, s37
	s_cselect_b32 s0, s40, s1
	s_add_u32 s1, s11, 1
	s_addc_u32 s40, s21, 0
	s_add_u32 s43, s11, 2
	s_addc_u32 s44, s21, 0
	s_cmp_lg_u32 s0, 0
	s_cselect_b32 s0, s43, s1
	s_cselect_b32 s1, s44, s40
	s_cmp_lg_u64 vcc, 0
	s_subb_u32 s40, s41, s42
	s_cmp_ge_u32 s40, s37
	v_readfirstlane_b32 s42, v1
	s_cselect_b32 s41, -1, 0
	s_cmp_ge_u32 s42, s36
	s_cselect_b32 s36, -1, 0
	s_cmp_eq_u32 s40, s37
	s_cselect_b32 s36, s36, s41
	s_cmp_lg_u32 s36, 0
	s_cselect_b32 s1, s1, s21
	s_cselect_b32 s0, s0, s11
	s_xor_b64 s[22:23], s[38:39], s[22:23]
	s_xor_b64 s[0:1], s[0:1], s[22:23]
	s_sub_u32 s22, s0, s22
	s_subb_u32 s23, s1, s23
	s_cbranch_execnz .LBB72_7
.LBB72_6:
	v_cvt_f32_u32_e32 v1, s34
	s_sub_i32 s0, 0, s34
	s_mov_b32 s23, 0
	v_rcp_iflag_f32_e32 v1, v1
	v_mul_f32_e32 v1, 0x4f7ffffe, v1
	v_cvt_u32_f32_e32 v1, v1
	v_readfirstlane_b32 s1, v1
	s_mul_i32 s0, s0, s1
	s_mul_hi_u32 s0, s1, s0
	s_add_i32 s1, s1, s0
	s_mul_hi_u32 s0, s26, s1
	s_mul_i32 s11, s0, s34
	s_sub_i32 s11, s26, s11
	s_add_i32 s1, s0, 1
	s_sub_i32 s21, s11, s34
	s_cmp_ge_u32 s11, s34
	s_cselect_b32 s0, s1, s0
	s_cselect_b32 s11, s21, s11
	s_add_i32 s1, s0, 1
	s_cmp_ge_u32 s11, s34
	s_cselect_b32 s22, s1, s0
.LBB72_7:
	s_mul_i32 s0, s22, s35
	s_mul_hi_u32 s1, s22, s34
	s_load_dwordx2 s[24:25], s[4:5], 0x78
	s_add_i32 s0, s1, s0
	s_mul_i32 s1, s23, s34
	s_add_i32 s0, s0, s1
	s_mul_i32 s1, s22, s34
	s_sub_u32 s11, s26, s1
	s_subb_u32 s0, s27, s0
	v_cmp_gt_i32_e32 vcc, s20, v0
	s_mul_hi_u32 s42, s22, s8
	s_mul_i32 s43, s23, s8
	s_mul_i32 s44, s22, s8
	s_mul_hi_u32 s41, s11, s9
	s_mul_i32 s23, s0, s9
	s_mul_i32 s40, s11, s9
	s_and_saveexec_b64 s[26:27], vcc
	s_cbranch_execz .LBB72_42
; %bb.8:
	s_mul_i32 s0, s6, s13
	s_mul_hi_u32 s1, s6, s12
	s_add_i32 s1, s1, s0
	s_mul_i32 s0, s6, s12
	s_ashr_i32 s21, s20, 31
	s_lshl_b64 s[0:1], s[0:1], 2
	s_add_u32 s45, s16, s0
	s_addc_u32 s46, s17, s1
	s_ashr_i32 s12, s8, 31
	s_load_dword s13, s[4:5], 0x8c
	s_mul_i32 s12, s22, s12
	s_add_i32 s12, s42, s12
	s_add_i32 s34, s12, s43
	s_ashr_i32 s12, s9, 31
	s_mul_i32 s12, s11, s12
	s_add_i32 s12, s41, s12
	s_waitcnt lgkmcnt(0)
	s_and_b32 s48, s13, 0xffff
	s_add_i32 s35, s12, s23
	s_ashr_i32 s36, s10, 31
	s_lshl_b32 s50, s48, 2
	s_lshl_b64 s[12:13], s[20:21], 2
	s_add_u32 s30, s30, s12
	s_addc_u32 s31, s31, s13
	s_add_u32 s51, s28, s30
	s_addc_u32 s52, s29, s31
	;; [unrolled: 2-line block ×5, first 2 shown]
	s_add_u32 s0, s0, s10
	s_load_dword s47, s[24:25], 0x0
	s_addc_u32 s1, s1, s36
	s_add_u32 s0, s2, s0
	s_addc_u32 s1, s3, s1
	v_mov_b32_e32 v1, s1
	v_add_co_u32_e32 v6, vcc, s0, v0
	s_mov_b32 s49, 0
	v_mov_b32_e32 v3, 0
	v_lshlrev_b32_e32 v4, 2, v0
	v_addc_co_u32_e32 v7, vcc, 0, v1, vcc
	s_mov_b64 s[12:13], 0
	s_movk_i32 s55, 0x80
	s_mov_b64 s[16:17], 0x7f800000
	s_mov_b64 s[28:29], 0x43e00001
	s_movk_i32 s56, 0x7a
	s_mov_b64 s[30:31], 0xffffff
	s_movk_i32 s57, 0x7f
	v_mov_b32_e32 v1, 0xffffff82
	v_mov_b32_e32 v5, 0x78
	;; [unrolled: 1-line block ×3, first 2 shown]
	s_branch .LBB72_10
.LBB72_9:                               ;   in Loop: Header=BB72_10 Depth=1
	s_or_b64 exec, exec, s[0:1]
	s_add_u32 s7, s7, s50
	s_addc_u32 s33, s33, 0
	s_add_u32 s51, s51, s50
	s_addc_u32 s52, s52, 0
	s_add_u32 s53, s53, s50
	v_mov_b32_e32 v2, s21
	v_add_co_u32_e32 v12, vcc, s20, v6
	s_addc_u32 s54, s54, 0
	v_addc_co_u32_e32 v13, vcc, v7, v2, vcc
	v_add_u32_e32 v10, s48, v10
	s_add_u32 s45, s45, s50
	s_addc_u32 s46, s46, 0
	v_cmp_le_i32_e32 vcc, s20, v10
	v_mov_b32_e32 v2, s49
	s_or_b64 s[12:13], vcc, s[12:13]
	v_add_co_u32_e32 v6, vcc, s48, v6
	v_addc_co_u32_e32 v7, vcc, v7, v2, vcc
	global_store_byte v[12:13], v9, off
	s_andn2_b64 exec, exec, s[12:13]
	s_cbranch_execz .LBB72_42
.LBB72_10:                              ; =>This Inner Loop Header: Depth=1
	v_mov_b32_e32 v2, s33
	v_add_co_u32_e32 v8, vcc, s7, v4
	v_addc_co_u32_e32 v9, vcc, 0, v2, vcc
	global_load_dword v2, v[8:9], off
	v_mov_b32_e32 v9, s52
	v_add_co_u32_e32 v8, vcc, s51, v4
	v_addc_co_u32_e32 v9, vcc, 0, v9, vcc
	global_load_dword v9, v[8:9], off
	v_mov_b32_e32 v8, s46
	v_add_co_u32_e32 v12, vcc, s45, v4
	v_addc_co_u32_e32 v13, vcc, 0, v8, vcc
	v_mov_b32_e32 v8, s54
	v_add_co_u32_e32 v14, vcc, s53, v4
	v_addc_co_u32_e32 v15, vcc, 0, v8, vcc
	global_load_dword v8, v[14:15], off
	global_load_dword v16, v[12:13], off
	s_waitcnt vmcnt(1)
	v_mul_f32_e32 v11, v9, v8
	s_waitcnt vmcnt(0)
	v_fma_f32 v18, v2, v16, -v11
	v_cvt_f32_f16_e32 v11, v18
	s_waitcnt lgkmcnt(0)
	v_div_scale_f32 v17, s[0:1], s47, s47, v11
	v_rcp_f32_e32 v19, v17
	v_div_scale_f32 v20, vcc, v11, s47, v11
	v_fma_f32 v21, -v17, v19, 1.0
	v_fmac_f32_e32 v19, v21, v19
	v_mul_f32_e32 v21, v20, v19
	v_fma_f32 v22, -v17, v21, v20
	v_fmac_f32_e32 v21, v22, v19
	v_fma_f32 v17, -v17, v21, v20
	v_div_fmas_f32 v17, v17, v19, v21
	v_div_fixup_f32 v11, v17, s47, v11
	v_cvt_f16_f32_e32 v19, v11
	v_mul_f32_e32 v11, v2, v8
	v_mov_b32_e32 v17, v3
	v_fmac_f32_e32 v11, v9, v16
	v_cvt_f32_f16_e32 v8, v19
	global_store_dword v[12:13], v18, off
	global_store_dword v[14:15], v11, off
	v_and_b32_sdwa v12, v8, s55 dst_sel:DWORD dst_unused:UNUSED_PAD src0_sel:BYTE_3 src1_sel:DWORD
	v_and_b32_e32 v16, 0x7f800000, v8
	v_and_b32_e32 v2, 0x7fffff, v8
	v_or_b32_e32 v9, 0x7e, v12
	v_cmp_ne_u64_e32 vcc, s[16:17], v[16:17]
	s_and_saveexec_b64 s[0:1], vcc
	s_xor_b64 s[34:35], exec, s[0:1]
	s_cbranch_execz .LBB72_24
; %bb.11:                               ;   in Loop: Header=BB72_10 Depth=1
	v_and_b32_e32 v14, 0x7fffffff, v8
	v_mov_b32_e32 v15, v3
	v_cmp_gt_u64_e32 vcc, s[28:29], v[14:15]
	s_and_saveexec_b64 s[0:1], vcc
	s_xor_b64 s[36:37], exec, s[0:1]
	s_cbranch_execz .LBB72_23
; %bb.12:                               ;   in Loop: Header=BB72_10 Depth=1
	v_cmp_ne_u32_e32 vcc, 0, v8
	v_mov_b32_e32 v9, 0
	s_and_saveexec_b64 s[38:39], vcc
	s_cbranch_execz .LBB72_22
; %bb.13:                               ;   in Loop: Header=BB72_10 Depth=1
	v_bfe_u32 v8, v8, 23, 8
	v_sub_u32_e32 v13, 0x79, v8
	v_cmp_gt_u32_e32 vcc, s56, v8
	v_cndmask_b32_e32 v13, 0, v13, vcc
	v_cmp_eq_u32_e32 vcc, 0, v8
	v_cndmask_b32_e32 v13, v13, v5, vcc
	v_add_u32_e32 v9, 0xffffff81, v8
	v_or_b32_e32 v14, 0x800000, v2
	v_add_u32_e32 v8, 20, v13
	v_cndmask_b32_e32 v15, v9, v1, vcc
	v_cndmask_b32_e32 v2, v14, v2, vcc
	v_lshlrev_b64 v[8:9], v8, -1
	v_not_b32_e32 v8, v8
	v_lshrrev_b64 v[18:19], v13, v[2:3]
	v_not_b32_e32 v9, v9
	v_and_b32_e32 v8, v2, v8
	v_add_u32_e32 v14, 19, v13
	v_lshrrev_b32_e32 v2, 23, v18
	v_and_b32_e32 v9, 0, v9
	v_lshlrev_b64 v[16:17], v14, 1
	v_add3_u32 v14, v13, v15, v2
	v_bfe_u32 v2, v18, 20, 1
	v_add_u32_e32 v2, -1, v2
	v_cmp_eq_u64_e32 vcc, v[8:9], v[16:17]
	v_cndmask_b32_e32 v2, 0, v2, vcc
	v_add_u32_e32 v2, v2, v18
	v_and_b32_e32 v2, 0xfffff, v2
	v_add_co_u32_e32 v8, vcc, v2, v18
	v_add_u32_e32 v13, 6, v14
	v_addc_co_u32_e32 v9, vcc, 0, v19, vcc
	v_cmp_ne_u32_e32 vcc, 0, v13
                                        ; implicit-def: $vgpr2
	s_and_saveexec_b64 s[0:1], vcc
	s_xor_b64 s[0:1], exec, s[0:1]
; %bb.14:                               ;   in Loop: Header=BB72_10 Depth=1
	v_add_u32_e32 v2, 7, v14
	v_cmp_lt_u64_e32 vcc, s[30:31], v[8:9]
	v_cndmask_b32_e32 v2, v13, v2, vcc
	v_cndmask_b32_e64 v13, 0, 1, vcc
	v_lshrrev_b64 v[8:9], v13, v[8:9]
; %bb.15:                               ;   in Loop: Header=BB72_10 Depth=1
	s_andn2_saveexec_b64 s[0:1], s[0:1]
; %bb.16:                               ;   in Loop: Header=BB72_10 Depth=1
	v_bfe_u32 v2, v8, 23, 1
; %bb.17:                               ;   in Loop: Header=BB72_10 Depth=1
	s_or_b64 exec, exec, s[0:1]
	v_lshrrev_b64 v[8:9], 20, v[8:9]
	v_cmp_gt_i32_e32 vcc, 16, v2
	v_cndmask_b32_e32 v9, 0, v9, vcc
	v_cndmask_b32_e32 v8, 7, v8, vcc
	v_cmp_ne_u32_e32 vcc, 0, v2
	v_cmp_ne_u64_e64 s[0:1], 0, v[8:9]
	s_or_b64 s[0:1], vcc, s[0:1]
                                        ; implicit-def: $vgpr9
	s_and_saveexec_b64 s[58:59], s[0:1]
	s_xor_b64 s[0:1], exec, s[58:59]
; %bb.18:                               ;   in Loop: Header=BB72_10 Depth=1
	v_min_i32_e32 v2, 15, v2
	v_lshl_or_b32 v2, v2, 3, v12
	v_and_or_b32 v9, v8, 7, v2
                                        ; implicit-def: $vgpr12
; %bb.19:                               ;   in Loop: Header=BB72_10 Depth=1
	s_andn2_saveexec_b64 s[0:1], s[0:1]
; %bb.20:                               ;   in Loop: Header=BB72_10 Depth=1
	v_mov_b32_e32 v9, v12
; %bb.21:                               ;   in Loop: Header=BB72_10 Depth=1
	s_or_b64 exec, exec, s[0:1]
.LBB72_22:                              ;   in Loop: Header=BB72_10 Depth=1
	s_or_b64 exec, exec, s[38:39]
.LBB72_23:                              ;   in Loop: Header=BB72_10 Depth=1
	s_andn2_saveexec_b64 s[0:1], s[36:37]
	s_or_b64 exec, exec, s[0:1]
                                        ; implicit-def: $vgpr8
.LBB72_24:                              ;   in Loop: Header=BB72_10 Depth=1
	s_andn2_saveexec_b64 s[0:1], s[34:35]
; %bb.25:                               ;   in Loop: Header=BB72_10 Depth=1
	v_or_b32_sdwa v8, v8, s57 dst_sel:DWORD dst_unused:UNUSED_PAD src0_sel:BYTE_3 src1_sel:DWORD
	v_cmp_eq_u64_e32 vcc, 0, v[2:3]
	v_cndmask_b32_e32 v9, v8, v9, vcc
; %bb.26:                               ;   in Loop: Header=BB72_10 Depth=1
	s_or_b64 exec, exec, s[0:1]
	v_cvt_f32_f16_e32 v2, v11
	global_store_byte v[6:7], v9, off
	v_div_scale_f32 v8, s[0:1], s47, s47, v2
	v_rcp_f32_e32 v11, v8
	v_div_scale_f32 v12, vcc, v2, s47, v2
	v_fma_f32 v13, -v8, v11, 1.0
	v_fmac_f32_e32 v11, v13, v11
	v_mul_f32_e32 v13, v12, v11
	v_fma_f32 v14, -v8, v13, v12
	v_fmac_f32_e32 v13, v14, v11
	v_fma_f32 v8, -v8, v13, v12
	v_div_fmas_f32 v8, v8, v11, v13
	v_div_fixup_f32 v2, v8, s47, v2
	v_cvt_f16_f32_e32 v2, v2
	v_mov_b32_e32 v13, v3
	v_cvt_f32_f16_e32 v8, v2
	v_and_b32_sdwa v11, v8, s55 dst_sel:DWORD dst_unused:UNUSED_PAD src0_sel:BYTE_3 src1_sel:DWORD
	v_and_b32_e32 v12, 0x7f800000, v8
	v_and_b32_e32 v2, 0x7fffff, v8
	v_or_b32_e32 v9, 0x7e, v11
	v_cmp_ne_u64_e32 vcc, s[16:17], v[12:13]
	s_and_saveexec_b64 s[0:1], vcc
	s_xor_b64 s[34:35], exec, s[0:1]
	s_cbranch_execz .LBB72_40
; %bb.27:                               ;   in Loop: Header=BB72_10 Depth=1
	v_and_b32_e32 v12, 0x7fffffff, v8
	v_mov_b32_e32 v13, v3
	v_cmp_gt_u64_e32 vcc, s[28:29], v[12:13]
	s_and_saveexec_b64 s[0:1], vcc
	s_xor_b64 s[36:37], exec, s[0:1]
	s_cbranch_execz .LBB72_39
; %bb.28:                               ;   in Loop: Header=BB72_10 Depth=1
	v_cmp_ne_u32_e32 vcc, 0, v8
	v_mov_b32_e32 v9, 0
	s_and_saveexec_b64 s[38:39], vcc
	s_cbranch_execz .LBB72_38
; %bb.29:                               ;   in Loop: Header=BB72_10 Depth=1
	v_bfe_u32 v8, v8, 23, 8
	v_sub_u32_e32 v12, 0x79, v8
	v_cmp_gt_u32_e32 vcc, s56, v8
	v_cndmask_b32_e32 v12, 0, v12, vcc
	v_cmp_eq_u32_e32 vcc, 0, v8
	v_cndmask_b32_e32 v12, v12, v5, vcc
	v_add_u32_e32 v9, 0xffffff81, v8
	v_or_b32_e32 v13, 0x800000, v2
	v_add_u32_e32 v8, 20, v12
	v_cndmask_b32_e32 v18, v9, v1, vcc
	v_cndmask_b32_e32 v2, v13, v2, vcc
	v_lshlrev_b64 v[8:9], v8, -1
	v_not_b32_e32 v8, v8
	v_lshrrev_b64 v[16:17], v12, v[2:3]
	v_not_b32_e32 v9, v9
	v_and_b32_e32 v8, v2, v8
	v_add_u32_e32 v13, 19, v12
	v_lshrrev_b32_e32 v2, 23, v16
	v_and_b32_e32 v9, 0, v9
	v_lshlrev_b64 v[14:15], v13, 1
	v_add3_u32 v13, v12, v18, v2
	v_bfe_u32 v2, v16, 20, 1
	v_add_u32_e32 v2, -1, v2
	v_cmp_eq_u64_e32 vcc, v[8:9], v[14:15]
	v_cndmask_b32_e32 v2, 0, v2, vcc
	v_add_u32_e32 v2, v2, v16
	v_and_b32_e32 v2, 0xfffff, v2
	v_add_co_u32_e32 v8, vcc, v2, v16
	v_add_u32_e32 v12, 6, v13
	v_addc_co_u32_e32 v9, vcc, 0, v17, vcc
	v_cmp_ne_u32_e32 vcc, 0, v12
                                        ; implicit-def: $vgpr2
	s_and_saveexec_b64 s[0:1], vcc
	s_xor_b64 s[0:1], exec, s[0:1]
; %bb.30:                               ;   in Loop: Header=BB72_10 Depth=1
	v_add_u32_e32 v2, 7, v13
	v_cmp_lt_u64_e32 vcc, s[30:31], v[8:9]
	v_cndmask_b32_e32 v2, v12, v2, vcc
	v_cndmask_b32_e64 v12, 0, 1, vcc
	v_lshrrev_b64 v[8:9], v12, v[8:9]
; %bb.31:                               ;   in Loop: Header=BB72_10 Depth=1
	s_andn2_saveexec_b64 s[0:1], s[0:1]
; %bb.32:                               ;   in Loop: Header=BB72_10 Depth=1
	v_bfe_u32 v2, v8, 23, 1
; %bb.33:                               ;   in Loop: Header=BB72_10 Depth=1
	s_or_b64 exec, exec, s[0:1]
	v_lshrrev_b64 v[8:9], 20, v[8:9]
	v_cmp_gt_i32_e32 vcc, 16, v2
	v_cndmask_b32_e32 v9, 0, v9, vcc
	v_cndmask_b32_e32 v8, 7, v8, vcc
	v_cmp_ne_u32_e32 vcc, 0, v2
	v_cmp_ne_u64_e64 s[0:1], 0, v[8:9]
	s_or_b64 s[0:1], vcc, s[0:1]
                                        ; implicit-def: $vgpr9
	s_and_saveexec_b64 s[58:59], s[0:1]
	s_xor_b64 s[0:1], exec, s[58:59]
; %bb.34:                               ;   in Loop: Header=BB72_10 Depth=1
	v_min_i32_e32 v2, 15, v2
	v_lshl_or_b32 v2, v2, 3, v11
	v_and_or_b32 v9, v8, 7, v2
                                        ; implicit-def: $vgpr11
; %bb.35:                               ;   in Loop: Header=BB72_10 Depth=1
	s_andn2_saveexec_b64 s[0:1], s[0:1]
; %bb.36:                               ;   in Loop: Header=BB72_10 Depth=1
	v_mov_b32_e32 v9, v11
; %bb.37:                               ;   in Loop: Header=BB72_10 Depth=1
	s_or_b64 exec, exec, s[0:1]
.LBB72_38:                              ;   in Loop: Header=BB72_10 Depth=1
	s_or_b64 exec, exec, s[38:39]
.LBB72_39:                              ;   in Loop: Header=BB72_10 Depth=1
	s_andn2_saveexec_b64 s[0:1], s[36:37]
	s_or_b64 exec, exec, s[0:1]
                                        ; implicit-def: $vgpr8
.LBB72_40:                              ;   in Loop: Header=BB72_10 Depth=1
	s_andn2_saveexec_b64 s[0:1], s[34:35]
	s_cbranch_execz .LBB72_9
; %bb.41:                               ;   in Loop: Header=BB72_10 Depth=1
	v_or_b32_sdwa v8, v8, s57 dst_sel:DWORD dst_unused:UNUSED_PAD src0_sel:BYTE_3 src1_sel:DWORD
	v_cmp_eq_u64_e32 vcc, 0, v[2:3]
	v_cndmask_b32_e32 v9, v8, v9, vcc
	s_branch .LBB72_9
.LBB72_42:
	s_or_b64 exec, exec, s[26:27]
	v_cmp_gt_i32_e32 vcc, s10, v0
	s_and_saveexec_b64 s[0:1], vcc
	s_cbranch_execz .LBB72_61
; %bb.43:
	s_mul_i32 s0, s6, s15
	s_mul_hi_u32 s1, s6, s14
	s_add_i32 s1, s1, s0
	s_mul_i32 s0, s6, s14
	s_lshl_b64 s[0:1], s[0:1], 2
	s_add_u32 s18, s18, s0
	s_addc_u32 s0, s19, s1
	s_ashr_i32 s1, s8, 31
	s_mul_i32 s1, s22, s1
	s_add_i32 s1, s42, s1
	s_add_i32 s1, s1, s43
	s_add_u32 s2, s2, s44
	s_addc_u32 s1, s3, s1
	s_ashr_i32 s3, s9, 31
	s_load_dword s4, s[4:5], 0x8c
	s_mul_i32 s11, s11, s3
	s_waitcnt lgkmcnt(0)
	s_load_dword s20, s[24:25], 0x0
	s_add_i32 s3, s41, s11
	s_add_i32 s3, s3, s23
	s_add_u32 s11, s2, s40
	s_addc_u32 s19, s1, s3
	s_and_b32 s21, s4, 0xffff
	s_mov_b64 s[2:3], 0
	v_mov_b32_e32 v6, s0
	v_mov_b32_e32 v3, 0
	s_movk_i32 s22, 0x80
	s_mov_b64 s[4:5], 0x7f800000
	s_mov_b64 s[6:7], 0x43e00001
	s_movk_i32 s23, 0x7a
	s_mov_b64 s[8:9], 0xffffff
	s_movk_i32 s24, 0x7f
	v_mov_b32_e32 v7, 0xffffff82
	v_mov_b32_e32 v8, 0x78
	s_branch .LBB72_45
.LBB72_44:                              ;   in Loop: Header=BB72_45 Depth=1
	s_or_b64 exec, exec, s[0:1]
	v_mov_b32_e32 v2, s19
	v_add_co_u32_e32 v10, vcc, s11, v0
	v_addc_co_u32_e32 v11, vcc, v2, v1, vcc
	v_add_u32_e32 v0, s21, v0
	v_cmp_le_i32_e32 vcc, s10, v0
	s_or_b64 s[2:3], vcc, s[2:3]
	global_store_byte v[10:11], v5, off
	s_andn2_b64 exec, exec, s[2:3]
	s_cbranch_execz .LBB72_61
.LBB72_45:                              ; =>This Inner Loop Header: Depth=1
	v_ashrrev_i32_e32 v1, 31, v0
	v_lshlrev_b64 v[4:5], 2, v[0:1]
	v_add_co_u32_e32 v4, vcc, s18, v4
	v_addc_co_u32_e32 v5, vcc, v6, v5, vcc
	global_load_ushort v2, v[4:5], off
	s_waitcnt vmcnt(0)
	v_cvt_f32_f16_e32 v2, v2
	s_waitcnt lgkmcnt(0)
	v_div_scale_f32 v4, s[0:1], s20, s20, v2
	v_rcp_f32_e32 v5, v4
	v_div_scale_f32 v9, vcc, v2, s20, v2
	v_fma_f32 v10, -v4, v5, 1.0
	v_fmac_f32_e32 v5, v10, v5
	v_mul_f32_e32 v10, v9, v5
	v_fma_f32 v11, -v4, v10, v9
	v_fmac_f32_e32 v10, v11, v5
	v_fma_f32 v4, -v4, v10, v9
	v_div_fmas_f32 v4, v4, v5, v10
	v_div_fixup_f32 v2, v4, s20, v2
	v_cvt_f16_f32_e32 v2, v2
	v_mov_b32_e32 v11, v3
	v_cvt_f32_f16_e32 v4, v2
	v_and_b32_sdwa v9, v4, s22 dst_sel:DWORD dst_unused:UNUSED_PAD src0_sel:BYTE_3 src1_sel:DWORD
	v_and_b32_e32 v10, 0x7f800000, v4
	v_and_b32_e32 v2, 0x7fffff, v4
	v_or_b32_e32 v5, 0x7e, v9
	v_cmp_ne_u64_e32 vcc, s[4:5], v[10:11]
	s_and_saveexec_b64 s[0:1], vcc
	s_xor_b64 s[12:13], exec, s[0:1]
	s_cbranch_execz .LBB72_59
; %bb.46:                               ;   in Loop: Header=BB72_45 Depth=1
	v_and_b32_e32 v10, 0x7fffffff, v4
	v_mov_b32_e32 v11, v3
	v_cmp_gt_u64_e32 vcc, s[6:7], v[10:11]
	s_and_saveexec_b64 s[0:1], vcc
	s_xor_b64 s[14:15], exec, s[0:1]
	s_cbranch_execz .LBB72_58
; %bb.47:                               ;   in Loop: Header=BB72_45 Depth=1
	v_cmp_ne_u32_e32 vcc, 0, v4
	v_mov_b32_e32 v5, 0
	s_and_saveexec_b64 s[16:17], vcc
	s_cbranch_execz .LBB72_57
; %bb.48:                               ;   in Loop: Header=BB72_45 Depth=1
	v_bfe_u32 v4, v4, 23, 8
	v_sub_u32_e32 v10, 0x79, v4
	v_cmp_gt_u32_e32 vcc, s23, v4
	v_cndmask_b32_e32 v10, 0, v10, vcc
	v_cmp_eq_u32_e32 vcc, 0, v4
	v_cndmask_b32_e32 v10, v10, v8, vcc
	v_add_u32_e32 v5, 0xffffff81, v4
	v_or_b32_e32 v11, 0x800000, v2
	v_add_u32_e32 v4, 20, v10
	v_cndmask_b32_e32 v16, v5, v7, vcc
	v_cndmask_b32_e32 v2, v11, v2, vcc
	v_lshlrev_b64 v[4:5], v4, -1
	v_not_b32_e32 v4, v4
	v_lshrrev_b64 v[14:15], v10, v[2:3]
	v_not_b32_e32 v5, v5
	v_and_b32_e32 v4, v2, v4
	v_add_u32_e32 v11, 19, v10
	v_lshrrev_b32_e32 v2, 23, v14
	v_and_b32_e32 v5, 0, v5
	v_lshlrev_b64 v[12:13], v11, 1
	v_add3_u32 v11, v10, v16, v2
	v_bfe_u32 v2, v14, 20, 1
	v_add_u32_e32 v2, -1, v2
	v_cmp_eq_u64_e32 vcc, v[4:5], v[12:13]
	v_cndmask_b32_e32 v2, 0, v2, vcc
	v_add_u32_e32 v2, v2, v14
	v_and_b32_e32 v2, 0xfffff, v2
	v_add_co_u32_e32 v4, vcc, v2, v14
	v_add_u32_e32 v10, 6, v11
	v_addc_co_u32_e32 v5, vcc, 0, v15, vcc
	v_cmp_ne_u32_e32 vcc, 0, v10
                                        ; implicit-def: $vgpr2
	s_and_saveexec_b64 s[0:1], vcc
	s_xor_b64 s[0:1], exec, s[0:1]
; %bb.49:                               ;   in Loop: Header=BB72_45 Depth=1
	v_add_u32_e32 v2, 7, v11
	v_cmp_lt_u64_e32 vcc, s[8:9], v[4:5]
	v_cndmask_b32_e32 v2, v10, v2, vcc
	v_cndmask_b32_e64 v10, 0, 1, vcc
	v_lshrrev_b64 v[4:5], v10, v[4:5]
; %bb.50:                               ;   in Loop: Header=BB72_45 Depth=1
	s_andn2_saveexec_b64 s[0:1], s[0:1]
; %bb.51:                               ;   in Loop: Header=BB72_45 Depth=1
	v_bfe_u32 v2, v4, 23, 1
; %bb.52:                               ;   in Loop: Header=BB72_45 Depth=1
	s_or_b64 exec, exec, s[0:1]
	v_lshrrev_b64 v[4:5], 20, v[4:5]
	v_cmp_gt_i32_e32 vcc, 16, v2
	v_cndmask_b32_e32 v5, 0, v5, vcc
	v_cndmask_b32_e32 v4, 7, v4, vcc
	v_cmp_ne_u32_e32 vcc, 0, v2
	v_cmp_ne_u64_e64 s[0:1], 0, v[4:5]
	s_or_b64 s[0:1], vcc, s[0:1]
                                        ; implicit-def: $vgpr5
	s_and_saveexec_b64 s[26:27], s[0:1]
	s_xor_b64 s[0:1], exec, s[26:27]
; %bb.53:                               ;   in Loop: Header=BB72_45 Depth=1
	v_min_i32_e32 v2, 15, v2
	v_lshl_or_b32 v2, v2, 3, v9
	v_and_or_b32 v5, v4, 7, v2
                                        ; implicit-def: $vgpr9
; %bb.54:                               ;   in Loop: Header=BB72_45 Depth=1
	s_andn2_saveexec_b64 s[0:1], s[0:1]
; %bb.55:                               ;   in Loop: Header=BB72_45 Depth=1
	v_mov_b32_e32 v5, v9
; %bb.56:                               ;   in Loop: Header=BB72_45 Depth=1
	s_or_b64 exec, exec, s[0:1]
.LBB72_57:                              ;   in Loop: Header=BB72_45 Depth=1
	s_or_b64 exec, exec, s[16:17]
.LBB72_58:                              ;   in Loop: Header=BB72_45 Depth=1
	s_andn2_saveexec_b64 s[0:1], s[14:15]
	s_or_b64 exec, exec, s[0:1]
                                        ; implicit-def: $vgpr4
.LBB72_59:                              ;   in Loop: Header=BB72_45 Depth=1
	s_andn2_saveexec_b64 s[0:1], s[12:13]
	s_cbranch_execz .LBB72_44
; %bb.60:                               ;   in Loop: Header=BB72_45 Depth=1
	v_or_b32_sdwa v4, v4, s24 dst_sel:DWORD dst_unused:UNUSED_PAD src0_sel:BYTE_3 src1_sel:DWORD
	v_cmp_eq_u64_e32 vcc, 0, v[2:3]
	v_cndmask_b32_e32 v5, v4, v5, vcc
	s_branch .LBB72_44
.LBB72_61:
	s_endpgm
.LBB72_62:
                                        ; implicit-def: $sgpr22_sgpr23
	s_branch .LBB72_6
	.section	.rodata,"a",@progbits
	.p2align	6, 0x0
	.amdhsa_kernel _ZN4vllm38concat_and_cache_mla_rope_fused_kernelIffLb1EthLNS_18Fp8KVCacheDataTypeE1EEEvPKlPT_S5_PKS4_PKT0_illlliPT3_S3_iiiiPKf
		.amdhsa_group_segment_fixed_size 0
		.amdhsa_private_segment_fixed_size 0
		.amdhsa_kernarg_size 384
		.amdhsa_user_sgpr_count 6
		.amdhsa_user_sgpr_private_segment_buffer 1
		.amdhsa_user_sgpr_dispatch_ptr 0
		.amdhsa_user_sgpr_queue_ptr 0
		.amdhsa_user_sgpr_kernarg_segment_ptr 1
		.amdhsa_user_sgpr_dispatch_id 0
		.amdhsa_user_sgpr_flat_scratch_init 0
		.amdhsa_user_sgpr_kernarg_preload_length 0
		.amdhsa_user_sgpr_kernarg_preload_offset 0
		.amdhsa_user_sgpr_private_segment_size 0
		.amdhsa_uses_dynamic_stack 0
		.amdhsa_system_sgpr_private_segment_wavefront_offset 0
		.amdhsa_system_sgpr_workgroup_id_x 1
		.amdhsa_system_sgpr_workgroup_id_y 0
		.amdhsa_system_sgpr_workgroup_id_z 0
		.amdhsa_system_sgpr_workgroup_info 0
		.amdhsa_system_vgpr_workitem_id 0
		.amdhsa_next_free_vgpr 23
		.amdhsa_next_free_sgpr 60
		.amdhsa_accum_offset 24
		.amdhsa_reserve_vcc 1
		.amdhsa_reserve_flat_scratch 0
		.amdhsa_float_round_mode_32 0
		.amdhsa_float_round_mode_16_64 0
		.amdhsa_float_denorm_mode_32 3
		.amdhsa_float_denorm_mode_16_64 3
		.amdhsa_dx10_clamp 1
		.amdhsa_ieee_mode 1
		.amdhsa_fp16_overflow 0
		.amdhsa_tg_split 0
		.amdhsa_exception_fp_ieee_invalid_op 0
		.amdhsa_exception_fp_denorm_src 0
		.amdhsa_exception_fp_ieee_div_zero 0
		.amdhsa_exception_fp_ieee_overflow 0
		.amdhsa_exception_fp_ieee_underflow 0
		.amdhsa_exception_fp_ieee_inexact 0
		.amdhsa_exception_int_div_zero 0
	.end_amdhsa_kernel
	.section	.text._ZN4vllm38concat_and_cache_mla_rope_fused_kernelIffLb1EthLNS_18Fp8KVCacheDataTypeE1EEEvPKlPT_S5_PKS4_PKT0_illlliPT3_S3_iiiiPKf,"axG",@progbits,_ZN4vllm38concat_and_cache_mla_rope_fused_kernelIffLb1EthLNS_18Fp8KVCacheDataTypeE1EEEvPKlPT_S5_PKS4_PKT0_illlliPT3_S3_iiiiPKf,comdat
.Lfunc_end72:
	.size	_ZN4vllm38concat_and_cache_mla_rope_fused_kernelIffLb1EthLNS_18Fp8KVCacheDataTypeE1EEEvPKlPT_S5_PKS4_PKT0_illlliPT3_S3_iiiiPKf, .Lfunc_end72-_ZN4vllm38concat_and_cache_mla_rope_fused_kernelIffLb1EthLNS_18Fp8KVCacheDataTypeE1EEEvPKlPT_S5_PKS4_PKT0_illlliPT3_S3_iiiiPKf
                                        ; -- End function
	.section	.AMDGPU.csdata,"",@progbits
; Kernel info:
; codeLenInByte = 3648
; NumSgprs: 64
; NumVgprs: 23
; NumAgprs: 0
; TotalNumVgprs: 23
; ScratchSize: 0
; MemoryBound: 0
; FloatMode: 240
; IeeeMode: 1
; LDSByteSize: 0 bytes/workgroup (compile time only)
; SGPRBlocks: 7
; VGPRBlocks: 2
; NumSGPRsForWavesPerEU: 64
; NumVGPRsForWavesPerEU: 23
; AccumOffset: 24
; Occupancy: 8
; WaveLimiterHint : 1
; COMPUTE_PGM_RSRC2:SCRATCH_EN: 0
; COMPUTE_PGM_RSRC2:USER_SGPR: 6
; COMPUTE_PGM_RSRC2:TRAP_HANDLER: 0
; COMPUTE_PGM_RSRC2:TGID_X_EN: 1
; COMPUTE_PGM_RSRC2:TGID_Y_EN: 0
; COMPUTE_PGM_RSRC2:TGID_Z_EN: 0
; COMPUTE_PGM_RSRC2:TIDIG_COMP_CNT: 0
; COMPUTE_PGM_RSRC3_GFX90A:ACCUM_OFFSET: 5
; COMPUTE_PGM_RSRC3_GFX90A:TG_SPLIT: 0
	.section	.text._ZN4vllm38concat_and_cache_mla_rope_fused_kernelIffLb0EthLNS_18Fp8KVCacheDataTypeE1EEEvPKlPT_S5_PKS4_PKT0_illlliPT3_S3_iiiiPKf,"axG",@progbits,_ZN4vllm38concat_and_cache_mla_rope_fused_kernelIffLb0EthLNS_18Fp8KVCacheDataTypeE1EEEvPKlPT_S5_PKS4_PKT0_illlliPT3_S3_iiiiPKf,comdat
	.protected	_ZN4vllm38concat_and_cache_mla_rope_fused_kernelIffLb0EthLNS_18Fp8KVCacheDataTypeE1EEEvPKlPT_S5_PKS4_PKT0_illlliPT3_S3_iiiiPKf ; -- Begin function _ZN4vllm38concat_and_cache_mla_rope_fused_kernelIffLb0EthLNS_18Fp8KVCacheDataTypeE1EEEvPKlPT_S5_PKS4_PKT0_illlliPT3_S3_iiiiPKf
	.globl	_ZN4vllm38concat_and_cache_mla_rope_fused_kernelIffLb0EthLNS_18Fp8KVCacheDataTypeE1EEEvPKlPT_S5_PKS4_PKT0_illlliPT3_S3_iiiiPKf
	.p2align	8
	.type	_ZN4vllm38concat_and_cache_mla_rope_fused_kernelIffLb0EthLNS_18Fp8KVCacheDataTypeE1EEEvPKlPT_S5_PKS4_PKT0_illlliPT3_S3_iiiiPKf,@function
_ZN4vllm38concat_and_cache_mla_rope_fused_kernelIffLb0EthLNS_18Fp8KVCacheDataTypeE1EEEvPKlPT_S5_PKS4_PKT0_illlliPT3_S3_iiiiPKf: ; @_ZN4vllm38concat_and_cache_mla_rope_fused_kernelIffLb0EthLNS_18Fp8KVCacheDataTypeE1EEEvPKlPT_S5_PKS4_PKT0_illlliPT3_S3_iiiiPKf
; %bb.0:
	s_load_dwordx2 s[2:3], s[4:5], 0x60
	s_mov_b32 s7, 0
	s_lshl_b64 s[0:1], s[6:7], 3
	s_waitcnt lgkmcnt(0)
	s_add_u32 s2, s2, s0
	s_addc_u32 s3, s3, s1
	s_load_dwordx2 s[26:27], s[2:3], 0x0
	s_waitcnt lgkmcnt(0)
	v_cmp_lt_i64_e64 s[2:3], s[26:27], 0
	s_and_b64 vcc, exec, s[2:3]
	s_cbranch_vccnz .LBB73_61
; %bb.1:
	s_load_dword s7, s[4:5], 0x28
	s_load_dwordx2 s[2:3], s[4:5], 0x0
	s_load_dwordx4 s[16:19], s[4:5], 0x10
	v_lshlrev_b32_e32 v1, 1, v0
	s_waitcnt lgkmcnt(0)
	s_ashr_i32 s22, s7, 31
	s_add_u32 s0, s2, s0
	s_addc_u32 s1, s3, s1
	s_load_dwordx2 s[20:21], s[0:1], 0x0
	s_load_dwordx2 s[28:29], s[4:5], 0x20
	s_load_dwordx8 s[8:15], s[4:5], 0x30
	s_load_dwordx2 s[2:3], s[4:5], 0x58
	s_load_dword s23, s[4:5], 0x50
	s_waitcnt lgkmcnt(0)
	s_mul_i32 s0, s20, s22
	s_mul_hi_u32 s1, s20, s7
	s_mul_i32 s21, s21, s7
	s_add_i32 s0, s1, s0
	s_add_i32 s31, s0, s21
	s_lshr_b32 s0, s7, 31
	s_mul_i32 s30, s20, s7
	s_add_i32 s7, s7, s0
	s_ashr_i32 s20, s7, 1
	s_mul_i32 s7, s20, s23
	v_cmp_gt_i32_e32 vcc, s7, v0
	s_and_saveexec_b64 s[0:1], vcc
	s_cbranch_execz .LBB73_4
; %bb.2:
	s_lshl_b64 s[22:23], s[30:31], 2
	s_add_u32 s24, s28, s22
	s_addc_u32 s38, s29, s23
	s_load_dwordx2 s[22:23], s[4:5], 0x8
	s_load_dword s34, s[4:5], 0x8c
	s_mul_i32 s9, s6, s9
	s_mul_hi_u32 s25, s6, s8
	s_add_i32 s9, s25, s9
	s_mul_i32 s8, s6, s8
	s_ashr_i32 s21, s20, 31
	s_lshl_b64 s[8:9], s[8:9], 2
	s_waitcnt lgkmcnt(0)
	s_add_u32 s25, s22, s8
	s_addc_u32 s39, s23, s9
	s_abs_i32 s33, s20
	v_cvt_f32_u32_e32 v2, s33
	s_sub_i32 s8, 0, s33
	s_and_b32 s34, s34, 0xffff
	s_lshl_b64 s[22:23], s[20:21], 2
	v_rcp_iflag_f32_e32 v2, v2
	s_sub_i32 s35, 0, s20
	s_lshl_b32 s37, s34, 1
	v_mov_b32_e32 v5, s38
	v_mul_f32_e32 v2, 0x4f7ffffe, v2
	v_cvt_u32_f32_e32 v2, v2
	v_mov_b32_e32 v6, s23
	v_mov_b32_e32 v7, s39
	;; [unrolled: 1-line block ×3, first 2 shown]
	v_mul_lo_u32 v3, s8, v2
	v_mul_hi_u32 v3, v2, v3
	s_lshl_b32 s8, s20, 1
	v_add_u32_e32 v3, v2, v3
	s_sub_i32 s36, 0, s8
	s_mov_b64 s[8:9], 0
	v_mov_b32_e32 v2, v1
.LBB73_3:                               ; =>This Inner Loop Header: Depth=1
	v_sub_u32_e32 v9, 0, v4
	v_max_i32_e32 v9, v4, v9
	v_mul_hi_u32 v10, v9, v3
	v_mul_lo_u32 v11, v10, s33
	v_sub_u32_e32 v9, v9, v11
	v_add_u32_e32 v12, 1, v10
	v_cmp_le_u32_e32 vcc, s33, v9
	v_subrev_u32_e32 v11, s33, v9
	v_cndmask_b32_e32 v10, v10, v12, vcc
	v_cndmask_b32_e32 v9, v9, v11, vcc
	v_ashrrev_i32_e32 v8, 31, v4
	v_add_u32_e32 v11, 1, v10
	v_cmp_le_u32_e32 vcc, s33, v9
	v_xor_b32_e32 v8, s21, v8
	v_cndmask_b32_e32 v9, v10, v11, vcc
	v_xor_b32_e32 v9, v9, v8
	v_sub_u32_e32 v12, v9, v8
	v_mad_u64_u32 v[8:9], s[38:39], s35, v12, v[4:5]
	v_ashrrev_i32_e32 v9, 31, v8
	v_lshlrev_b64 v[8:9], 2, v[8:9]
	v_ashrrev_i32_e32 v14, 31, v12
	v_add_co_u32_e32 v8, vcc, s24, v8
	v_mul_lo_u32 v15, v12, s11
	v_mad_u64_u32 v[10:11], s[38:39], v12, s10, 0
	v_mul_lo_u32 v14, v14, s10
	v_addc_co_u32_e32 v9, vcc, v5, v9, vcc
	v_add3_u32 v11, v11, v15, v14
	v_add_co_u32_e32 v14, vcc, s22, v8
	v_mad_u64_u32 v[12:13], s[38:39], s36, v12, v[2:3]
	v_lshlrev_b64 v[10:11], 2, v[10:11]
	v_addc_co_u32_e32 v15, vcc, v9, v6, vcc
	v_ashrrev_i32_e32 v13, 31, v12
	v_add_co_u32_e32 v10, vcc, s25, v10
	v_lshlrev_b64 v[12:13], 2, v[12:13]
	v_addc_co_u32_e32 v11, vcc, v7, v11, vcc
	global_load_dword v16, v[8:9], off
	global_load_dword v17, v[14:15], off
	v_add_co_u32_e32 v8, vcc, v10, v12
	v_addc_co_u32_e32 v9, vcc, v11, v13, vcc
	global_load_dwordx2 v[10:11], v[8:9], off
	v_add_u32_e32 v4, s34, v4
	v_cmp_le_i32_e32 vcc, s7, v4
	v_add_u32_e32 v2, s37, v2
	s_or_b64 s[8:9], vcc, s[8:9]
	s_waitcnt vmcnt(0)
	v_mul_f32_e32 v12, v17, v11
	v_mul_f32_e32 v13, v16, v11
	v_fma_f32 v12, v16, v10, -v12
	v_fmac_f32_e32 v13, v17, v10
	global_store_dwordx2 v[8:9], v[12:13], off
	s_andn2_b64 exec, exec, s[8:9]
	s_cbranch_execnz .LBB73_3
.LBB73_4:
	s_or_b64 exec, exec, s[0:1]
	s_load_dwordx4 s[8:11], s[4:5], 0x68
	s_waitcnt lgkmcnt(0)
	s_ashr_i32 s35, s11, 31
	s_mov_b32 s34, s11
	s_or_b64 s[0:1], s[26:27], s[34:35]
	s_mov_b32 s0, 0
	s_cmp_lg_u64 s[0:1], 0
	s_cbranch_scc0 .LBB73_62
; %bb.5:
	s_add_u32 s0, s34, s35
	s_mov_b32 s22, s35
	s_mov_b32 s23, s35
	s_addc_u32 s1, s35, s35
	s_xor_b64 s[36:37], s[0:1], s[22:23]
	v_cvt_f32_u32_e32 v2, s36
	v_cvt_f32_u32_e32 v3, s37
	s_sub_u32 s0, 0, s36
	s_subb_u32 s1, 0, s37
	v_madmk_f32 v2, v3, 0x4f800000, v2
	v_rcp_f32_e32 v2, v2
	v_mul_f32_e32 v2, 0x5f7ffffc, v2
	v_mul_f32_e32 v3, 0x2f800000, v2
	v_trunc_f32_e32 v3, v3
	v_madmk_f32 v2, v3, 0xcf800000, v2
	v_cvt_u32_f32_e32 v3, v3
	v_cvt_u32_f32_e32 v2, v2
	v_readfirstlane_b32 s7, v3
	v_readfirstlane_b32 s11, v2
	s_mul_i32 s21, s0, s7
	s_mul_hi_u32 s38, s0, s11
	s_mul_i32 s33, s1, s11
	s_add_i32 s21, s38, s21
	s_add_i32 s21, s21, s33
	s_mul_i32 s39, s0, s11
	s_mul_hi_u32 s33, s11, s21
	s_mul_i32 s38, s11, s21
	s_mul_hi_u32 s11, s11, s39
	s_add_u32 s11, s11, s38
	s_addc_u32 s33, 0, s33
	s_mul_hi_u32 s40, s7, s39
	s_mul_i32 s39, s7, s39
	s_add_u32 s11, s11, s39
	s_mul_hi_u32 s38, s7, s21
	s_addc_u32 s11, s33, s40
	s_addc_u32 s33, s38, 0
	s_mul_i32 s21, s7, s21
	s_add_u32 s11, s11, s21
	s_addc_u32 s21, 0, s33
	v_add_co_u32_e32 v2, vcc, s11, v2
	s_cmp_lg_u64 vcc, 0
	s_addc_u32 s7, s7, s21
	v_readfirstlane_b32 s21, v2
	s_mul_i32 s11, s0, s7
	s_mul_hi_u32 s33, s0, s21
	s_add_i32 s11, s33, s11
	s_mul_i32 s1, s1, s21
	s_add_i32 s11, s11, s1
	s_mul_i32 s0, s0, s21
	s_mul_hi_u32 s33, s7, s0
	s_mul_i32 s38, s7, s0
	s_mul_i32 s40, s21, s11
	s_mul_hi_u32 s0, s21, s0
	s_mul_hi_u32 s39, s21, s11
	s_add_u32 s0, s0, s40
	s_addc_u32 s21, 0, s39
	s_add_u32 s0, s0, s38
	s_mul_hi_u32 s1, s7, s11
	s_addc_u32 s0, s21, s33
	s_addc_u32 s1, s1, 0
	s_mul_i32 s11, s7, s11
	s_add_u32 s0, s0, s11
	s_addc_u32 s1, 0, s1
	v_add_co_u32_e32 v2, vcc, s0, v2
	s_cmp_lg_u64 vcc, 0
	s_addc_u32 s7, s7, s1
	s_ashr_i32 s38, s27, 31
	s_add_u32 s0, s26, s38
	s_mov_b32 s39, s38
	s_addc_u32 s1, s27, s38
	s_xor_b64 s[40:41], s[0:1], s[38:39]
	v_readfirstlane_b32 s11, v2
	s_mul_i32 s1, s40, s7
	s_mul_hi_u32 s21, s40, s11
	s_mul_hi_u32 s0, s40, s7
	s_add_u32 s1, s21, s1
	s_addc_u32 s0, 0, s0
	s_mul_hi_u32 s33, s41, s11
	s_mul_i32 s11, s41, s11
	s_add_u32 s1, s1, s11
	s_mul_hi_u32 s21, s41, s7
	s_addc_u32 s0, s0, s33
	s_addc_u32 s1, s21, 0
	s_mul_i32 s7, s41, s7
	s_add_u32 s7, s0, s7
	s_addc_u32 s11, 0, s1
	s_mul_i32 s0, s36, s11
	s_mul_hi_u32 s1, s36, s7
	s_add_i32 s0, s1, s0
	s_mul_i32 s1, s37, s7
	s_add_i32 s21, s0, s1
	s_mul_i32 s1, s36, s7
	v_mov_b32_e32 v2, s1
	s_sub_i32 s0, s41, s21
	v_sub_co_u32_e32 v2, vcc, s40, v2
	s_cmp_lg_u64 vcc, 0
	s_subb_u32 s33, s0, s37
	v_subrev_co_u32_e64 v3, s[0:1], s36, v2
	s_cmp_lg_u64 s[0:1], 0
	s_subb_u32 s0, s33, 0
	s_cmp_ge_u32 s0, s37
	v_readfirstlane_b32 s33, v3
	s_cselect_b32 s1, -1, 0
	s_cmp_ge_u32 s33, s36
	s_cselect_b32 s33, -1, 0
	s_cmp_eq_u32 s0, s37
	s_cselect_b32 s0, s33, s1
	s_add_u32 s1, s7, 1
	s_addc_u32 s33, s11, 0
	s_add_u32 s40, s7, 2
	s_addc_u32 s42, s11, 0
	s_cmp_lg_u32 s0, 0
	s_cselect_b32 s0, s40, s1
	s_cselect_b32 s1, s42, s33
	s_cmp_lg_u64 vcc, 0
	s_subb_u32 s21, s41, s21
	s_cmp_ge_u32 s21, s37
	v_readfirstlane_b32 s40, v2
	s_cselect_b32 s33, -1, 0
	s_cmp_ge_u32 s40, s36
	s_cselect_b32 s36, -1, 0
	s_cmp_eq_u32 s21, s37
	s_cselect_b32 s21, s36, s33
	s_cmp_lg_u32 s21, 0
	s_cselect_b32 s1, s1, s11
	s_cselect_b32 s0, s0, s7
	s_xor_b64 s[22:23], s[38:39], s[22:23]
	s_xor_b64 s[0:1], s[0:1], s[22:23]
	s_sub_u32 s22, s0, s22
	s_subb_u32 s23, s1, s23
	s_cbranch_execnz .LBB73_7
.LBB73_6:
	v_cvt_f32_u32_e32 v2, s34
	s_sub_i32 s0, 0, s34
	s_mov_b32 s23, 0
	v_rcp_iflag_f32_e32 v2, v2
	v_mul_f32_e32 v2, 0x4f7ffffe, v2
	v_cvt_u32_f32_e32 v2, v2
	v_readfirstlane_b32 s1, v2
	s_mul_i32 s0, s0, s1
	s_mul_hi_u32 s0, s1, s0
	s_add_i32 s1, s1, s0
	s_mul_hi_u32 s0, s26, s1
	s_mul_i32 s7, s0, s34
	s_sub_i32 s7, s26, s7
	s_add_i32 s1, s0, 1
	s_sub_i32 s11, s7, s34
	s_cmp_ge_u32 s7, s34
	s_cselect_b32 s0, s1, s0
	s_cselect_b32 s7, s11, s7
	s_add_i32 s1, s0, 1
	s_cmp_ge_u32 s7, s34
	s_cselect_b32 s22, s1, s0
.LBB73_7:
	s_mul_i32 s0, s22, s35
	s_mul_hi_u32 s1, s22, s34
	s_load_dwordx2 s[24:25], s[4:5], 0x78
	s_add_i32 s0, s1, s0
	s_mul_i32 s1, s23, s34
	s_add_i32 s0, s0, s1
	s_mul_i32 s1, s22, s34
	s_sub_u32 s7, s26, s1
	s_subb_u32 s11, s27, s0
	v_cmp_gt_i32_e32 vcc, s20, v0
	s_mul_hi_u32 s42, s22, s8
	s_mul_i32 s43, s23, s8
	s_mul_i32 s44, s22, s8
	s_mul_hi_u32 s33, s7, s9
	s_mul_i32 s11, s11, s9
	s_mul_i32 s23, s7, s9
	s_and_saveexec_b64 s[26:27], vcc
	s_cbranch_execz .LBB73_42
; %bb.8:
	s_ashr_i32 s0, s8, 31
	s_mul_i32 s0, s22, s0
	s_load_dword s1, s[4:5], 0x8c
	s_add_i32 s0, s42, s0
	s_add_i32 s34, s0, s43
	s_ashr_i32 s0, s9, 31
	s_mul_i32 s0, s7, s0
	s_add_i32 s0, s33, s0
	s_ashr_i32 s21, s20, 31
	s_add_i32 s35, s0, s11
	s_ashr_i32 s36, s10, 31
	s_waitcnt lgkmcnt(0)
	s_and_b32 s46, s1, 0xffff
	s_lshl_b64 s[0:1], s[30:31], 2
	s_add_u32 s0, s28, s0
	v_lshlrev_b32_e32 v2, 2, v0
	s_addc_u32 s1, s29, s1
	s_lshl_b32 s48, s46, 2
	s_lshl_b64 s[28:29], s[20:21], 2
	v_add_co_u32_e32 v2, vcc, s0, v2
	s_add_u32 s0, s44, s23
	v_mov_b32_e32 v3, s1
	s_addc_u32 s1, s34, s35
	s_add_u32 s21, s2, s10
	s_addc_u32 s30, s3, s36
	s_add_u32 s0, s21, s0
	v_addc_co_u32_e32 v3, vcc, 0, v3, vcc
	s_addc_u32 s1, s30, s1
	v_mov_b32_e32 v4, s1
	v_add_co_u32_e32 v1, vcc, s0, v1
	s_mul_i32 s0, s13, s6
	s_mul_hi_u32 s1, s12, s6
	s_add_i32 s1, s1, s0
	s_mul_i32 s0, s12, s6
	v_addc_co_u32_e32 v5, vcc, 0, v4, vcc
	s_lshl_b32 s21, s46, 1
	s_lshl_b64 s[0:1], s[0:1], 2
	v_add_co_u32_e32 v4, vcc, 1, v1
	s_add_u32 s0, s16, s0
	s_load_dword s45, s[24:25], 0x0
	v_addc_co_u32_e32 v5, vcc, 0, v5, vcc
	v_lshlrev_b32_e32 v1, 3, v0
	s_addc_u32 s1, s17, s1
	v_mov_b32_e32 v6, s1
	v_add_co_u32_e32 v1, vcc, s0, v1
	v_addc_co_u32_e32 v7, vcc, 0, v6, vcc
	s_mov_b32 s47, 0
	v_add_co_u32_e32 v6, vcc, 4, v1
	s_mov_b32 s49, s47
	v_addc_co_u32_e32 v7, vcc, 0, v7, vcc
	s_lshl_b32 s50, s46, 3
	s_mov_b32 s51, s47
	s_mov_b64 s[12:13], 0
	v_mov_b32_e32 v1, s29
	v_mov_b32_e32 v9, 0
	s_movk_i32 s29, 0x80
	s_mov_b64 s[16:17], 0x7f800000
	s_mov_b64 s[30:31], 0x43e00001
	s_movk_i32 s52, 0x7a
	s_mov_b64 s[34:35], 0xffffff
	s_movk_i32 s53, 0x7f
	v_mov_b32_e32 v14, 0xffffff82
	v_mov_b32_e32 v15, 0x78
	;; [unrolled: 1-line block ×3, first 2 shown]
	s_branch .LBB73_10
.LBB73_9:                               ;   in Loop: Header=BB73_10 Depth=1
	s_or_b64 exec, exec, s[0:1]
	v_mov_b32_e32 v8, s47
	v_add_co_u32_e32 v2, vcc, s48, v2
	v_addc_co_u32_e32 v3, vcc, v3, v8, vcc
	global_store_byte v[4:5], v11, off
	v_mov_b32_e32 v8, s49
	v_add_co_u32_e32 v4, vcc, s21, v4
	v_add_u32_e32 v16, s46, v16
	v_addc_co_u32_e32 v5, vcc, v5, v8, vcc
	v_cmp_le_i32_e32 vcc, s20, v16
	v_mov_b32_e32 v8, s51
	s_or_b64 s[12:13], vcc, s[12:13]
	v_add_co_u32_e32 v6, vcc, s50, v6
	v_addc_co_u32_e32 v7, vcc, v7, v8, vcc
	s_andn2_b64 exec, exec, s[12:13]
	s_cbranch_execz .LBB73_42
.LBB73_10:                              ; =>This Inner Loop Header: Depth=1
	v_add_co_u32_e32 v10, vcc, s28, v2
	v_addc_co_u32_e32 v11, vcc, v3, v1, vcc
	global_load_dword v8, v[10:11], off
	global_load_dwordx2 v[18:19], v[6:7], off offset:-4
	global_load_dword v13, v[2:3], off
	s_waitcnt vmcnt(1)
	v_mul_f32_e32 v10, v8, v19
	s_waitcnt vmcnt(0)
	v_fma_f32 v10, v13, v18, -v10
	v_cvt_f32_f16_e32 v11, v10
	s_waitcnt lgkmcnt(0)
	v_div_scale_f32 v12, s[0:1], s45, s45, v11
	v_rcp_f32_e32 v17, v12
	v_div_scale_f32 v20, vcc, v11, s45, v11
	v_fma_f32 v21, -v12, v17, 1.0
	v_fmac_f32_e32 v17, v21, v17
	v_mul_f32_e32 v21, v20, v17
	v_fma_f32 v22, -v12, v21, v20
	v_fmac_f32_e32 v21, v22, v17
	v_fma_f32 v12, -v12, v21, v20
	v_div_fmas_f32 v12, v12, v17, v21
	v_div_fixup_f32 v11, v12, s45, v11
	v_cvt_f16_f32_e32 v11, v11
	v_mov_b32_e32 v21, v9
	v_cvt_f32_f16_e32 v12, v11
	v_mul_f32_e32 v11, v13, v19
	v_fmac_f32_e32 v11, v8, v18
	global_store_dwordx2 v[6:7], v[10:11], off offset:-4
	v_and_b32_sdwa v10, v12, s29 dst_sel:DWORD dst_unused:UNUSED_PAD src0_sel:BYTE_3 src1_sel:DWORD
	v_and_b32_e32 v20, 0x7f800000, v12
	v_and_b32_e32 v8, 0x7fffff, v12
	v_or_b32_e32 v13, 0x7e, v10
	v_cmp_ne_u64_e32 vcc, s[16:17], v[20:21]
	s_and_saveexec_b64 s[0:1], vcc
	s_xor_b64 s[36:37], exec, s[0:1]
	s_cbranch_execz .LBB73_24
; %bb.11:                               ;   in Loop: Header=BB73_10 Depth=1
	v_and_b32_e32 v18, 0x7fffffff, v12
	v_mov_b32_e32 v19, v9
	v_cmp_gt_u64_e32 vcc, s[30:31], v[18:19]
	s_and_saveexec_b64 s[0:1], vcc
	s_xor_b64 s[38:39], exec, s[0:1]
	s_cbranch_execz .LBB73_23
; %bb.12:                               ;   in Loop: Header=BB73_10 Depth=1
	v_cmp_ne_u32_e32 vcc, 0, v12
	v_mov_b32_e32 v13, 0
	s_and_saveexec_b64 s[40:41], vcc
	s_cbranch_execz .LBB73_22
; %bb.13:                               ;   in Loop: Header=BB73_10 Depth=1
	v_bfe_u32 v12, v12, 23, 8
	v_sub_u32_e32 v17, 0x79, v12
	v_cmp_gt_u32_e32 vcc, s52, v12
	v_cndmask_b32_e32 v17, 0, v17, vcc
	v_cmp_eq_u32_e32 vcc, 0, v12
	v_cndmask_b32_e32 v17, v17, v15, vcc
	v_add_u32_e32 v13, 0xffffff81, v12
	v_or_b32_e32 v18, 0x800000, v8
	v_add_u32_e32 v12, 20, v17
	v_cndmask_b32_e32 v19, v13, v14, vcc
	v_cndmask_b32_e32 v8, v18, v8, vcc
	v_lshlrev_b64 v[12:13], v12, -1
	v_not_b32_e32 v12, v12
	v_lshrrev_b64 v[22:23], v17, v[8:9]
	v_not_b32_e32 v13, v13
	v_and_b32_e32 v12, v8, v12
	v_add_u32_e32 v18, 19, v17
	v_lshrrev_b32_e32 v8, 23, v22
	v_and_b32_e32 v13, 0, v13
	v_lshlrev_b64 v[20:21], v18, 1
	v_add3_u32 v18, v17, v19, v8
	v_bfe_u32 v8, v22, 20, 1
	v_add_u32_e32 v8, -1, v8
	v_cmp_eq_u64_e32 vcc, v[12:13], v[20:21]
	v_cndmask_b32_e32 v8, 0, v8, vcc
	v_add_u32_e32 v8, v8, v22
	v_and_b32_e32 v8, 0xfffff, v8
	v_add_co_u32_e32 v12, vcc, v8, v22
	v_add_u32_e32 v17, 6, v18
	v_addc_co_u32_e32 v13, vcc, 0, v23, vcc
	v_cmp_ne_u32_e32 vcc, 0, v17
                                        ; implicit-def: $vgpr8
	s_and_saveexec_b64 s[0:1], vcc
	s_xor_b64 s[0:1], exec, s[0:1]
; %bb.14:                               ;   in Loop: Header=BB73_10 Depth=1
	v_add_u32_e32 v8, 7, v18
	v_cmp_lt_u64_e32 vcc, s[34:35], v[12:13]
	v_cndmask_b32_e32 v8, v17, v8, vcc
	v_cndmask_b32_e64 v17, 0, 1, vcc
	v_lshrrev_b64 v[12:13], v17, v[12:13]
; %bb.15:                               ;   in Loop: Header=BB73_10 Depth=1
	s_andn2_saveexec_b64 s[0:1], s[0:1]
; %bb.16:                               ;   in Loop: Header=BB73_10 Depth=1
	v_bfe_u32 v8, v12, 23, 1
; %bb.17:                               ;   in Loop: Header=BB73_10 Depth=1
	s_or_b64 exec, exec, s[0:1]
	v_lshrrev_b64 v[12:13], 20, v[12:13]
	v_cmp_gt_i32_e32 vcc, 16, v8
	v_cndmask_b32_e32 v13, 0, v13, vcc
	v_cndmask_b32_e32 v12, 7, v12, vcc
	v_cmp_ne_u32_e32 vcc, 0, v8
	v_cmp_ne_u64_e64 s[0:1], 0, v[12:13]
	s_or_b64 s[0:1], vcc, s[0:1]
                                        ; implicit-def: $vgpr13
	s_and_saveexec_b64 s[54:55], s[0:1]
	s_xor_b64 s[0:1], exec, s[54:55]
; %bb.18:                               ;   in Loop: Header=BB73_10 Depth=1
	v_min_i32_e32 v8, 15, v8
	v_lshl_or_b32 v8, v8, 3, v10
	v_and_or_b32 v13, v12, 7, v8
                                        ; implicit-def: $vgpr10
; %bb.19:                               ;   in Loop: Header=BB73_10 Depth=1
	s_andn2_saveexec_b64 s[0:1], s[0:1]
; %bb.20:                               ;   in Loop: Header=BB73_10 Depth=1
	v_mov_b32_e32 v13, v10
; %bb.21:                               ;   in Loop: Header=BB73_10 Depth=1
	s_or_b64 exec, exec, s[0:1]
.LBB73_22:                              ;   in Loop: Header=BB73_10 Depth=1
	s_or_b64 exec, exec, s[40:41]
.LBB73_23:                              ;   in Loop: Header=BB73_10 Depth=1
	s_andn2_saveexec_b64 s[0:1], s[38:39]
	s_or_b64 exec, exec, s[0:1]
                                        ; implicit-def: $vgpr12
.LBB73_24:                              ;   in Loop: Header=BB73_10 Depth=1
	s_andn2_saveexec_b64 s[0:1], s[36:37]
; %bb.25:                               ;   in Loop: Header=BB73_10 Depth=1
	v_or_b32_sdwa v10, v12, s53 dst_sel:DWORD dst_unused:UNUSED_PAD src0_sel:BYTE_3 src1_sel:DWORD
	v_cmp_eq_u64_e32 vcc, 0, v[8:9]
	v_cndmask_b32_e32 v13, v10, v13, vcc
; %bb.26:                               ;   in Loop: Header=BB73_10 Depth=1
	s_or_b64 exec, exec, s[0:1]
	v_cvt_f32_f16_e32 v8, v11
	v_mov_b32_e32 v19, v9
	global_store_byte v[4:5], v13, off offset:-1
	v_div_scale_f32 v10, s[0:1], s45, s45, v8
	v_rcp_f32_e32 v11, v10
	v_div_scale_f32 v12, vcc, v8, s45, v8
	v_fma_f32 v17, -v10, v11, 1.0
	v_fmac_f32_e32 v11, v17, v11
	v_mul_f32_e32 v17, v12, v11
	v_fma_f32 v18, -v10, v17, v12
	v_fmac_f32_e32 v17, v18, v11
	v_fma_f32 v10, -v10, v17, v12
	v_div_fmas_f32 v10, v10, v11, v17
	v_div_fixup_f32 v8, v10, s45, v8
	v_cvt_f16_f32_e32 v8, v8
	v_cvt_f32_f16_e32 v10, v8
	v_and_b32_sdwa v12, v10, s29 dst_sel:DWORD dst_unused:UNUSED_PAD src0_sel:BYTE_3 src1_sel:DWORD
	v_and_b32_e32 v18, 0x7f800000, v10
	v_and_b32_e32 v8, 0x7fffff, v10
	v_or_b32_e32 v11, 0x7e, v12
	v_cmp_ne_u64_e32 vcc, s[16:17], v[18:19]
	s_and_saveexec_b64 s[0:1], vcc
	s_xor_b64 s[36:37], exec, s[0:1]
	s_cbranch_execz .LBB73_40
; %bb.27:                               ;   in Loop: Header=BB73_10 Depth=1
	v_and_b32_e32 v18, 0x7fffffff, v10
	v_mov_b32_e32 v19, v9
	v_cmp_gt_u64_e32 vcc, s[30:31], v[18:19]
	s_and_saveexec_b64 s[0:1], vcc
	s_xor_b64 s[38:39], exec, s[0:1]
	s_cbranch_execz .LBB73_39
; %bb.28:                               ;   in Loop: Header=BB73_10 Depth=1
	v_cmp_ne_u32_e32 vcc, 0, v10
	v_mov_b32_e32 v11, 0
	s_and_saveexec_b64 s[40:41], vcc
	s_cbranch_execz .LBB73_38
; %bb.29:                               ;   in Loop: Header=BB73_10 Depth=1
	v_bfe_u32 v10, v10, 23, 8
	v_sub_u32_e32 v13, 0x79, v10
	v_cmp_gt_u32_e32 vcc, s52, v10
	v_cndmask_b32_e32 v13, 0, v13, vcc
	v_cmp_eq_u32_e32 vcc, 0, v10
	v_cndmask_b32_e32 v13, v13, v15, vcc
	v_add_u32_e32 v11, 0xffffff81, v10
	v_or_b32_e32 v17, 0x800000, v8
	v_add_u32_e32 v10, 20, v13
	v_cndmask_b32_e32 v22, v11, v14, vcc
	v_cndmask_b32_e32 v8, v17, v8, vcc
	v_lshlrev_b64 v[10:11], v10, -1
	v_not_b32_e32 v10, v10
	v_lshrrev_b64 v[20:21], v13, v[8:9]
	v_not_b32_e32 v11, v11
	v_and_b32_e32 v10, v8, v10
	v_add_u32_e32 v17, 19, v13
	v_lshrrev_b32_e32 v8, 23, v20
	v_and_b32_e32 v11, 0, v11
	v_lshlrev_b64 v[18:19], v17, 1
	v_add3_u32 v17, v13, v22, v8
	v_bfe_u32 v8, v20, 20, 1
	v_add_u32_e32 v8, -1, v8
	v_cmp_eq_u64_e32 vcc, v[10:11], v[18:19]
	v_cndmask_b32_e32 v8, 0, v8, vcc
	v_add_u32_e32 v8, v8, v20
	v_and_b32_e32 v8, 0xfffff, v8
	v_add_co_u32_e32 v10, vcc, v8, v20
	v_add_u32_e32 v13, 6, v17
	v_addc_co_u32_e32 v11, vcc, 0, v21, vcc
	v_cmp_ne_u32_e32 vcc, 0, v13
                                        ; implicit-def: $vgpr8
	s_and_saveexec_b64 s[0:1], vcc
	s_xor_b64 s[0:1], exec, s[0:1]
; %bb.30:                               ;   in Loop: Header=BB73_10 Depth=1
	v_add_u32_e32 v8, 7, v17
	v_cmp_lt_u64_e32 vcc, s[34:35], v[10:11]
	v_cndmask_b32_e32 v8, v13, v8, vcc
	v_cndmask_b32_e64 v13, 0, 1, vcc
	v_lshrrev_b64 v[10:11], v13, v[10:11]
; %bb.31:                               ;   in Loop: Header=BB73_10 Depth=1
	s_andn2_saveexec_b64 s[0:1], s[0:1]
; %bb.32:                               ;   in Loop: Header=BB73_10 Depth=1
	v_bfe_u32 v8, v10, 23, 1
; %bb.33:                               ;   in Loop: Header=BB73_10 Depth=1
	s_or_b64 exec, exec, s[0:1]
	v_lshrrev_b64 v[10:11], 20, v[10:11]
	v_cmp_gt_i32_e32 vcc, 16, v8
	v_cndmask_b32_e32 v11, 0, v11, vcc
	v_cndmask_b32_e32 v10, 7, v10, vcc
	v_cmp_ne_u32_e32 vcc, 0, v8
	v_cmp_ne_u64_e64 s[0:1], 0, v[10:11]
	s_or_b64 s[0:1], vcc, s[0:1]
                                        ; implicit-def: $vgpr11
	s_and_saveexec_b64 s[54:55], s[0:1]
	s_xor_b64 s[0:1], exec, s[54:55]
; %bb.34:                               ;   in Loop: Header=BB73_10 Depth=1
	v_min_i32_e32 v8, 15, v8
	v_lshl_or_b32 v8, v8, 3, v12
	v_and_or_b32 v11, v10, 7, v8
                                        ; implicit-def: $vgpr12
; %bb.35:                               ;   in Loop: Header=BB73_10 Depth=1
	s_andn2_saveexec_b64 s[0:1], s[0:1]
; %bb.36:                               ;   in Loop: Header=BB73_10 Depth=1
	v_mov_b32_e32 v11, v12
; %bb.37:                               ;   in Loop: Header=BB73_10 Depth=1
	s_or_b64 exec, exec, s[0:1]
.LBB73_38:                              ;   in Loop: Header=BB73_10 Depth=1
	s_or_b64 exec, exec, s[40:41]
.LBB73_39:                              ;   in Loop: Header=BB73_10 Depth=1
	s_andn2_saveexec_b64 s[0:1], s[38:39]
	s_or_b64 exec, exec, s[0:1]
                                        ; implicit-def: $vgpr10
.LBB73_40:                              ;   in Loop: Header=BB73_10 Depth=1
	s_andn2_saveexec_b64 s[0:1], s[36:37]
	s_cbranch_execz .LBB73_9
; %bb.41:                               ;   in Loop: Header=BB73_10 Depth=1
	v_or_b32_sdwa v10, v10, s53 dst_sel:DWORD dst_unused:UNUSED_PAD src0_sel:BYTE_3 src1_sel:DWORD
	v_cmp_eq_u64_e32 vcc, 0, v[8:9]
	v_cndmask_b32_e32 v11, v10, v11, vcc
	s_branch .LBB73_9
.LBB73_42:
	s_or_b64 exec, exec, s[26:27]
	v_cmp_gt_i32_e32 vcc, s10, v0
	s_and_saveexec_b64 s[0:1], vcc
	s_cbranch_execz .LBB73_61
; %bb.43:
	s_mul_i32 s0, s6, s15
	s_mul_hi_u32 s1, s6, s14
	s_add_i32 s1, s1, s0
	s_mul_i32 s0, s6, s14
	s_lshl_b64 s[0:1], s[0:1], 2
	s_add_u32 s18, s18, s0
	s_addc_u32 s0, s19, s1
	s_ashr_i32 s1, s8, 31
	s_mul_i32 s1, s22, s1
	s_add_i32 s1, s42, s1
	s_add_i32 s1, s1, s43
	s_add_u32 s2, s2, s44
	s_addc_u32 s1, s3, s1
	s_ashr_i32 s3, s9, 31
	s_load_dword s4, s[4:5], 0x8c
	s_mul_i32 s7, s7, s3
	s_waitcnt lgkmcnt(0)
	s_load_dword s20, s[24:25], 0x0
	s_add_i32 s3, s33, s7
	s_add_i32 s3, s3, s11
	s_add_u32 s11, s2, s23
	s_addc_u32 s19, s1, s3
	s_and_b32 s21, s4, 0xffff
	s_mov_b64 s[2:3], 0
	v_mov_b32_e32 v6, s0
	v_mov_b32_e32 v3, 0
	s_movk_i32 s22, 0x80
	s_mov_b64 s[4:5], 0x7f800000
	s_mov_b64 s[6:7], 0x43e00001
	s_movk_i32 s23, 0x7a
	s_mov_b64 s[8:9], 0xffffff
	s_movk_i32 s24, 0x7f
	v_mov_b32_e32 v7, 0xffffff82
	v_mov_b32_e32 v8, 0x78
	s_branch .LBB73_45
.LBB73_44:                              ;   in Loop: Header=BB73_45 Depth=1
	s_or_b64 exec, exec, s[0:1]
	v_mov_b32_e32 v2, s19
	v_add_co_u32_e32 v10, vcc, s11, v0
	v_addc_co_u32_e32 v11, vcc, v2, v1, vcc
	v_add_u32_e32 v0, s21, v0
	v_cmp_le_i32_e32 vcc, s10, v0
	s_or_b64 s[2:3], vcc, s[2:3]
	global_store_byte v[10:11], v5, off
	s_andn2_b64 exec, exec, s[2:3]
	s_cbranch_execz .LBB73_61
.LBB73_45:                              ; =>This Inner Loop Header: Depth=1
	v_ashrrev_i32_e32 v1, 31, v0
	v_lshlrev_b64 v[4:5], 2, v[0:1]
	v_add_co_u32_e32 v4, vcc, s18, v4
	v_addc_co_u32_e32 v5, vcc, v6, v5, vcc
	global_load_ushort v2, v[4:5], off
	s_waitcnt vmcnt(0)
	v_cvt_f32_f16_e32 v2, v2
	s_waitcnt lgkmcnt(0)
	v_div_scale_f32 v4, s[0:1], s20, s20, v2
	v_rcp_f32_e32 v5, v4
	v_div_scale_f32 v9, vcc, v2, s20, v2
	v_fma_f32 v10, -v4, v5, 1.0
	v_fmac_f32_e32 v5, v10, v5
	v_mul_f32_e32 v10, v9, v5
	v_fma_f32 v11, -v4, v10, v9
	v_fmac_f32_e32 v10, v11, v5
	v_fma_f32 v4, -v4, v10, v9
	v_div_fmas_f32 v4, v4, v5, v10
	v_div_fixup_f32 v2, v4, s20, v2
	v_cvt_f16_f32_e32 v2, v2
	v_mov_b32_e32 v11, v3
	v_cvt_f32_f16_e32 v4, v2
	v_and_b32_sdwa v9, v4, s22 dst_sel:DWORD dst_unused:UNUSED_PAD src0_sel:BYTE_3 src1_sel:DWORD
	v_and_b32_e32 v10, 0x7f800000, v4
	v_and_b32_e32 v2, 0x7fffff, v4
	v_or_b32_e32 v5, 0x7e, v9
	v_cmp_ne_u64_e32 vcc, s[4:5], v[10:11]
	s_and_saveexec_b64 s[0:1], vcc
	s_xor_b64 s[12:13], exec, s[0:1]
	s_cbranch_execz .LBB73_59
; %bb.46:                               ;   in Loop: Header=BB73_45 Depth=1
	v_and_b32_e32 v10, 0x7fffffff, v4
	v_mov_b32_e32 v11, v3
	v_cmp_gt_u64_e32 vcc, s[6:7], v[10:11]
	s_and_saveexec_b64 s[0:1], vcc
	s_xor_b64 s[14:15], exec, s[0:1]
	s_cbranch_execz .LBB73_58
; %bb.47:                               ;   in Loop: Header=BB73_45 Depth=1
	v_cmp_ne_u32_e32 vcc, 0, v4
	v_mov_b32_e32 v5, 0
	s_and_saveexec_b64 s[16:17], vcc
	s_cbranch_execz .LBB73_57
; %bb.48:                               ;   in Loop: Header=BB73_45 Depth=1
	v_bfe_u32 v4, v4, 23, 8
	v_sub_u32_e32 v10, 0x79, v4
	v_cmp_gt_u32_e32 vcc, s23, v4
	v_cndmask_b32_e32 v10, 0, v10, vcc
	v_cmp_eq_u32_e32 vcc, 0, v4
	v_cndmask_b32_e32 v10, v10, v8, vcc
	v_add_u32_e32 v5, 0xffffff81, v4
	v_or_b32_e32 v11, 0x800000, v2
	v_add_u32_e32 v4, 20, v10
	v_cndmask_b32_e32 v16, v5, v7, vcc
	v_cndmask_b32_e32 v2, v11, v2, vcc
	v_lshlrev_b64 v[4:5], v4, -1
	v_not_b32_e32 v4, v4
	v_lshrrev_b64 v[14:15], v10, v[2:3]
	v_not_b32_e32 v5, v5
	v_and_b32_e32 v4, v2, v4
	v_add_u32_e32 v11, 19, v10
	v_lshrrev_b32_e32 v2, 23, v14
	v_and_b32_e32 v5, 0, v5
	v_lshlrev_b64 v[12:13], v11, 1
	v_add3_u32 v11, v10, v16, v2
	v_bfe_u32 v2, v14, 20, 1
	v_add_u32_e32 v2, -1, v2
	v_cmp_eq_u64_e32 vcc, v[4:5], v[12:13]
	v_cndmask_b32_e32 v2, 0, v2, vcc
	v_add_u32_e32 v2, v2, v14
	v_and_b32_e32 v2, 0xfffff, v2
	v_add_co_u32_e32 v4, vcc, v2, v14
	v_add_u32_e32 v10, 6, v11
	v_addc_co_u32_e32 v5, vcc, 0, v15, vcc
	v_cmp_ne_u32_e32 vcc, 0, v10
                                        ; implicit-def: $vgpr2
	s_and_saveexec_b64 s[0:1], vcc
	s_xor_b64 s[0:1], exec, s[0:1]
; %bb.49:                               ;   in Loop: Header=BB73_45 Depth=1
	v_add_u32_e32 v2, 7, v11
	v_cmp_lt_u64_e32 vcc, s[8:9], v[4:5]
	v_cndmask_b32_e32 v2, v10, v2, vcc
	v_cndmask_b32_e64 v10, 0, 1, vcc
	v_lshrrev_b64 v[4:5], v10, v[4:5]
; %bb.50:                               ;   in Loop: Header=BB73_45 Depth=1
	s_andn2_saveexec_b64 s[0:1], s[0:1]
; %bb.51:                               ;   in Loop: Header=BB73_45 Depth=1
	v_bfe_u32 v2, v4, 23, 1
; %bb.52:                               ;   in Loop: Header=BB73_45 Depth=1
	s_or_b64 exec, exec, s[0:1]
	v_lshrrev_b64 v[4:5], 20, v[4:5]
	v_cmp_gt_i32_e32 vcc, 16, v2
	v_cndmask_b32_e32 v5, 0, v5, vcc
	v_cndmask_b32_e32 v4, 7, v4, vcc
	v_cmp_ne_u32_e32 vcc, 0, v2
	v_cmp_ne_u64_e64 s[0:1], 0, v[4:5]
	s_or_b64 s[0:1], vcc, s[0:1]
                                        ; implicit-def: $vgpr5
	s_and_saveexec_b64 s[26:27], s[0:1]
	s_xor_b64 s[0:1], exec, s[26:27]
; %bb.53:                               ;   in Loop: Header=BB73_45 Depth=1
	v_min_i32_e32 v2, 15, v2
	v_lshl_or_b32 v2, v2, 3, v9
	v_and_or_b32 v5, v4, 7, v2
                                        ; implicit-def: $vgpr9
; %bb.54:                               ;   in Loop: Header=BB73_45 Depth=1
	s_andn2_saveexec_b64 s[0:1], s[0:1]
; %bb.55:                               ;   in Loop: Header=BB73_45 Depth=1
	v_mov_b32_e32 v5, v9
; %bb.56:                               ;   in Loop: Header=BB73_45 Depth=1
	s_or_b64 exec, exec, s[0:1]
.LBB73_57:                              ;   in Loop: Header=BB73_45 Depth=1
	s_or_b64 exec, exec, s[16:17]
.LBB73_58:                              ;   in Loop: Header=BB73_45 Depth=1
	s_andn2_saveexec_b64 s[0:1], s[14:15]
	s_or_b64 exec, exec, s[0:1]
                                        ; implicit-def: $vgpr4
.LBB73_59:                              ;   in Loop: Header=BB73_45 Depth=1
	s_andn2_saveexec_b64 s[0:1], s[12:13]
	s_cbranch_execz .LBB73_44
; %bb.60:                               ;   in Loop: Header=BB73_45 Depth=1
	v_or_b32_sdwa v4, v4, s24 dst_sel:DWORD dst_unused:UNUSED_PAD src0_sel:BYTE_3 src1_sel:DWORD
	v_cmp_eq_u64_e32 vcc, 0, v[2:3]
	v_cndmask_b32_e32 v5, v4, v5, vcc
	s_branch .LBB73_44
.LBB73_61:
	s_endpgm
.LBB73_62:
                                        ; implicit-def: $sgpr22_sgpr23
	s_branch .LBB73_6
	.section	.rodata,"a",@progbits
	.p2align	6, 0x0
	.amdhsa_kernel _ZN4vllm38concat_and_cache_mla_rope_fused_kernelIffLb0EthLNS_18Fp8KVCacheDataTypeE1EEEvPKlPT_S5_PKS4_PKT0_illlliPT3_S3_iiiiPKf
		.amdhsa_group_segment_fixed_size 0
		.amdhsa_private_segment_fixed_size 0
		.amdhsa_kernarg_size 384
		.amdhsa_user_sgpr_count 6
		.amdhsa_user_sgpr_private_segment_buffer 1
		.amdhsa_user_sgpr_dispatch_ptr 0
		.amdhsa_user_sgpr_queue_ptr 0
		.amdhsa_user_sgpr_kernarg_segment_ptr 1
		.amdhsa_user_sgpr_dispatch_id 0
		.amdhsa_user_sgpr_flat_scratch_init 0
		.amdhsa_user_sgpr_kernarg_preload_length 0
		.amdhsa_user_sgpr_kernarg_preload_offset 0
		.amdhsa_user_sgpr_private_segment_size 0
		.amdhsa_uses_dynamic_stack 0
		.amdhsa_system_sgpr_private_segment_wavefront_offset 0
		.amdhsa_system_sgpr_workgroup_id_x 1
		.amdhsa_system_sgpr_workgroup_id_y 0
		.amdhsa_system_sgpr_workgroup_id_z 0
		.amdhsa_system_sgpr_workgroup_info 0
		.amdhsa_system_vgpr_workitem_id 0
		.amdhsa_next_free_vgpr 24
		.amdhsa_next_free_sgpr 56
		.amdhsa_accum_offset 24
		.amdhsa_reserve_vcc 1
		.amdhsa_reserve_flat_scratch 0
		.amdhsa_float_round_mode_32 0
		.amdhsa_float_round_mode_16_64 0
		.amdhsa_float_denorm_mode_32 3
		.amdhsa_float_denorm_mode_16_64 3
		.amdhsa_dx10_clamp 1
		.amdhsa_ieee_mode 1
		.amdhsa_fp16_overflow 0
		.amdhsa_tg_split 0
		.amdhsa_exception_fp_ieee_invalid_op 0
		.amdhsa_exception_fp_denorm_src 0
		.amdhsa_exception_fp_ieee_div_zero 0
		.amdhsa_exception_fp_ieee_overflow 0
		.amdhsa_exception_fp_ieee_underflow 0
		.amdhsa_exception_fp_ieee_inexact 0
		.amdhsa_exception_int_div_zero 0
	.end_amdhsa_kernel
	.section	.text._ZN4vllm38concat_and_cache_mla_rope_fused_kernelIffLb0EthLNS_18Fp8KVCacheDataTypeE1EEEvPKlPT_S5_PKS4_PKT0_illlliPT3_S3_iiiiPKf,"axG",@progbits,_ZN4vllm38concat_and_cache_mla_rope_fused_kernelIffLb0EthLNS_18Fp8KVCacheDataTypeE1EEEvPKlPT_S5_PKS4_PKT0_illlliPT3_S3_iiiiPKf,comdat
.Lfunc_end73:
	.size	_ZN4vllm38concat_and_cache_mla_rope_fused_kernelIffLb0EthLNS_18Fp8KVCacheDataTypeE1EEEvPKlPT_S5_PKS4_PKT0_illlliPT3_S3_iiiiPKf, .Lfunc_end73-_ZN4vllm38concat_and_cache_mla_rope_fused_kernelIffLb0EthLNS_18Fp8KVCacheDataTypeE1EEEvPKlPT_S5_PKS4_PKT0_illlliPT3_S3_iiiiPKf
                                        ; -- End function
	.section	.AMDGPU.csdata,"",@progbits
; Kernel info:
; codeLenInByte = 3636
; NumSgprs: 60
; NumVgprs: 24
; NumAgprs: 0
; TotalNumVgprs: 24
; ScratchSize: 0
; MemoryBound: 0
; FloatMode: 240
; IeeeMode: 1
; LDSByteSize: 0 bytes/workgroup (compile time only)
; SGPRBlocks: 7
; VGPRBlocks: 2
; NumSGPRsForWavesPerEU: 60
; NumVGPRsForWavesPerEU: 24
; AccumOffset: 24
; Occupancy: 8
; WaveLimiterHint : 1
; COMPUTE_PGM_RSRC2:SCRATCH_EN: 0
; COMPUTE_PGM_RSRC2:USER_SGPR: 6
; COMPUTE_PGM_RSRC2:TRAP_HANDLER: 0
; COMPUTE_PGM_RSRC2:TGID_X_EN: 1
; COMPUTE_PGM_RSRC2:TGID_Y_EN: 0
; COMPUTE_PGM_RSRC2:TGID_Z_EN: 0
; COMPUTE_PGM_RSRC2:TIDIG_COMP_CNT: 0
; COMPUTE_PGM_RSRC3_GFX90A:ACCUM_OFFSET: 5
; COMPUTE_PGM_RSRC3_GFX90A:TG_SPLIT: 0
	.section	.text._ZN4vllm38concat_and_cache_mla_rope_fused_kernelIfN3c104HalfELb1EthLNS_18Fp8KVCacheDataTypeE1EEEvPKlPT_S7_PKS6_PKT0_illlliPT3_S5_iiiiPKf,"axG",@progbits,_ZN4vllm38concat_and_cache_mla_rope_fused_kernelIfN3c104HalfELb1EthLNS_18Fp8KVCacheDataTypeE1EEEvPKlPT_S7_PKS6_PKT0_illlliPT3_S5_iiiiPKf,comdat
	.protected	_ZN4vllm38concat_and_cache_mla_rope_fused_kernelIfN3c104HalfELb1EthLNS_18Fp8KVCacheDataTypeE1EEEvPKlPT_S7_PKS6_PKT0_illlliPT3_S5_iiiiPKf ; -- Begin function _ZN4vllm38concat_and_cache_mla_rope_fused_kernelIfN3c104HalfELb1EthLNS_18Fp8KVCacheDataTypeE1EEEvPKlPT_S7_PKS6_PKT0_illlliPT3_S5_iiiiPKf
	.globl	_ZN4vllm38concat_and_cache_mla_rope_fused_kernelIfN3c104HalfELb1EthLNS_18Fp8KVCacheDataTypeE1EEEvPKlPT_S7_PKS6_PKT0_illlliPT3_S5_iiiiPKf
	.p2align	8
	.type	_ZN4vllm38concat_and_cache_mla_rope_fused_kernelIfN3c104HalfELb1EthLNS_18Fp8KVCacheDataTypeE1EEEvPKlPT_S7_PKS6_PKT0_illlliPT3_S5_iiiiPKf,@function
_ZN4vllm38concat_and_cache_mla_rope_fused_kernelIfN3c104HalfELb1EthLNS_18Fp8KVCacheDataTypeE1EEEvPKlPT_S7_PKS6_PKT0_illlliPT3_S5_iiiiPKf: ; @_ZN4vllm38concat_and_cache_mla_rope_fused_kernelIfN3c104HalfELb1EthLNS_18Fp8KVCacheDataTypeE1EEEvPKlPT_S7_PKS6_PKT0_illlliPT3_S5_iiiiPKf
; %bb.0:
	s_load_dwordx2 s[2:3], s[4:5], 0x60
	s_mov_b32 s7, 0
	s_lshl_b64 s[0:1], s[6:7], 3
	s_waitcnt lgkmcnt(0)
	s_add_u32 s2, s2, s0
	s_addc_u32 s3, s3, s1
	s_load_dwordx2 s[26:27], s[2:3], 0x0
	s_waitcnt lgkmcnt(0)
	v_cmp_lt_i64_e64 s[2:3], s[26:27], 0
	s_and_b64 vcc, exec, s[2:3]
	s_cbranch_vccnz .LBB74_61
; %bb.1:
	s_load_dword s7, s[4:5], 0x28
	s_load_dwordx2 s[2:3], s[4:5], 0x0
	s_load_dwordx4 s[16:19], s[4:5], 0x10
	s_waitcnt lgkmcnt(0)
	s_ashr_i32 s22, s7, 31
	s_add_u32 s0, s2, s0
	s_addc_u32 s1, s3, s1
	s_load_dwordx2 s[20:21], s[0:1], 0x0
	s_load_dwordx2 s[28:29], s[4:5], 0x20
	s_load_dwordx8 s[8:15], s[4:5], 0x30
	s_load_dwordx2 s[2:3], s[4:5], 0x58
	s_load_dword s23, s[4:5], 0x50
	s_waitcnt lgkmcnt(0)
	s_mul_i32 s0, s20, s22
	s_mul_hi_u32 s1, s20, s7
	s_mul_i32 s21, s21, s7
	s_add_i32 s0, s1, s0
	s_add_i32 s31, s0, s21
	s_lshr_b32 s0, s7, 31
	s_mul_i32 s30, s20, s7
	s_add_i32 s7, s7, s0
	s_ashr_i32 s20, s7, 1
	s_mul_i32 s7, s20, s23
	v_cmp_gt_i32_e32 vcc, s7, v0
	s_and_saveexec_b64 s[0:1], vcc
	s_cbranch_execz .LBB74_4
; %bb.2:
	s_lshl_b64 s[22:23], s[30:31], 1
	s_add_u32 s33, s28, s22
	s_addc_u32 s24, s29, s23
	s_load_dwordx2 s[22:23], s[4:5], 0x8
	s_mul_i32 s9, s6, s9
	s_mul_hi_u32 s25, s6, s8
	s_add_i32 s9, s25, s9
	s_load_dword s25, s[4:5], 0x8c
	s_mul_i32 s8, s6, s8
	s_ashr_i32 s21, s20, 31
	s_lshl_b64 s[8:9], s[8:9], 2
	s_waitcnt lgkmcnt(0)
	s_add_u32 s34, s22, s8
	s_addc_u32 s38, s23, s9
	s_abs_i32 s35, s20
	v_cvt_f32_u32_e32 v1, s35
	s_sub_i32 s8, 0, s35
	s_and_b32 s36, s25, 0xffff
	v_mov_b32_e32 v3, s24
	v_rcp_iflag_f32_e32 v1, v1
	s_lshl_b64 s[22:23], s[20:21], 1
	s_lshl_b64 s[24:25], s[20:21], 2
	s_sub_i32 s37, 0, s20
	v_mul_f32_e32 v1, 0x4f7ffffe, v1
	v_cvt_u32_f32_e32 v1, v1
	v_mov_b32_e32 v4, s23
	v_mov_b32_e32 v5, s38
	;; [unrolled: 1-line block ×3, first 2 shown]
	v_mul_lo_u32 v2, s8, v1
	v_mul_hi_u32 v2, v1, v2
	v_add_u32_e32 v1, v1, v2
	s_mov_b64 s[8:9], 0
	v_mov_b32_e32 v2, v0
.LBB74_3:                               ; =>This Inner Loop Header: Depth=1
	v_sub_u32_e32 v8, 0, v2
	v_max_i32_e32 v8, v2, v8
	v_mul_hi_u32 v9, v8, v1
	v_mul_lo_u32 v10, v9, s35
	v_sub_u32_e32 v8, v8, v10
	v_add_u32_e32 v11, 1, v9
	v_cmp_le_u32_e32 vcc, s35, v8
	v_subrev_u32_e32 v10, s35, v8
	v_cndmask_b32_e32 v9, v9, v11, vcc
	v_cndmask_b32_e32 v8, v8, v10, vcc
	v_ashrrev_i32_e32 v7, 31, v2
	v_add_u32_e32 v10, 1, v9
	v_cmp_le_u32_e32 vcc, s35, v8
	v_xor_b32_e32 v7, s21, v7
	v_cndmask_b32_e32 v8, v9, v10, vcc
	v_xor_b32_e32 v8, v8, v7
	v_sub_u32_e32 v7, v8, v7
	v_mad_u64_u32 v[8:9], s[38:39], s37, v7, v[2:3]
	v_ashrrev_i32_e32 v12, 31, v7
	v_ashrrev_i32_e32 v9, 31, v8
	v_mul_lo_u32 v14, v7, s11
	v_mad_u64_u32 v[10:11], s[38:39], v7, s10, 0
	v_mul_lo_u32 v7, v12, s10
	v_lshlrev_b64 v[12:13], 1, v[8:9]
	v_add_co_u32_e32 v12, vcc, s33, v12
	v_addc_co_u32_e32 v13, vcc, v3, v13, vcc
	v_add3_u32 v11, v11, v14, v7
	v_add_co_u32_e32 v14, vcc, s22, v12
	v_lshlrev_b64 v[10:11], 2, v[10:11]
	v_addc_co_u32_e32 v15, vcc, v13, v4, vcc
	v_add_co_u32_e32 v7, vcc, s34, v10
	v_lshlrev_b64 v[8:9], 2, v[8:9]
	v_addc_co_u32_e32 v10, vcc, v5, v11, vcc
	global_load_ushort v16, v[12:13], off
	global_load_ushort v17, v[14:15], off
	v_add_co_u32_e32 v8, vcc, v7, v8
	v_addc_co_u32_e32 v9, vcc, v10, v9, vcc
	v_add_co_u32_e32 v10, vcc, s24, v8
	v_addc_co_u32_e32 v11, vcc, v9, v6, vcc
	global_load_dword v7, v[8:9], off
	global_load_dword v12, v[10:11], off
	v_add_u32_e32 v2, s36, v2
	v_cmp_le_i32_e32 vcc, s7, v2
	s_or_b64 s[8:9], vcc, s[8:9]
	s_waitcnt vmcnt(3)
	v_cvt_f32_f16_e32 v13, v16
	s_waitcnt vmcnt(2)
	v_cvt_f32_f16_e32 v14, v17
	s_waitcnt vmcnt(0)
	v_mul_f32_e32 v13, v12, v13
	v_mul_f32_e32 v12, v12, v14
	v_fma_mix_f32 v13, v7, v17, v13 op_sel_hi:[0,1,0]
	v_fma_mix_f32 v7, v7, v16, -v12 op_sel_hi:[0,1,0]
	global_store_dword v[8:9], v7, off
	global_store_dword v[10:11], v13, off
	s_andn2_b64 exec, exec, s[8:9]
	s_cbranch_execnz .LBB74_3
.LBB74_4:
	s_or_b64 exec, exec, s[0:1]
	s_load_dwordx4 s[8:11], s[4:5], 0x68
	s_waitcnt lgkmcnt(0)
	s_ashr_i32 s35, s11, 31
	s_mov_b32 s34, s11
	s_or_b64 s[0:1], s[26:27], s[34:35]
	s_mov_b32 s0, 0
	s_cmp_lg_u64 s[0:1], 0
	s_cbranch_scc0 .LBB74_62
; %bb.5:
	s_add_u32 s0, s34, s35
	s_mov_b32 s22, s35
	s_mov_b32 s23, s35
	s_addc_u32 s1, s35, s35
	s_xor_b64 s[36:37], s[0:1], s[22:23]
	v_cvt_f32_u32_e32 v1, s36
	v_cvt_f32_u32_e32 v2, s37
	s_sub_u32 s0, 0, s36
	s_subb_u32 s1, 0, s37
	v_madmk_f32 v1, v2, 0x4f800000, v1
	v_rcp_f32_e32 v1, v1
	v_mul_f32_e32 v1, 0x5f7ffffc, v1
	v_mul_f32_e32 v2, 0x2f800000, v1
	v_trunc_f32_e32 v2, v2
	v_madmk_f32 v1, v2, 0xcf800000, v1
	v_cvt_u32_f32_e32 v2, v2
	v_cvt_u32_f32_e32 v1, v1
	v_readfirstlane_b32 s7, v2
	v_readfirstlane_b32 s11, v1
	s_mul_i32 s21, s0, s7
	s_mul_hi_u32 s38, s0, s11
	s_mul_i32 s33, s1, s11
	s_add_i32 s21, s38, s21
	s_add_i32 s21, s21, s33
	s_mul_i32 s39, s0, s11
	s_mul_hi_u32 s33, s11, s21
	s_mul_i32 s38, s11, s21
	s_mul_hi_u32 s11, s11, s39
	s_add_u32 s11, s11, s38
	s_addc_u32 s33, 0, s33
	s_mul_hi_u32 s40, s7, s39
	s_mul_i32 s39, s7, s39
	s_add_u32 s11, s11, s39
	s_mul_hi_u32 s38, s7, s21
	s_addc_u32 s11, s33, s40
	s_addc_u32 s33, s38, 0
	s_mul_i32 s21, s7, s21
	s_add_u32 s11, s11, s21
	s_addc_u32 s21, 0, s33
	v_add_co_u32_e32 v1, vcc, s11, v1
	s_cmp_lg_u64 vcc, 0
	s_addc_u32 s7, s7, s21
	v_readfirstlane_b32 s21, v1
	s_mul_i32 s11, s0, s7
	s_mul_hi_u32 s33, s0, s21
	s_add_i32 s11, s33, s11
	s_mul_i32 s1, s1, s21
	s_add_i32 s11, s11, s1
	s_mul_i32 s0, s0, s21
	s_mul_hi_u32 s33, s7, s0
	s_mul_i32 s38, s7, s0
	s_mul_i32 s40, s21, s11
	s_mul_hi_u32 s0, s21, s0
	s_mul_hi_u32 s39, s21, s11
	s_add_u32 s0, s0, s40
	s_addc_u32 s21, 0, s39
	s_add_u32 s0, s0, s38
	s_mul_hi_u32 s1, s7, s11
	s_addc_u32 s0, s21, s33
	s_addc_u32 s1, s1, 0
	s_mul_i32 s11, s7, s11
	s_add_u32 s0, s0, s11
	s_addc_u32 s1, 0, s1
	v_add_co_u32_e32 v1, vcc, s0, v1
	s_cmp_lg_u64 vcc, 0
	s_addc_u32 s7, s7, s1
	s_ashr_i32 s38, s27, 31
	s_add_u32 s0, s26, s38
	s_mov_b32 s39, s38
	s_addc_u32 s1, s27, s38
	s_xor_b64 s[40:41], s[0:1], s[38:39]
	v_readfirstlane_b32 s11, v1
	s_mul_i32 s1, s40, s7
	s_mul_hi_u32 s21, s40, s11
	s_mul_hi_u32 s0, s40, s7
	s_add_u32 s1, s21, s1
	s_addc_u32 s0, 0, s0
	s_mul_hi_u32 s33, s41, s11
	s_mul_i32 s11, s41, s11
	s_add_u32 s1, s1, s11
	s_mul_hi_u32 s21, s41, s7
	s_addc_u32 s0, s0, s33
	s_addc_u32 s1, s21, 0
	s_mul_i32 s7, s41, s7
	s_add_u32 s7, s0, s7
	s_addc_u32 s11, 0, s1
	s_mul_i32 s0, s36, s11
	s_mul_hi_u32 s1, s36, s7
	s_add_i32 s0, s1, s0
	s_mul_i32 s1, s37, s7
	s_add_i32 s21, s0, s1
	s_mul_i32 s1, s36, s7
	v_mov_b32_e32 v1, s1
	s_sub_i32 s0, s41, s21
	v_sub_co_u32_e32 v1, vcc, s40, v1
	s_cmp_lg_u64 vcc, 0
	s_subb_u32 s33, s0, s37
	v_subrev_co_u32_e64 v2, s[0:1], s36, v1
	s_cmp_lg_u64 s[0:1], 0
	s_subb_u32 s0, s33, 0
	s_cmp_ge_u32 s0, s37
	v_readfirstlane_b32 s33, v2
	s_cselect_b32 s1, -1, 0
	s_cmp_ge_u32 s33, s36
	s_cselect_b32 s33, -1, 0
	s_cmp_eq_u32 s0, s37
	s_cselect_b32 s0, s33, s1
	s_add_u32 s1, s7, 1
	s_addc_u32 s33, s11, 0
	s_add_u32 s40, s7, 2
	s_addc_u32 s42, s11, 0
	s_cmp_lg_u32 s0, 0
	s_cselect_b32 s0, s40, s1
	s_cselect_b32 s1, s42, s33
	s_cmp_lg_u64 vcc, 0
	s_subb_u32 s21, s41, s21
	s_cmp_ge_u32 s21, s37
	v_readfirstlane_b32 s40, v1
	s_cselect_b32 s33, -1, 0
	s_cmp_ge_u32 s40, s36
	s_cselect_b32 s36, -1, 0
	s_cmp_eq_u32 s21, s37
	s_cselect_b32 s21, s36, s33
	s_cmp_lg_u32 s21, 0
	s_cselect_b32 s1, s1, s11
	s_cselect_b32 s0, s0, s7
	s_xor_b64 s[22:23], s[38:39], s[22:23]
	s_xor_b64 s[0:1], s[0:1], s[22:23]
	s_sub_u32 s22, s0, s22
	s_subb_u32 s23, s1, s23
	s_cbranch_execnz .LBB74_7
.LBB74_6:
	v_cvt_f32_u32_e32 v1, s34
	s_sub_i32 s0, 0, s34
	s_mov_b32 s23, 0
	v_rcp_iflag_f32_e32 v1, v1
	v_mul_f32_e32 v1, 0x4f7ffffe, v1
	v_cvt_u32_f32_e32 v1, v1
	v_readfirstlane_b32 s1, v1
	s_mul_i32 s0, s0, s1
	s_mul_hi_u32 s0, s1, s0
	s_add_i32 s1, s1, s0
	s_mul_hi_u32 s0, s26, s1
	s_mul_i32 s7, s0, s34
	s_sub_i32 s7, s26, s7
	s_add_i32 s1, s0, 1
	s_sub_i32 s11, s7, s34
	s_cmp_ge_u32 s7, s34
	s_cselect_b32 s0, s1, s0
	s_cselect_b32 s7, s11, s7
	s_add_i32 s1, s0, 1
	s_cmp_ge_u32 s7, s34
	s_cselect_b32 s22, s1, s0
.LBB74_7:
	s_mul_i32 s0, s22, s35
	s_mul_hi_u32 s1, s22, s34
	s_load_dwordx2 s[24:25], s[4:5], 0x78
	s_add_i32 s0, s1, s0
	s_mul_i32 s1, s23, s34
	s_add_i32 s0, s0, s1
	s_mul_i32 s1, s22, s34
	s_sub_u32 s7, s26, s1
	s_subb_u32 s11, s27, s0
	v_cmp_gt_i32_e32 vcc, s20, v0
	s_mul_hi_u32 s46, s22, s8
	s_mul_i32 s47, s23, s8
	s_mul_i32 s48, s22, s8
	s_mul_hi_u32 s33, s7, s9
	s_mul_i32 s11, s11, s9
	s_mul_i32 s23, s7, s9
	s_and_saveexec_b64 s[26:27], vcc
	s_cbranch_execz .LBB74_42
; %bb.8:
	s_ashr_i32 s0, s8, 31
	s_ashr_i32 s1, s9, 31
	s_mul_i32 s0, s22, s0
	s_mul_i32 s1, s7, s1
	s_add_i32 s0, s46, s0
	s_add_i32 s1, s33, s1
	s_ashr_i32 s21, s20, 31
	s_add_i32 s0, s0, s47
	s_add_i32 s1, s1, s11
	s_add_u32 s34, s48, s23
	s_load_dword s36, s[4:5], 0x8c
	s_addc_u32 s35, s0, s1
	s_add_u32 s0, s34, s2
	s_addc_u32 s1, s35, s3
	s_ashr_i32 s37, s10, 31
	s_add_u32 s49, s0, s10
	s_addc_u32 s50, s1, s37
	s_waitcnt lgkmcnt(0)
	s_and_b32 s52, s36, 0xffff
	s_lshl_b64 s[0:1], s[30:31], 1
	s_add_u32 s0, s28, s0
	v_lshlrev_b32_e32 v1, 1, v0
	s_addc_u32 s1, s29, s1
	v_mov_b32_e32 v2, s1
	v_add_co_u32_e32 v4, vcc, s0, v1
	s_mul_i32 s0, s13, s6
	s_mul_hi_u32 s1, s12, s6
	s_add_i32 s1, s1, s0
	s_mul_i32 s0, s12, s6
	s_lshl_b32 s54, s52, 1
	s_lshl_b64 s[28:29], s[20:21], 1
	s_lshl_b64 s[30:31], s[20:21], 2
	;; [unrolled: 1-line block ×3, first 2 shown]
	s_add_u32 s0, s16, s0
	v_addc_co_u32_e32 v5, vcc, 0, v2, vcc
	v_lshlrev_b32_e32 v1, 2, v0
	s_addc_u32 s1, s17, s1
	s_lshl_b32 s55, s52, 2
	v_add_co_u32_e32 v6, vcc, s0, v1
	s_add_u32 s0, s34, s20
	s_load_dword s51, s[24:25], 0x0
	v_mov_b32_e32 v2, s1
	s_addc_u32 s1, s35, s21
	s_add_u32 s0, s0, s10
	s_addc_u32 s1, s1, s37
	s_mov_b32 s53, 0
	s_add_u32 s21, s2, s0
	v_mov_b32_e32 v3, 0
	v_addc_co_u32_e32 v7, vcc, 0, v2, vcc
	s_mov_b32 s56, s53
	s_addc_u32 s57, s3, s1
	s_mov_b64 s[12:13], 0
	v_mov_b32_e32 v1, s29
	v_mov_b32_e32 v10, s31
	s_movk_i32 s29, 0x80
	s_mov_b64 s[16:17], 0x7f800000
	s_mov_b64 s[34:35], 0x43e00001
	s_movk_i32 s31, 0x7a
	s_mov_b64 s[36:37], 0xffffff
	s_movk_i32 s58, 0x7f
	v_mov_b32_e32 v11, 0xffffff82
	v_mov_b32_e32 v12, 0x78
	s_mov_b64 s[38:39], 0
	s_branch .LBB74_10
.LBB74_9:                               ;   in Loop: Header=BB74_10 Depth=1
	s_or_b64 exec, exec, s[0:1]
	s_add_u32 s38, s38, s52
	v_mov_b32_e32 v2, s57
	v_add_co_u32_e32 v14, vcc, s21, v0
	s_addc_u32 s39, s39, 0
	v_addc_co_u32_e32 v15, vcc, 0, v2, vcc
	s_add_u32 s21, s21, s52
	v_mov_b32_e32 v8, s53
	v_add_co_u32_e32 v4, vcc, s54, v4
	s_addc_u32 s57, s57, 0
	v_add_u32_e32 v2, s38, v0
	v_addc_co_u32_e32 v5, vcc, v5, v8, vcc
	s_add_u32 s49, s49, s52
	s_addc_u32 s50, s50, 0
	v_cmp_le_i32_e32 vcc, s20, v2
	v_mov_b32_e32 v8, s56
	s_or_b64 s[12:13], vcc, s[12:13]
	v_add_co_u32_e32 v6, vcc, s55, v6
	v_addc_co_u32_e32 v7, vcc, v7, v8, vcc
	global_store_byte v[14:15], v9, off
	s_andn2_b64 exec, exec, s[12:13]
	s_cbranch_execz .LBB74_42
.LBB74_10:                              ; =>This Inner Loop Header: Depth=1
	v_add_co_u32_e32 v8, vcc, s28, v4
	v_addc_co_u32_e32 v9, vcc, v5, v1, vcc
	global_load_ushort v2, v[8:9], off
	v_add_co_u32_e32 v14, vcc, s30, v6
	v_addc_co_u32_e32 v15, vcc, v7, v10, vcc
	global_load_dword v9, v[6:7], off
	global_load_dword v8, v[14:15], off
	global_load_ushort v13, v[4:5], off
	s_waitcnt vmcnt(3)
	v_cvt_f32_f16_e32 v16, v2
	s_waitcnt vmcnt(1)
	v_mul_f32_e32 v16, v8, v16
	s_waitcnt vmcnt(0)
	v_fma_mix_f32 v16, v9, v13, -v16 op_sel_hi:[0,1,0]
	v_cvt_f32_f16_e32 v17, v16
	v_cvt_f32_f16_e32 v13, v13
	s_waitcnt lgkmcnt(0)
	v_div_scale_f32 v18, s[0:1], s51, s51, v17
	v_rcp_f32_e32 v19, v18
	v_div_scale_f32 v20, vcc, v17, s51, v17
	v_mul_f32_e32 v13, v8, v13
	v_fma_f32 v21, -v18, v19, 1.0
	v_fmac_f32_e32 v19, v21, v19
	v_mul_f32_e32 v21, v20, v19
	v_fma_f32 v22, -v18, v21, v20
	v_fmac_f32_e32 v21, v22, v19
	v_fma_f32 v18, -v18, v21, v20
	v_div_fmas_f32 v18, v18, v19, v21
	v_div_fixup_f32 v17, v18, s51, v17
	v_cvt_f16_f32_e32 v18, v17
	v_mov_b32_e32 v17, v3
	v_fma_mix_f32 v13, v9, v2, v13 op_sel_hi:[0,1,0]
	global_store_dword v[6:7], v16, off
	global_store_dword v[14:15], v13, off
	v_cvt_f32_f16_e32 v8, v18
	v_and_b32_sdwa v14, v8, s29 dst_sel:DWORD dst_unused:UNUSED_PAD src0_sel:BYTE_3 src1_sel:DWORD
	v_and_b32_e32 v16, 0x7f800000, v8
	v_and_b32_e32 v2, 0x7fffff, v8
	v_or_b32_e32 v9, 0x7e, v14
	v_cmp_ne_u64_e32 vcc, s[16:17], v[16:17]
	s_and_saveexec_b64 s[0:1], vcc
	s_xor_b64 s[40:41], exec, s[0:1]
	s_cbranch_execz .LBB74_24
; %bb.11:                               ;   in Loop: Header=BB74_10 Depth=1
	v_and_b32_e32 v16, 0x7fffffff, v8
	v_mov_b32_e32 v17, v3
	v_cmp_gt_u64_e32 vcc, s[34:35], v[16:17]
	s_and_saveexec_b64 s[0:1], vcc
	s_xor_b64 s[42:43], exec, s[0:1]
	s_cbranch_execz .LBB74_23
; %bb.12:                               ;   in Loop: Header=BB74_10 Depth=1
	v_cmp_ne_u32_e32 vcc, 0, v8
	v_mov_b32_e32 v9, 0
	s_and_saveexec_b64 s[44:45], vcc
	s_cbranch_execz .LBB74_22
; %bb.13:                               ;   in Loop: Header=BB74_10 Depth=1
	v_bfe_u32 v8, v8, 23, 8
	v_sub_u32_e32 v15, 0x79, v8
	v_cmp_gt_u32_e32 vcc, s31, v8
	v_cndmask_b32_e32 v15, 0, v15, vcc
	v_cmp_eq_u32_e32 vcc, 0, v8
	v_cndmask_b32_e32 v15, v15, v12, vcc
	v_add_u32_e32 v9, 0xffffff81, v8
	v_or_b32_e32 v16, 0x800000, v2
	v_add_u32_e32 v8, 20, v15
	v_cndmask_b32_e32 v17, v9, v11, vcc
	v_cndmask_b32_e32 v2, v16, v2, vcc
	v_lshlrev_b64 v[8:9], v8, -1
	v_not_b32_e32 v8, v8
	v_lshrrev_b64 v[20:21], v15, v[2:3]
	v_not_b32_e32 v9, v9
	v_and_b32_e32 v8, v2, v8
	v_add_u32_e32 v16, 19, v15
	v_lshrrev_b32_e32 v2, 23, v20
	v_and_b32_e32 v9, 0, v9
	v_lshlrev_b64 v[18:19], v16, 1
	v_add3_u32 v16, v15, v17, v2
	v_bfe_u32 v2, v20, 20, 1
	v_add_u32_e32 v2, -1, v2
	v_cmp_eq_u64_e32 vcc, v[8:9], v[18:19]
	v_cndmask_b32_e32 v2, 0, v2, vcc
	v_add_u32_e32 v2, v2, v20
	v_and_b32_e32 v2, 0xfffff, v2
	v_add_co_u32_e32 v8, vcc, v2, v20
	v_add_u32_e32 v15, 6, v16
	v_addc_co_u32_e32 v9, vcc, 0, v21, vcc
	v_cmp_ne_u32_e32 vcc, 0, v15
                                        ; implicit-def: $vgpr2
	s_and_saveexec_b64 s[0:1], vcc
	s_xor_b64 s[0:1], exec, s[0:1]
; %bb.14:                               ;   in Loop: Header=BB74_10 Depth=1
	v_add_u32_e32 v2, 7, v16
	v_cmp_lt_u64_e32 vcc, s[36:37], v[8:9]
	v_cndmask_b32_e32 v2, v15, v2, vcc
	v_cndmask_b32_e64 v15, 0, 1, vcc
	v_lshrrev_b64 v[8:9], v15, v[8:9]
; %bb.15:                               ;   in Loop: Header=BB74_10 Depth=1
	s_andn2_saveexec_b64 s[0:1], s[0:1]
; %bb.16:                               ;   in Loop: Header=BB74_10 Depth=1
	v_bfe_u32 v2, v8, 23, 1
; %bb.17:                               ;   in Loop: Header=BB74_10 Depth=1
	s_or_b64 exec, exec, s[0:1]
	v_lshrrev_b64 v[8:9], 20, v[8:9]
	v_cmp_gt_i32_e32 vcc, 16, v2
	v_cndmask_b32_e32 v9, 0, v9, vcc
	v_cndmask_b32_e32 v8, 7, v8, vcc
	v_cmp_ne_u32_e32 vcc, 0, v2
	v_cmp_ne_u64_e64 s[0:1], 0, v[8:9]
	s_or_b64 s[0:1], vcc, s[0:1]
                                        ; implicit-def: $vgpr9
	s_and_saveexec_b64 s[60:61], s[0:1]
	s_xor_b64 s[0:1], exec, s[60:61]
; %bb.18:                               ;   in Loop: Header=BB74_10 Depth=1
	v_min_i32_e32 v2, 15, v2
	v_lshl_or_b32 v2, v2, 3, v14
	v_and_or_b32 v9, v8, 7, v2
                                        ; implicit-def: $vgpr14
; %bb.19:                               ;   in Loop: Header=BB74_10 Depth=1
	s_andn2_saveexec_b64 s[0:1], s[0:1]
; %bb.20:                               ;   in Loop: Header=BB74_10 Depth=1
	v_mov_b32_e32 v9, v14
; %bb.21:                               ;   in Loop: Header=BB74_10 Depth=1
	s_or_b64 exec, exec, s[0:1]
.LBB74_22:                              ;   in Loop: Header=BB74_10 Depth=1
	s_or_b64 exec, exec, s[44:45]
.LBB74_23:                              ;   in Loop: Header=BB74_10 Depth=1
	s_andn2_saveexec_b64 s[0:1], s[42:43]
	s_or_b64 exec, exec, s[0:1]
                                        ; implicit-def: $vgpr8
.LBB74_24:                              ;   in Loop: Header=BB74_10 Depth=1
	s_andn2_saveexec_b64 s[0:1], s[40:41]
; %bb.25:                               ;   in Loop: Header=BB74_10 Depth=1
	v_or_b32_sdwa v8, v8, s58 dst_sel:DWORD dst_unused:UNUSED_PAD src0_sel:BYTE_3 src1_sel:DWORD
	v_cmp_eq_u64_e32 vcc, 0, v[2:3]
	v_cndmask_b32_e32 v9, v8, v9, vcc
; %bb.26:                               ;   in Loop: Header=BB74_10 Depth=1
	s_or_b64 exec, exec, s[0:1]
	v_cvt_f32_f16_e32 v2, v13
	v_div_scale_f32 v8, s[0:1], s51, s51, v2
	v_rcp_f32_e32 v13, v8
	v_div_scale_f32 v14, vcc, v2, s51, v2
	v_fma_f32 v15, -v8, v13, 1.0
	v_fmac_f32_e32 v13, v15, v13
	v_mul_f32_e32 v15, v14, v13
	v_fma_f32 v16, -v8, v15, v14
	v_fmac_f32_e32 v15, v16, v13
	v_fma_f32 v8, -v8, v15, v14
	v_div_fmas_f32 v8, v8, v13, v15
	v_div_fixup_f32 v2, v8, s51, v2
	v_cvt_f16_f32_e32 v2, v2
	v_mov_b32_e32 v13, s50
	v_add_co_u32_e32 v14, vcc, s49, v0
	v_cvt_f32_f16_e32 v8, v2
	v_addc_co_u32_e32 v15, vcc, 0, v13, vcc
	global_store_byte v[14:15], v9, off
	v_and_b32_sdwa v13, v8, s29 dst_sel:DWORD dst_unused:UNUSED_PAD src0_sel:BYTE_3 src1_sel:DWORD
	v_and_b32_e32 v14, 0x7f800000, v8
	v_mov_b32_e32 v15, v3
	v_and_b32_e32 v2, 0x7fffff, v8
	v_or_b32_e32 v9, 0x7e, v13
	v_cmp_ne_u64_e32 vcc, s[16:17], v[14:15]
	s_and_saveexec_b64 s[0:1], vcc
	s_xor_b64 s[40:41], exec, s[0:1]
	s_cbranch_execz .LBB74_40
; %bb.27:                               ;   in Loop: Header=BB74_10 Depth=1
	v_and_b32_e32 v14, 0x7fffffff, v8
	v_mov_b32_e32 v15, v3
	v_cmp_gt_u64_e32 vcc, s[34:35], v[14:15]
	s_and_saveexec_b64 s[0:1], vcc
	s_xor_b64 s[42:43], exec, s[0:1]
	s_cbranch_execz .LBB74_39
; %bb.28:                               ;   in Loop: Header=BB74_10 Depth=1
	v_cmp_ne_u32_e32 vcc, 0, v8
	v_mov_b32_e32 v9, 0
	s_and_saveexec_b64 s[44:45], vcc
	s_cbranch_execz .LBB74_38
; %bb.29:                               ;   in Loop: Header=BB74_10 Depth=1
	v_bfe_u32 v8, v8, 23, 8
	v_sub_u32_e32 v14, 0x79, v8
	v_cmp_gt_u32_e32 vcc, s31, v8
	v_cndmask_b32_e32 v14, 0, v14, vcc
	v_cmp_eq_u32_e32 vcc, 0, v8
	v_cndmask_b32_e32 v14, v14, v12, vcc
	v_add_u32_e32 v9, 0xffffff81, v8
	v_or_b32_e32 v15, 0x800000, v2
	v_add_u32_e32 v8, 20, v14
	v_cndmask_b32_e32 v20, v9, v11, vcc
	v_cndmask_b32_e32 v2, v15, v2, vcc
	v_lshlrev_b64 v[8:9], v8, -1
	v_not_b32_e32 v8, v8
	v_lshrrev_b64 v[18:19], v14, v[2:3]
	v_not_b32_e32 v9, v9
	v_and_b32_e32 v8, v2, v8
	v_add_u32_e32 v15, 19, v14
	v_lshrrev_b32_e32 v2, 23, v18
	v_and_b32_e32 v9, 0, v9
	v_lshlrev_b64 v[16:17], v15, 1
	v_add3_u32 v15, v14, v20, v2
	v_bfe_u32 v2, v18, 20, 1
	v_add_u32_e32 v2, -1, v2
	v_cmp_eq_u64_e32 vcc, v[8:9], v[16:17]
	v_cndmask_b32_e32 v2, 0, v2, vcc
	v_add_u32_e32 v2, v2, v18
	v_and_b32_e32 v2, 0xfffff, v2
	v_add_co_u32_e32 v8, vcc, v2, v18
	v_add_u32_e32 v14, 6, v15
	v_addc_co_u32_e32 v9, vcc, 0, v19, vcc
	v_cmp_ne_u32_e32 vcc, 0, v14
                                        ; implicit-def: $vgpr2
	s_and_saveexec_b64 s[0:1], vcc
	s_xor_b64 s[0:1], exec, s[0:1]
; %bb.30:                               ;   in Loop: Header=BB74_10 Depth=1
	v_add_u32_e32 v2, 7, v15
	v_cmp_lt_u64_e32 vcc, s[36:37], v[8:9]
	v_cndmask_b32_e32 v2, v14, v2, vcc
	v_cndmask_b32_e64 v14, 0, 1, vcc
	v_lshrrev_b64 v[8:9], v14, v[8:9]
; %bb.31:                               ;   in Loop: Header=BB74_10 Depth=1
	s_andn2_saveexec_b64 s[0:1], s[0:1]
; %bb.32:                               ;   in Loop: Header=BB74_10 Depth=1
	v_bfe_u32 v2, v8, 23, 1
; %bb.33:                               ;   in Loop: Header=BB74_10 Depth=1
	s_or_b64 exec, exec, s[0:1]
	v_lshrrev_b64 v[8:9], 20, v[8:9]
	v_cmp_gt_i32_e32 vcc, 16, v2
	v_cndmask_b32_e32 v9, 0, v9, vcc
	v_cndmask_b32_e32 v8, 7, v8, vcc
	v_cmp_ne_u32_e32 vcc, 0, v2
	v_cmp_ne_u64_e64 s[0:1], 0, v[8:9]
	s_or_b64 s[0:1], vcc, s[0:1]
                                        ; implicit-def: $vgpr9
	s_and_saveexec_b64 s[60:61], s[0:1]
	s_xor_b64 s[0:1], exec, s[60:61]
; %bb.34:                               ;   in Loop: Header=BB74_10 Depth=1
	v_min_i32_e32 v2, 15, v2
	v_lshl_or_b32 v2, v2, 3, v13
	v_and_or_b32 v9, v8, 7, v2
                                        ; implicit-def: $vgpr13
; %bb.35:                               ;   in Loop: Header=BB74_10 Depth=1
	s_andn2_saveexec_b64 s[0:1], s[0:1]
; %bb.36:                               ;   in Loop: Header=BB74_10 Depth=1
	v_mov_b32_e32 v9, v13
; %bb.37:                               ;   in Loop: Header=BB74_10 Depth=1
	s_or_b64 exec, exec, s[0:1]
.LBB74_38:                              ;   in Loop: Header=BB74_10 Depth=1
	s_or_b64 exec, exec, s[44:45]
.LBB74_39:                              ;   in Loop: Header=BB74_10 Depth=1
	s_andn2_saveexec_b64 s[0:1], s[42:43]
	s_or_b64 exec, exec, s[0:1]
                                        ; implicit-def: $vgpr8
.LBB74_40:                              ;   in Loop: Header=BB74_10 Depth=1
	s_andn2_saveexec_b64 s[0:1], s[40:41]
	s_cbranch_execz .LBB74_9
; %bb.41:                               ;   in Loop: Header=BB74_10 Depth=1
	v_or_b32_sdwa v8, v8, s58 dst_sel:DWORD dst_unused:UNUSED_PAD src0_sel:BYTE_3 src1_sel:DWORD
	v_cmp_eq_u64_e32 vcc, 0, v[2:3]
	v_cndmask_b32_e32 v9, v8, v9, vcc
	s_branch .LBB74_9
.LBB74_42:
	s_or_b64 exec, exec, s[26:27]
	v_cmp_gt_i32_e32 vcc, s10, v0
	s_and_saveexec_b64 s[0:1], vcc
	s_cbranch_execz .LBB74_61
; %bb.43:
	s_mul_i32 s0, s6, s15
	s_mul_hi_u32 s1, s6, s14
	s_add_i32 s1, s1, s0
	s_mul_i32 s0, s6, s14
	s_lshl_b64 s[0:1], s[0:1], 2
	s_add_u32 s18, s18, s0
	s_addc_u32 s0, s19, s1
	s_ashr_i32 s1, s8, 31
	s_mul_i32 s1, s22, s1
	s_add_i32 s1, s46, s1
	s_add_i32 s1, s1, s47
	s_add_u32 s2, s2, s48
	s_addc_u32 s1, s3, s1
	s_ashr_i32 s3, s9, 31
	s_load_dword s4, s[4:5], 0x8c
	s_mul_i32 s7, s7, s3
	s_waitcnt lgkmcnt(0)
	s_load_dword s20, s[24:25], 0x0
	s_add_i32 s3, s33, s7
	s_add_i32 s3, s3, s11
	s_add_u32 s11, s2, s23
	s_addc_u32 s19, s1, s3
	s_and_b32 s21, s4, 0xffff
	s_mov_b64 s[2:3], 0
	v_mov_b32_e32 v6, s0
	v_mov_b32_e32 v3, 0
	s_movk_i32 s22, 0x80
	s_mov_b64 s[4:5], 0x7f800000
	s_mov_b64 s[6:7], 0x43e00001
	s_movk_i32 s23, 0x7a
	s_mov_b64 s[8:9], 0xffffff
	s_movk_i32 s24, 0x7f
	v_mov_b32_e32 v7, 0xffffff82
	v_mov_b32_e32 v8, 0x78
	s_branch .LBB74_45
.LBB74_44:                              ;   in Loop: Header=BB74_45 Depth=1
	s_or_b64 exec, exec, s[0:1]
	v_mov_b32_e32 v2, s19
	v_add_co_u32_e32 v10, vcc, s11, v0
	v_addc_co_u32_e32 v11, vcc, v2, v1, vcc
	v_add_u32_e32 v0, s21, v0
	v_cmp_le_i32_e32 vcc, s10, v0
	s_or_b64 s[2:3], vcc, s[2:3]
	global_store_byte v[10:11], v5, off
	s_andn2_b64 exec, exec, s[2:3]
	s_cbranch_execz .LBB74_61
.LBB74_45:                              ; =>This Inner Loop Header: Depth=1
	v_ashrrev_i32_e32 v1, 31, v0
	v_lshlrev_b64 v[4:5], 2, v[0:1]
	v_add_co_u32_e32 v4, vcc, s18, v4
	v_addc_co_u32_e32 v5, vcc, v6, v5, vcc
	global_load_ushort v2, v[4:5], off
	s_waitcnt vmcnt(0)
	v_cvt_f32_f16_e32 v2, v2
	s_waitcnt lgkmcnt(0)
	v_div_scale_f32 v4, s[0:1], s20, s20, v2
	v_rcp_f32_e32 v5, v4
	v_div_scale_f32 v9, vcc, v2, s20, v2
	v_fma_f32 v10, -v4, v5, 1.0
	v_fmac_f32_e32 v5, v10, v5
	v_mul_f32_e32 v10, v9, v5
	v_fma_f32 v11, -v4, v10, v9
	v_fmac_f32_e32 v10, v11, v5
	v_fma_f32 v4, -v4, v10, v9
	v_div_fmas_f32 v4, v4, v5, v10
	v_div_fixup_f32 v2, v4, s20, v2
	v_cvt_f16_f32_e32 v2, v2
	v_mov_b32_e32 v11, v3
	v_cvt_f32_f16_e32 v4, v2
	v_and_b32_sdwa v9, v4, s22 dst_sel:DWORD dst_unused:UNUSED_PAD src0_sel:BYTE_3 src1_sel:DWORD
	v_and_b32_e32 v10, 0x7f800000, v4
	v_and_b32_e32 v2, 0x7fffff, v4
	v_or_b32_e32 v5, 0x7e, v9
	v_cmp_ne_u64_e32 vcc, s[4:5], v[10:11]
	s_and_saveexec_b64 s[0:1], vcc
	s_xor_b64 s[12:13], exec, s[0:1]
	s_cbranch_execz .LBB74_59
; %bb.46:                               ;   in Loop: Header=BB74_45 Depth=1
	v_and_b32_e32 v10, 0x7fffffff, v4
	v_mov_b32_e32 v11, v3
	v_cmp_gt_u64_e32 vcc, s[6:7], v[10:11]
	s_and_saveexec_b64 s[0:1], vcc
	s_xor_b64 s[14:15], exec, s[0:1]
	s_cbranch_execz .LBB74_58
; %bb.47:                               ;   in Loop: Header=BB74_45 Depth=1
	v_cmp_ne_u32_e32 vcc, 0, v4
	v_mov_b32_e32 v5, 0
	s_and_saveexec_b64 s[16:17], vcc
	s_cbranch_execz .LBB74_57
; %bb.48:                               ;   in Loop: Header=BB74_45 Depth=1
	v_bfe_u32 v4, v4, 23, 8
	v_sub_u32_e32 v10, 0x79, v4
	v_cmp_gt_u32_e32 vcc, s23, v4
	v_cndmask_b32_e32 v10, 0, v10, vcc
	v_cmp_eq_u32_e32 vcc, 0, v4
	v_cndmask_b32_e32 v10, v10, v8, vcc
	v_add_u32_e32 v5, 0xffffff81, v4
	v_or_b32_e32 v11, 0x800000, v2
	v_add_u32_e32 v4, 20, v10
	v_cndmask_b32_e32 v16, v5, v7, vcc
	v_cndmask_b32_e32 v2, v11, v2, vcc
	v_lshlrev_b64 v[4:5], v4, -1
	v_not_b32_e32 v4, v4
	v_lshrrev_b64 v[14:15], v10, v[2:3]
	v_not_b32_e32 v5, v5
	v_and_b32_e32 v4, v2, v4
	v_add_u32_e32 v11, 19, v10
	v_lshrrev_b32_e32 v2, 23, v14
	v_and_b32_e32 v5, 0, v5
	v_lshlrev_b64 v[12:13], v11, 1
	v_add3_u32 v11, v10, v16, v2
	v_bfe_u32 v2, v14, 20, 1
	v_add_u32_e32 v2, -1, v2
	v_cmp_eq_u64_e32 vcc, v[4:5], v[12:13]
	v_cndmask_b32_e32 v2, 0, v2, vcc
	v_add_u32_e32 v2, v2, v14
	v_and_b32_e32 v2, 0xfffff, v2
	v_add_co_u32_e32 v4, vcc, v2, v14
	v_add_u32_e32 v10, 6, v11
	v_addc_co_u32_e32 v5, vcc, 0, v15, vcc
	v_cmp_ne_u32_e32 vcc, 0, v10
                                        ; implicit-def: $vgpr2
	s_and_saveexec_b64 s[0:1], vcc
	s_xor_b64 s[0:1], exec, s[0:1]
; %bb.49:                               ;   in Loop: Header=BB74_45 Depth=1
	v_add_u32_e32 v2, 7, v11
	v_cmp_lt_u64_e32 vcc, s[8:9], v[4:5]
	v_cndmask_b32_e32 v2, v10, v2, vcc
	v_cndmask_b32_e64 v10, 0, 1, vcc
	v_lshrrev_b64 v[4:5], v10, v[4:5]
; %bb.50:                               ;   in Loop: Header=BB74_45 Depth=1
	s_andn2_saveexec_b64 s[0:1], s[0:1]
; %bb.51:                               ;   in Loop: Header=BB74_45 Depth=1
	v_bfe_u32 v2, v4, 23, 1
; %bb.52:                               ;   in Loop: Header=BB74_45 Depth=1
	s_or_b64 exec, exec, s[0:1]
	v_lshrrev_b64 v[4:5], 20, v[4:5]
	v_cmp_gt_i32_e32 vcc, 16, v2
	v_cndmask_b32_e32 v5, 0, v5, vcc
	v_cndmask_b32_e32 v4, 7, v4, vcc
	v_cmp_ne_u32_e32 vcc, 0, v2
	v_cmp_ne_u64_e64 s[0:1], 0, v[4:5]
	s_or_b64 s[0:1], vcc, s[0:1]
                                        ; implicit-def: $vgpr5
	s_and_saveexec_b64 s[26:27], s[0:1]
	s_xor_b64 s[0:1], exec, s[26:27]
; %bb.53:                               ;   in Loop: Header=BB74_45 Depth=1
	v_min_i32_e32 v2, 15, v2
	v_lshl_or_b32 v2, v2, 3, v9
	v_and_or_b32 v5, v4, 7, v2
                                        ; implicit-def: $vgpr9
; %bb.54:                               ;   in Loop: Header=BB74_45 Depth=1
	s_andn2_saveexec_b64 s[0:1], s[0:1]
; %bb.55:                               ;   in Loop: Header=BB74_45 Depth=1
	v_mov_b32_e32 v5, v9
; %bb.56:                               ;   in Loop: Header=BB74_45 Depth=1
	s_or_b64 exec, exec, s[0:1]
.LBB74_57:                              ;   in Loop: Header=BB74_45 Depth=1
	s_or_b64 exec, exec, s[16:17]
.LBB74_58:                              ;   in Loop: Header=BB74_45 Depth=1
	s_andn2_saveexec_b64 s[0:1], s[14:15]
	s_or_b64 exec, exec, s[0:1]
                                        ; implicit-def: $vgpr4
.LBB74_59:                              ;   in Loop: Header=BB74_45 Depth=1
	s_andn2_saveexec_b64 s[0:1], s[12:13]
	s_cbranch_execz .LBB74_44
; %bb.60:                               ;   in Loop: Header=BB74_45 Depth=1
	v_or_b32_sdwa v4, v4, s24 dst_sel:DWORD dst_unused:UNUSED_PAD src0_sel:BYTE_3 src1_sel:DWORD
	v_cmp_eq_u64_e32 vcc, 0, v[2:3]
	v_cndmask_b32_e32 v5, v4, v5, vcc
	s_branch .LBB74_44
.LBB74_61:
	s_endpgm
.LBB74_62:
                                        ; implicit-def: $sgpr22_sgpr23
	s_branch .LBB74_6
	.section	.rodata,"a",@progbits
	.p2align	6, 0x0
	.amdhsa_kernel _ZN4vllm38concat_and_cache_mla_rope_fused_kernelIfN3c104HalfELb1EthLNS_18Fp8KVCacheDataTypeE1EEEvPKlPT_S7_PKS6_PKT0_illlliPT3_S5_iiiiPKf
		.amdhsa_group_segment_fixed_size 0
		.amdhsa_private_segment_fixed_size 0
		.amdhsa_kernarg_size 384
		.amdhsa_user_sgpr_count 6
		.amdhsa_user_sgpr_private_segment_buffer 1
		.amdhsa_user_sgpr_dispatch_ptr 0
		.amdhsa_user_sgpr_queue_ptr 0
		.amdhsa_user_sgpr_kernarg_segment_ptr 1
		.amdhsa_user_sgpr_dispatch_id 0
		.amdhsa_user_sgpr_flat_scratch_init 0
		.amdhsa_user_sgpr_kernarg_preload_length 0
		.amdhsa_user_sgpr_kernarg_preload_offset 0
		.amdhsa_user_sgpr_private_segment_size 0
		.amdhsa_uses_dynamic_stack 0
		.amdhsa_system_sgpr_private_segment_wavefront_offset 0
		.amdhsa_system_sgpr_workgroup_id_x 1
		.amdhsa_system_sgpr_workgroup_id_y 0
		.amdhsa_system_sgpr_workgroup_id_z 0
		.amdhsa_system_sgpr_workgroup_info 0
		.amdhsa_system_vgpr_workitem_id 0
		.amdhsa_next_free_vgpr 23
		.amdhsa_next_free_sgpr 62
		.amdhsa_accum_offset 24
		.amdhsa_reserve_vcc 1
		.amdhsa_reserve_flat_scratch 0
		.amdhsa_float_round_mode_32 0
		.amdhsa_float_round_mode_16_64 0
		.amdhsa_float_denorm_mode_32 3
		.amdhsa_float_denorm_mode_16_64 3
		.amdhsa_dx10_clamp 1
		.amdhsa_ieee_mode 1
		.amdhsa_fp16_overflow 0
		.amdhsa_tg_split 0
		.amdhsa_exception_fp_ieee_invalid_op 0
		.amdhsa_exception_fp_denorm_src 0
		.amdhsa_exception_fp_ieee_div_zero 0
		.amdhsa_exception_fp_ieee_overflow 0
		.amdhsa_exception_fp_ieee_underflow 0
		.amdhsa_exception_fp_ieee_inexact 0
		.amdhsa_exception_int_div_zero 0
	.end_amdhsa_kernel
	.section	.text._ZN4vllm38concat_and_cache_mla_rope_fused_kernelIfN3c104HalfELb1EthLNS_18Fp8KVCacheDataTypeE1EEEvPKlPT_S7_PKS6_PKT0_illlliPT3_S5_iiiiPKf,"axG",@progbits,_ZN4vllm38concat_and_cache_mla_rope_fused_kernelIfN3c104HalfELb1EthLNS_18Fp8KVCacheDataTypeE1EEEvPKlPT_S7_PKS6_PKT0_illlliPT3_S5_iiiiPKf,comdat
.Lfunc_end74:
	.size	_ZN4vllm38concat_and_cache_mla_rope_fused_kernelIfN3c104HalfELb1EthLNS_18Fp8KVCacheDataTypeE1EEEvPKlPT_S7_PKS6_PKT0_illlliPT3_S5_iiiiPKf, .Lfunc_end74-_ZN4vllm38concat_and_cache_mla_rope_fused_kernelIfN3c104HalfELb1EthLNS_18Fp8KVCacheDataTypeE1EEEvPKlPT_S7_PKS6_PKT0_illlliPT3_S5_iiiiPKf
                                        ; -- End function
	.section	.AMDGPU.csdata,"",@progbits
; Kernel info:
; codeLenInByte = 3724
; NumSgprs: 66
; NumVgprs: 23
; NumAgprs: 0
; TotalNumVgprs: 23
; ScratchSize: 0
; MemoryBound: 0
; FloatMode: 240
; IeeeMode: 1
; LDSByteSize: 0 bytes/workgroup (compile time only)
; SGPRBlocks: 8
; VGPRBlocks: 2
; NumSGPRsForWavesPerEU: 66
; NumVGPRsForWavesPerEU: 23
; AccumOffset: 24
; Occupancy: 8
; WaveLimiterHint : 1
; COMPUTE_PGM_RSRC2:SCRATCH_EN: 0
; COMPUTE_PGM_RSRC2:USER_SGPR: 6
; COMPUTE_PGM_RSRC2:TRAP_HANDLER: 0
; COMPUTE_PGM_RSRC2:TGID_X_EN: 1
; COMPUTE_PGM_RSRC2:TGID_Y_EN: 0
; COMPUTE_PGM_RSRC2:TGID_Z_EN: 0
; COMPUTE_PGM_RSRC2:TIDIG_COMP_CNT: 0
; COMPUTE_PGM_RSRC3_GFX90A:ACCUM_OFFSET: 5
; COMPUTE_PGM_RSRC3_GFX90A:TG_SPLIT: 0
	.section	.text._ZN4vllm38concat_and_cache_mla_rope_fused_kernelIfN3c104HalfELb0EthLNS_18Fp8KVCacheDataTypeE1EEEvPKlPT_S7_PKS6_PKT0_illlliPT3_S5_iiiiPKf,"axG",@progbits,_ZN4vllm38concat_and_cache_mla_rope_fused_kernelIfN3c104HalfELb0EthLNS_18Fp8KVCacheDataTypeE1EEEvPKlPT_S7_PKS6_PKT0_illlliPT3_S5_iiiiPKf,comdat
	.protected	_ZN4vllm38concat_and_cache_mla_rope_fused_kernelIfN3c104HalfELb0EthLNS_18Fp8KVCacheDataTypeE1EEEvPKlPT_S7_PKS6_PKT0_illlliPT3_S5_iiiiPKf ; -- Begin function _ZN4vllm38concat_and_cache_mla_rope_fused_kernelIfN3c104HalfELb0EthLNS_18Fp8KVCacheDataTypeE1EEEvPKlPT_S7_PKS6_PKT0_illlliPT3_S5_iiiiPKf
	.globl	_ZN4vllm38concat_and_cache_mla_rope_fused_kernelIfN3c104HalfELb0EthLNS_18Fp8KVCacheDataTypeE1EEEvPKlPT_S7_PKS6_PKT0_illlliPT3_S5_iiiiPKf
	.p2align	8
	.type	_ZN4vllm38concat_and_cache_mla_rope_fused_kernelIfN3c104HalfELb0EthLNS_18Fp8KVCacheDataTypeE1EEEvPKlPT_S7_PKS6_PKT0_illlliPT3_S5_iiiiPKf,@function
_ZN4vllm38concat_and_cache_mla_rope_fused_kernelIfN3c104HalfELb0EthLNS_18Fp8KVCacheDataTypeE1EEEvPKlPT_S7_PKS6_PKT0_illlliPT3_S5_iiiiPKf: ; @_ZN4vllm38concat_and_cache_mla_rope_fused_kernelIfN3c104HalfELb0EthLNS_18Fp8KVCacheDataTypeE1EEEvPKlPT_S7_PKS6_PKT0_illlliPT3_S5_iiiiPKf
; %bb.0:
	s_load_dwordx2 s[2:3], s[4:5], 0x60
	s_mov_b32 s7, 0
	s_lshl_b64 s[0:1], s[6:7], 3
	s_waitcnt lgkmcnt(0)
	s_add_u32 s2, s2, s0
	s_addc_u32 s3, s3, s1
	s_load_dwordx2 s[26:27], s[2:3], 0x0
	s_waitcnt lgkmcnt(0)
	v_cmp_lt_i64_e64 s[2:3], s[26:27], 0
	s_and_b64 vcc, exec, s[2:3]
	s_cbranch_vccnz .LBB75_61
; %bb.1:
	s_load_dword s7, s[4:5], 0x28
	s_load_dwordx2 s[2:3], s[4:5], 0x0
	s_load_dwordx4 s[16:19], s[4:5], 0x10
	v_lshlrev_b32_e32 v3, 1, v0
	s_waitcnt lgkmcnt(0)
	s_ashr_i32 s22, s7, 31
	s_add_u32 s0, s2, s0
	s_addc_u32 s1, s3, s1
	s_load_dwordx2 s[20:21], s[0:1], 0x0
	s_load_dwordx2 s[28:29], s[4:5], 0x20
	s_load_dwordx8 s[8:15], s[4:5], 0x30
	s_load_dwordx2 s[2:3], s[4:5], 0x58
	s_load_dword s23, s[4:5], 0x50
	s_waitcnt lgkmcnt(0)
	s_mul_i32 s0, s20, s22
	s_mul_hi_u32 s1, s20, s7
	s_mul_i32 s21, s21, s7
	s_add_i32 s0, s1, s0
	s_add_i32 s31, s0, s21
	s_lshr_b32 s0, s7, 31
	s_mul_i32 s30, s20, s7
	s_add_i32 s7, s7, s0
	s_ashr_i32 s20, s7, 1
	s_mul_i32 s7, s20, s23
	v_cmp_gt_i32_e32 vcc, s7, v0
	s_and_saveexec_b64 s[0:1], vcc
	s_cbranch_execz .LBB75_4
; %bb.2:
	s_lshl_b64 s[22:23], s[30:31], 1
	s_add_u32 s24, s28, s22
	s_addc_u32 s38, s29, s23
	s_load_dwordx2 s[22:23], s[4:5], 0x8
	s_load_dword s34, s[4:5], 0x8c
	s_mul_i32 s9, s6, s9
	s_mul_hi_u32 s25, s6, s8
	s_add_i32 s9, s25, s9
	s_mul_i32 s8, s6, s8
	s_ashr_i32 s21, s20, 31
	s_lshl_b64 s[8:9], s[8:9], 2
	s_waitcnt lgkmcnt(0)
	s_add_u32 s25, s22, s8
	s_addc_u32 s39, s23, s9
	s_abs_i32 s33, s20
	v_cvt_f32_u32_e32 v1, s33
	s_sub_i32 s8, 0, s33
	s_and_b32 s34, s34, 0xffff
	s_lshl_b64 s[22:23], s[20:21], 1
	v_rcp_iflag_f32_e32 v1, v1
	s_sub_i32 s35, 0, s20
	s_lshl_b32 s37, s34, 1
	v_mov_b32_e32 v5, s38
	v_mul_f32_e32 v1, 0x4f7ffffe, v1
	v_cvt_u32_f32_e32 v1, v1
	v_mov_b32_e32 v6, s23
	v_mov_b32_e32 v7, s39
	;; [unrolled: 1-line block ×3, first 2 shown]
	v_mul_lo_u32 v2, s8, v1
	v_mul_hi_u32 v2, v1, v2
	s_lshl_b32 s8, s20, 1
	v_add_u32_e32 v1, v1, v2
	s_sub_i32 s36, 0, s8
	s_mov_b64 s[8:9], 0
	v_mov_b32_e32 v2, v3
.LBB75_3:                               ; =>This Inner Loop Header: Depth=1
	v_sub_u32_e32 v9, 0, v4
	v_max_i32_e32 v9, v4, v9
	v_mul_hi_u32 v10, v9, v1
	v_mul_lo_u32 v11, v10, s33
	v_sub_u32_e32 v9, v9, v11
	v_add_u32_e32 v12, 1, v10
	v_cmp_le_u32_e32 vcc, s33, v9
	v_subrev_u32_e32 v11, s33, v9
	v_cndmask_b32_e32 v10, v10, v12, vcc
	v_cndmask_b32_e32 v9, v9, v11, vcc
	v_ashrrev_i32_e32 v8, 31, v4
	v_add_u32_e32 v11, 1, v10
	v_cmp_le_u32_e32 vcc, s33, v9
	v_xor_b32_e32 v8, s21, v8
	v_cndmask_b32_e32 v9, v10, v11, vcc
	v_xor_b32_e32 v9, v9, v8
	v_sub_u32_e32 v12, v9, v8
	v_mad_u64_u32 v[8:9], s[38:39], s35, v12, v[4:5]
	v_ashrrev_i32_e32 v9, 31, v8
	v_lshlrev_b64 v[8:9], 1, v[8:9]
	v_ashrrev_i32_e32 v14, 31, v12
	v_add_co_u32_e32 v8, vcc, s24, v8
	v_mul_lo_u32 v15, v12, s11
	v_mad_u64_u32 v[10:11], s[38:39], v12, s10, 0
	v_mul_lo_u32 v14, v14, s10
	v_addc_co_u32_e32 v9, vcc, v5, v9, vcc
	v_add3_u32 v11, v11, v15, v14
	v_add_co_u32_e32 v14, vcc, s22, v8
	v_mad_u64_u32 v[12:13], s[38:39], s36, v12, v[2:3]
	v_lshlrev_b64 v[10:11], 2, v[10:11]
	v_addc_co_u32_e32 v15, vcc, v9, v6, vcc
	v_ashrrev_i32_e32 v13, 31, v12
	v_add_co_u32_e32 v10, vcc, s25, v10
	global_load_ushort v16, v[8:9], off
	global_load_ushort v17, v[14:15], off
	v_lshlrev_b64 v[12:13], 2, v[12:13]
	v_addc_co_u32_e32 v11, vcc, v7, v11, vcc
	v_add_co_u32_e32 v8, vcc, v10, v12
	v_addc_co_u32_e32 v9, vcc, v11, v13, vcc
	global_load_dwordx2 v[10:11], v[8:9], off
	v_add_u32_e32 v4, s34, v4
	v_cmp_le_i32_e32 vcc, s7, v4
	v_add_u32_e32 v2, s37, v2
	s_or_b64 s[8:9], vcc, s[8:9]
	s_waitcnt vmcnt(2)
	v_cvt_f32_f16_e32 v12, v16
	s_waitcnt vmcnt(1)
	v_cvt_f32_f16_e32 v13, v17
	s_waitcnt vmcnt(0)
	v_mul_f32_e32 v12, v11, v12
	v_mul_f32_e32 v13, v11, v13
	v_fma_mix_f32 v11, v10, v17, v12 op_sel_hi:[0,1,0]
	v_fma_mix_f32 v10, v10, v16, -v13 op_sel_hi:[0,1,0]
	global_store_dwordx2 v[8:9], v[10:11], off
	s_andn2_b64 exec, exec, s[8:9]
	s_cbranch_execnz .LBB75_3
.LBB75_4:
	s_or_b64 exec, exec, s[0:1]
	s_load_dwordx4 s[8:11], s[4:5], 0x68
	s_waitcnt lgkmcnt(0)
	s_ashr_i32 s35, s11, 31
	s_mov_b32 s34, s11
	s_or_b64 s[0:1], s[26:27], s[34:35]
	s_mov_b32 s0, 0
	s_cmp_lg_u64 s[0:1], 0
	s_cbranch_scc0 .LBB75_62
; %bb.5:
	s_add_u32 s0, s34, s35
	s_mov_b32 s22, s35
	s_mov_b32 s23, s35
	s_addc_u32 s1, s35, s35
	s_xor_b64 s[36:37], s[0:1], s[22:23]
	v_cvt_f32_u32_e32 v1, s36
	v_cvt_f32_u32_e32 v2, s37
	s_sub_u32 s0, 0, s36
	s_subb_u32 s1, 0, s37
	v_madmk_f32 v1, v2, 0x4f800000, v1
	v_rcp_f32_e32 v1, v1
	v_mul_f32_e32 v1, 0x5f7ffffc, v1
	v_mul_f32_e32 v2, 0x2f800000, v1
	v_trunc_f32_e32 v2, v2
	v_madmk_f32 v1, v2, 0xcf800000, v1
	v_cvt_u32_f32_e32 v2, v2
	v_cvt_u32_f32_e32 v1, v1
	v_readfirstlane_b32 s7, v2
	v_readfirstlane_b32 s11, v1
	s_mul_i32 s21, s0, s7
	s_mul_hi_u32 s38, s0, s11
	s_mul_i32 s33, s1, s11
	s_add_i32 s21, s38, s21
	s_add_i32 s21, s21, s33
	s_mul_i32 s39, s0, s11
	s_mul_hi_u32 s33, s11, s21
	s_mul_i32 s38, s11, s21
	s_mul_hi_u32 s11, s11, s39
	s_add_u32 s11, s11, s38
	s_addc_u32 s33, 0, s33
	s_mul_hi_u32 s40, s7, s39
	s_mul_i32 s39, s7, s39
	s_add_u32 s11, s11, s39
	s_mul_hi_u32 s38, s7, s21
	s_addc_u32 s11, s33, s40
	s_addc_u32 s33, s38, 0
	s_mul_i32 s21, s7, s21
	s_add_u32 s11, s11, s21
	s_addc_u32 s21, 0, s33
	v_add_co_u32_e32 v1, vcc, s11, v1
	s_cmp_lg_u64 vcc, 0
	s_addc_u32 s7, s7, s21
	v_readfirstlane_b32 s21, v1
	s_mul_i32 s11, s0, s7
	s_mul_hi_u32 s33, s0, s21
	s_add_i32 s11, s33, s11
	s_mul_i32 s1, s1, s21
	s_add_i32 s11, s11, s1
	s_mul_i32 s0, s0, s21
	s_mul_hi_u32 s33, s7, s0
	s_mul_i32 s38, s7, s0
	s_mul_i32 s40, s21, s11
	s_mul_hi_u32 s0, s21, s0
	s_mul_hi_u32 s39, s21, s11
	s_add_u32 s0, s0, s40
	s_addc_u32 s21, 0, s39
	s_add_u32 s0, s0, s38
	s_mul_hi_u32 s1, s7, s11
	s_addc_u32 s0, s21, s33
	s_addc_u32 s1, s1, 0
	s_mul_i32 s11, s7, s11
	s_add_u32 s0, s0, s11
	s_addc_u32 s1, 0, s1
	v_add_co_u32_e32 v1, vcc, s0, v1
	s_cmp_lg_u64 vcc, 0
	s_addc_u32 s7, s7, s1
	s_ashr_i32 s38, s27, 31
	s_add_u32 s0, s26, s38
	s_mov_b32 s39, s38
	s_addc_u32 s1, s27, s38
	s_xor_b64 s[40:41], s[0:1], s[38:39]
	v_readfirstlane_b32 s11, v1
	s_mul_i32 s1, s40, s7
	s_mul_hi_u32 s21, s40, s11
	s_mul_hi_u32 s0, s40, s7
	s_add_u32 s1, s21, s1
	s_addc_u32 s0, 0, s0
	s_mul_hi_u32 s33, s41, s11
	s_mul_i32 s11, s41, s11
	s_add_u32 s1, s1, s11
	s_mul_hi_u32 s21, s41, s7
	s_addc_u32 s0, s0, s33
	s_addc_u32 s1, s21, 0
	s_mul_i32 s7, s41, s7
	s_add_u32 s7, s0, s7
	s_addc_u32 s11, 0, s1
	s_mul_i32 s0, s36, s11
	s_mul_hi_u32 s1, s36, s7
	s_add_i32 s0, s1, s0
	s_mul_i32 s1, s37, s7
	s_add_i32 s21, s0, s1
	s_mul_i32 s1, s36, s7
	v_mov_b32_e32 v1, s1
	s_sub_i32 s0, s41, s21
	v_sub_co_u32_e32 v1, vcc, s40, v1
	s_cmp_lg_u64 vcc, 0
	s_subb_u32 s33, s0, s37
	v_subrev_co_u32_e64 v2, s[0:1], s36, v1
	s_cmp_lg_u64 s[0:1], 0
	s_subb_u32 s0, s33, 0
	s_cmp_ge_u32 s0, s37
	v_readfirstlane_b32 s33, v2
	s_cselect_b32 s1, -1, 0
	s_cmp_ge_u32 s33, s36
	s_cselect_b32 s33, -1, 0
	s_cmp_eq_u32 s0, s37
	s_cselect_b32 s0, s33, s1
	s_add_u32 s1, s7, 1
	s_addc_u32 s33, s11, 0
	s_add_u32 s40, s7, 2
	s_addc_u32 s42, s11, 0
	s_cmp_lg_u32 s0, 0
	s_cselect_b32 s0, s40, s1
	s_cselect_b32 s1, s42, s33
	s_cmp_lg_u64 vcc, 0
	s_subb_u32 s21, s41, s21
	s_cmp_ge_u32 s21, s37
	v_readfirstlane_b32 s40, v1
	s_cselect_b32 s33, -1, 0
	s_cmp_ge_u32 s40, s36
	s_cselect_b32 s36, -1, 0
	s_cmp_eq_u32 s21, s37
	s_cselect_b32 s21, s36, s33
	s_cmp_lg_u32 s21, 0
	s_cselect_b32 s1, s1, s11
	s_cselect_b32 s0, s0, s7
	s_xor_b64 s[22:23], s[38:39], s[22:23]
	s_xor_b64 s[0:1], s[0:1], s[22:23]
	s_sub_u32 s22, s0, s22
	s_subb_u32 s23, s1, s23
	s_cbranch_execnz .LBB75_7
.LBB75_6:
	v_cvt_f32_u32_e32 v1, s34
	s_sub_i32 s0, 0, s34
	s_mov_b32 s23, 0
	v_rcp_iflag_f32_e32 v1, v1
	v_mul_f32_e32 v1, 0x4f7ffffe, v1
	v_cvt_u32_f32_e32 v1, v1
	v_readfirstlane_b32 s1, v1
	s_mul_i32 s0, s0, s1
	s_mul_hi_u32 s0, s1, s0
	s_add_i32 s1, s1, s0
	s_mul_hi_u32 s0, s26, s1
	s_mul_i32 s7, s0, s34
	s_sub_i32 s7, s26, s7
	s_add_i32 s1, s0, 1
	s_sub_i32 s11, s7, s34
	s_cmp_ge_u32 s7, s34
	s_cselect_b32 s0, s1, s0
	s_cselect_b32 s7, s11, s7
	s_add_i32 s1, s0, 1
	s_cmp_ge_u32 s7, s34
	s_cselect_b32 s22, s1, s0
.LBB75_7:
	s_mul_i32 s0, s22, s35
	s_mul_hi_u32 s1, s22, s34
	s_load_dwordx2 s[24:25], s[4:5], 0x78
	s_add_i32 s0, s1, s0
	s_mul_i32 s1, s23, s34
	s_add_i32 s0, s0, s1
	s_mul_i32 s1, s22, s34
	s_sub_u32 s7, s26, s1
	s_subb_u32 s11, s27, s0
	v_cmp_gt_i32_e32 vcc, s20, v0
	s_mul_hi_u32 s42, s22, s8
	s_mul_i32 s43, s23, s8
	s_mul_i32 s44, s22, s8
	s_mul_hi_u32 s33, s7, s9
	s_mul_i32 s11, s11, s9
	s_mul_i32 s23, s7, s9
	s_and_saveexec_b64 s[26:27], vcc
	s_cbranch_execz .LBB75_42
; %bb.8:
	s_ashr_i32 s0, s8, 31
	s_mul_i32 s0, s22, s0
	s_load_dword s1, s[4:5], 0x8c
	s_add_i32 s0, s42, s0
	s_add_i32 s34, s0, s43
	s_ashr_i32 s0, s9, 31
	s_mul_i32 s0, s7, s0
	s_add_i32 s0, s33, s0
	s_ashr_i32 s21, s20, 31
	s_add_i32 s35, s0, s11
	s_ashr_i32 s36, s10, 31
	s_waitcnt lgkmcnt(0)
	s_and_b32 s46, s1, 0xffff
	s_lshl_b64 s[0:1], s[30:31], 1
	s_add_u32 s0, s28, s0
	s_addc_u32 s1, s29, s1
	v_mov_b32_e32 v2, s1
	v_add_co_u32_e32 v1, vcc, s0, v3
	v_addc_co_u32_e32 v10, vcc, 0, v2, vcc
	s_lshl_b32 s48, s46, 1
	s_lshl_b64 s[0:1], s[20:21], 1
	v_add_co_u32_e32 v11, vcc, s0, v1
	s_add_u32 s0, s44, s23
	v_mov_b32_e32 v2, s1
	s_addc_u32 s1, s34, s35
	s_add_u32 s21, s2, s10
	s_addc_u32 s28, s3, s36
	s_add_u32 s0, s21, s0
	v_addc_co_u32_e32 v12, vcc, v10, v2, vcc
	s_addc_u32 s1, s28, s1
	v_mov_b32_e32 v2, s1
	v_add_co_u32_e32 v3, vcc, s0, v3
	s_mul_i32 s0, s13, s6
	s_mul_hi_u32 s1, s12, s6
	s_add_i32 s1, s1, s0
	s_mul_i32 s0, s12, s6
	v_addc_co_u32_e32 v2, vcc, 0, v2, vcc
	s_lshl_b64 s[0:1], s[0:1], 2
	v_add_co_u32_e32 v13, vcc, 1, v3
	s_add_u32 s0, s16, s0
	s_load_dword s45, s[24:25], 0x0
	v_addc_co_u32_e32 v14, vcc, 0, v2, vcc
	v_lshlrev_b32_e32 v2, 3, v0
	s_addc_u32 s1, s17, s1
	v_mov_b32_e32 v3, s1
	v_add_co_u32_e32 v2, vcc, s0, v2
	v_addc_co_u32_e32 v3, vcc, 0, v3, vcc
	v_add_co_u32_e32 v2, vcc, 4, v2
	s_mov_b32 s47, 0
	v_addc_co_u32_e32 v3, vcc, 0, v3, vcc
	s_lshl_b32 s21, s46, 3
	s_mov_b64 s[12:13], 0
	v_mov_b32_e32 v5, 0
	s_movk_i32 s49, 0x80
	s_mov_b64 s[16:17], 0x7f800000
	s_mov_b64 s[28:29], 0x43e00001
	s_movk_i32 s50, 0x7a
	s_mov_b64 s[30:31], 0xffffff
	s_movk_i32 s51, 0x7f
	v_mov_b32_e32 v15, 0xffffff82
	v_mov_b32_e32 v16, 0x78
	s_mov_b64 s[34:35], 0
	v_mov_b32_e32 v17, v0
	s_branch .LBB75_10
.LBB75_9:                               ;   in Loop: Header=BB75_10 Depth=1
	s_or_b64 exec, exec, s[0:1]
	v_add_u32_e32 v17, s46, v17
	s_add_u32 s34, s34, s48
	s_addc_u32 s35, s35, 0
	v_cmp_le_i32_e32 vcc, s20, v17
	v_mov_b32_e32 v4, s47
	s_or_b64 s[12:13], vcc, s[12:13]
	v_add_co_u32_e32 v2, vcc, s21, v2
	v_addc_co_u32_e32 v3, vcc, v3, v4, vcc
	global_store_byte v[6:7], v9, off
	s_andn2_b64 exec, exec, s[12:13]
	s_cbranch_execz .LBB75_42
.LBB75_10:                              ; =>This Inner Loop Header: Depth=1
	v_mov_b32_e32 v4, s35
	v_add_co_u32_e32 v6, vcc, s34, v11
	v_addc_co_u32_e32 v7, vcc, v12, v4, vcc
	global_load_ushort v9, v[6:7], off
	v_add_co_u32_e32 v6, vcc, s34, v1
	v_addc_co_u32_e32 v7, vcc, v10, v4, vcc
	global_load_dwordx2 v[18:19], v[2:3], off offset:-4
	global_load_ushort v4, v[6:7], off
	s_waitcnt vmcnt(2)
	v_cvt_f32_f16_e32 v6, v9
	s_waitcnt vmcnt(1)
	v_mul_f32_e32 v6, v19, v6
	s_waitcnt vmcnt(0)
	v_fma_mix_f32 v6, v18, v4, -v6 op_sel_hi:[0,1,0]
	v_cvt_f32_f16_e32 v7, v6
	v_cvt_f32_f16_e32 v4, v4
	s_waitcnt lgkmcnt(0)
	v_div_scale_f32 v8, s[0:1], s45, s45, v7
	v_rcp_f32_e32 v20, v8
	v_div_scale_f32 v21, vcc, v7, s45, v7
	v_mul_f32_e32 v4, v19, v4
	v_fma_f32 v22, -v8, v20, 1.0
	v_fmac_f32_e32 v20, v22, v20
	v_mul_f32_e32 v22, v21, v20
	v_fma_f32 v23, -v8, v22, v21
	v_fmac_f32_e32 v22, v23, v20
	v_fma_f32 v8, -v8, v22, v21
	v_div_fmas_f32 v8, v8, v20, v22
	v_div_fixup_f32 v7, v8, s45, v7
	v_cvt_f16_f32_e32 v7, v7
	v_mov_b32_e32 v21, v5
	v_cvt_f32_f16_e32 v8, v7
	v_fma_mix_f32 v7, v18, v9, v4 op_sel_hi:[0,1,0]
	global_store_dwordx2 v[2:3], v[6:7], off offset:-4
	v_and_b32_sdwa v6, v8, s49 dst_sel:DWORD dst_unused:UNUSED_PAD src0_sel:BYTE_3 src1_sel:DWORD
	v_and_b32_e32 v20, 0x7f800000, v8
	v_and_b32_e32 v4, 0x7fffff, v8
	v_or_b32_e32 v9, 0x7e, v6
	v_cmp_ne_u64_e32 vcc, s[16:17], v[20:21]
	s_and_saveexec_b64 s[0:1], vcc
	s_xor_b64 s[36:37], exec, s[0:1]
	s_cbranch_execz .LBB75_24
; %bb.11:                               ;   in Loop: Header=BB75_10 Depth=1
	v_and_b32_e32 v18, 0x7fffffff, v8
	v_mov_b32_e32 v19, v5
	v_cmp_gt_u64_e32 vcc, s[28:29], v[18:19]
	s_and_saveexec_b64 s[0:1], vcc
	s_xor_b64 s[38:39], exec, s[0:1]
	s_cbranch_execz .LBB75_23
; %bb.12:                               ;   in Loop: Header=BB75_10 Depth=1
	v_cmp_ne_u32_e32 vcc, 0, v8
	v_mov_b32_e32 v9, 0
	s_and_saveexec_b64 s[40:41], vcc
	s_cbranch_execz .LBB75_22
; %bb.13:                               ;   in Loop: Header=BB75_10 Depth=1
	v_bfe_u32 v8, v8, 23, 8
	v_sub_u32_e32 v18, 0x79, v8
	v_cmp_gt_u32_e32 vcc, s50, v8
	v_cndmask_b32_e32 v18, 0, v18, vcc
	v_cmp_eq_u32_e32 vcc, 0, v8
	v_cndmask_b32_e32 v18, v18, v16, vcc
	v_add_u32_e32 v9, 0xffffff81, v8
	v_or_b32_e32 v19, 0x800000, v4
	v_add_u32_e32 v8, 20, v18
	v_cndmask_b32_e32 v24, v9, v15, vcc
	v_cndmask_b32_e32 v4, v19, v4, vcc
	v_lshlrev_b64 v[8:9], v8, -1
	v_not_b32_e32 v8, v8
	v_lshrrev_b64 v[22:23], v18, v[4:5]
	v_not_b32_e32 v9, v9
	v_and_b32_e32 v8, v4, v8
	v_add_u32_e32 v19, 19, v18
	v_lshrrev_b32_e32 v4, 23, v22
	v_and_b32_e32 v9, 0, v9
	v_lshlrev_b64 v[20:21], v19, 1
	v_add3_u32 v19, v18, v24, v4
	v_bfe_u32 v4, v22, 20, 1
	v_add_u32_e32 v4, -1, v4
	v_cmp_eq_u64_e32 vcc, v[8:9], v[20:21]
	v_cndmask_b32_e32 v4, 0, v4, vcc
	v_add_u32_e32 v4, v4, v22
	v_and_b32_e32 v4, 0xfffff, v4
	v_add_co_u32_e32 v8, vcc, v4, v22
	v_add_u32_e32 v18, 6, v19
	v_addc_co_u32_e32 v9, vcc, 0, v23, vcc
	v_cmp_ne_u32_e32 vcc, 0, v18
                                        ; implicit-def: $vgpr4
	s_and_saveexec_b64 s[0:1], vcc
	s_xor_b64 s[0:1], exec, s[0:1]
; %bb.14:                               ;   in Loop: Header=BB75_10 Depth=1
	v_add_u32_e32 v4, 7, v19
	v_cmp_lt_u64_e32 vcc, s[30:31], v[8:9]
	v_cndmask_b32_e32 v4, v18, v4, vcc
	v_cndmask_b32_e64 v18, 0, 1, vcc
	v_lshrrev_b64 v[8:9], v18, v[8:9]
; %bb.15:                               ;   in Loop: Header=BB75_10 Depth=1
	s_andn2_saveexec_b64 s[0:1], s[0:1]
; %bb.16:                               ;   in Loop: Header=BB75_10 Depth=1
	v_bfe_u32 v4, v8, 23, 1
; %bb.17:                               ;   in Loop: Header=BB75_10 Depth=1
	s_or_b64 exec, exec, s[0:1]
	v_lshrrev_b64 v[8:9], 20, v[8:9]
	v_cmp_gt_i32_e32 vcc, 16, v4
	v_cndmask_b32_e32 v9, 0, v9, vcc
	v_cndmask_b32_e32 v8, 7, v8, vcc
	v_cmp_ne_u32_e32 vcc, 0, v4
	v_cmp_ne_u64_e64 s[0:1], 0, v[8:9]
	s_or_b64 s[0:1], vcc, s[0:1]
                                        ; implicit-def: $vgpr9
	s_and_saveexec_b64 s[52:53], s[0:1]
	s_xor_b64 s[0:1], exec, s[52:53]
; %bb.18:                               ;   in Loop: Header=BB75_10 Depth=1
	v_min_i32_e32 v4, 15, v4
	v_lshl_or_b32 v4, v4, 3, v6
	v_and_or_b32 v9, v8, 7, v4
                                        ; implicit-def: $vgpr6
; %bb.19:                               ;   in Loop: Header=BB75_10 Depth=1
	s_andn2_saveexec_b64 s[0:1], s[0:1]
; %bb.20:                               ;   in Loop: Header=BB75_10 Depth=1
	v_mov_b32_e32 v9, v6
; %bb.21:                               ;   in Loop: Header=BB75_10 Depth=1
	s_or_b64 exec, exec, s[0:1]
.LBB75_22:                              ;   in Loop: Header=BB75_10 Depth=1
	s_or_b64 exec, exec, s[40:41]
.LBB75_23:                              ;   in Loop: Header=BB75_10 Depth=1
	s_andn2_saveexec_b64 s[0:1], s[38:39]
	s_or_b64 exec, exec, s[0:1]
                                        ; implicit-def: $vgpr8
.LBB75_24:                              ;   in Loop: Header=BB75_10 Depth=1
	s_andn2_saveexec_b64 s[0:1], s[36:37]
; %bb.25:                               ;   in Loop: Header=BB75_10 Depth=1
	v_or_b32_sdwa v6, v8, s51 dst_sel:DWORD dst_unused:UNUSED_PAD src0_sel:BYTE_3 src1_sel:DWORD
	v_cmp_eq_u64_e32 vcc, 0, v[4:5]
	v_cndmask_b32_e32 v9, v6, v9, vcc
; %bb.26:                               ;   in Loop: Header=BB75_10 Depth=1
	s_or_b64 exec, exec, s[0:1]
	v_cvt_f32_f16_e32 v4, v7
	v_mov_b32_e32 v21, v5
	v_div_scale_f32 v6, s[0:1], s45, s45, v4
	v_rcp_f32_e32 v7, v6
	v_div_scale_f32 v8, vcc, v4, s45, v4
	v_fma_f32 v18, -v6, v7, 1.0
	v_fmac_f32_e32 v7, v18, v7
	v_mul_f32_e32 v18, v8, v7
	v_fma_f32 v19, -v6, v18, v8
	v_fmac_f32_e32 v18, v19, v7
	v_fma_f32 v6, -v6, v18, v8
	v_div_fmas_f32 v6, v6, v7, v18
	v_div_fixup_f32 v4, v6, s45, v4
	v_cvt_f16_f32_e32 v4, v4
	v_mov_b32_e32 v7, s35
	v_add_co_u32_e32 v6, vcc, s34, v13
	v_cvt_f32_f16_e32 v8, v4
	v_addc_co_u32_e32 v7, vcc, v14, v7, vcc
	global_store_byte v[6:7], v9, off offset:-1
	v_and_b32_sdwa v18, v8, s49 dst_sel:DWORD dst_unused:UNUSED_PAD src0_sel:BYTE_3 src1_sel:DWORD
	v_and_b32_e32 v20, 0x7f800000, v8
	v_and_b32_e32 v4, 0x7fffff, v8
	v_or_b32_e32 v9, 0x7e, v18
	v_cmp_ne_u64_e32 vcc, s[16:17], v[20:21]
	s_and_saveexec_b64 s[0:1], vcc
	s_xor_b64 s[36:37], exec, s[0:1]
	s_cbranch_execz .LBB75_40
; %bb.27:                               ;   in Loop: Header=BB75_10 Depth=1
	v_and_b32_e32 v20, 0x7fffffff, v8
	v_mov_b32_e32 v21, v5
	v_cmp_gt_u64_e32 vcc, s[28:29], v[20:21]
	s_and_saveexec_b64 s[0:1], vcc
	s_xor_b64 s[38:39], exec, s[0:1]
	s_cbranch_execz .LBB75_39
; %bb.28:                               ;   in Loop: Header=BB75_10 Depth=1
	v_cmp_ne_u32_e32 vcc, 0, v8
	v_mov_b32_e32 v9, 0
	s_and_saveexec_b64 s[40:41], vcc
	s_cbranch_execz .LBB75_38
; %bb.29:                               ;   in Loop: Header=BB75_10 Depth=1
	v_bfe_u32 v8, v8, 23, 8
	v_sub_u32_e32 v19, 0x79, v8
	v_cmp_gt_u32_e32 vcc, s50, v8
	v_cndmask_b32_e32 v19, 0, v19, vcc
	v_cmp_eq_u32_e32 vcc, 0, v8
	v_cndmask_b32_e32 v19, v19, v16, vcc
	v_add_u32_e32 v9, 0xffffff81, v8
	v_or_b32_e32 v20, 0x800000, v4
	v_add_u32_e32 v8, 20, v19
	v_cndmask_b32_e32 v21, v9, v15, vcc
	v_cndmask_b32_e32 v4, v20, v4, vcc
	v_lshlrev_b64 v[8:9], v8, -1
	v_not_b32_e32 v8, v8
	v_lshrrev_b64 v[24:25], v19, v[4:5]
	v_not_b32_e32 v9, v9
	v_and_b32_e32 v8, v4, v8
	v_add_u32_e32 v20, 19, v19
	v_lshrrev_b32_e32 v4, 23, v24
	v_and_b32_e32 v9, 0, v9
	v_lshlrev_b64 v[22:23], v20, 1
	v_add3_u32 v20, v19, v21, v4
	v_bfe_u32 v4, v24, 20, 1
	v_add_u32_e32 v4, -1, v4
	v_cmp_eq_u64_e32 vcc, v[8:9], v[22:23]
	v_cndmask_b32_e32 v4, 0, v4, vcc
	v_add_u32_e32 v4, v4, v24
	v_and_b32_e32 v4, 0xfffff, v4
	v_add_co_u32_e32 v8, vcc, v4, v24
	v_add_u32_e32 v19, 6, v20
	v_addc_co_u32_e32 v9, vcc, 0, v25, vcc
	v_cmp_ne_u32_e32 vcc, 0, v19
                                        ; implicit-def: $vgpr4
	s_and_saveexec_b64 s[0:1], vcc
	s_xor_b64 s[0:1], exec, s[0:1]
; %bb.30:                               ;   in Loop: Header=BB75_10 Depth=1
	v_add_u32_e32 v4, 7, v20
	v_cmp_lt_u64_e32 vcc, s[30:31], v[8:9]
	v_cndmask_b32_e32 v4, v19, v4, vcc
	v_cndmask_b32_e64 v19, 0, 1, vcc
	v_lshrrev_b64 v[8:9], v19, v[8:9]
; %bb.31:                               ;   in Loop: Header=BB75_10 Depth=1
	s_andn2_saveexec_b64 s[0:1], s[0:1]
; %bb.32:                               ;   in Loop: Header=BB75_10 Depth=1
	v_bfe_u32 v4, v8, 23, 1
; %bb.33:                               ;   in Loop: Header=BB75_10 Depth=1
	s_or_b64 exec, exec, s[0:1]
	v_lshrrev_b64 v[8:9], 20, v[8:9]
	v_cmp_gt_i32_e32 vcc, 16, v4
	v_cndmask_b32_e32 v9, 0, v9, vcc
	v_cndmask_b32_e32 v8, 7, v8, vcc
	v_cmp_ne_u32_e32 vcc, 0, v4
	v_cmp_ne_u64_e64 s[0:1], 0, v[8:9]
	s_or_b64 s[0:1], vcc, s[0:1]
                                        ; implicit-def: $vgpr9
	s_and_saveexec_b64 s[52:53], s[0:1]
	s_xor_b64 s[0:1], exec, s[52:53]
; %bb.34:                               ;   in Loop: Header=BB75_10 Depth=1
	v_min_i32_e32 v4, 15, v4
	v_lshl_or_b32 v4, v4, 3, v18
	v_and_or_b32 v9, v8, 7, v4
                                        ; implicit-def: $vgpr18
; %bb.35:                               ;   in Loop: Header=BB75_10 Depth=1
	s_andn2_saveexec_b64 s[0:1], s[0:1]
; %bb.36:                               ;   in Loop: Header=BB75_10 Depth=1
	v_mov_b32_e32 v9, v18
; %bb.37:                               ;   in Loop: Header=BB75_10 Depth=1
	s_or_b64 exec, exec, s[0:1]
.LBB75_38:                              ;   in Loop: Header=BB75_10 Depth=1
	s_or_b64 exec, exec, s[40:41]
.LBB75_39:                              ;   in Loop: Header=BB75_10 Depth=1
	s_andn2_saveexec_b64 s[0:1], s[38:39]
	s_or_b64 exec, exec, s[0:1]
                                        ; implicit-def: $vgpr8
.LBB75_40:                              ;   in Loop: Header=BB75_10 Depth=1
	s_andn2_saveexec_b64 s[0:1], s[36:37]
	s_cbranch_execz .LBB75_9
; %bb.41:                               ;   in Loop: Header=BB75_10 Depth=1
	v_or_b32_sdwa v8, v8, s51 dst_sel:DWORD dst_unused:UNUSED_PAD src0_sel:BYTE_3 src1_sel:DWORD
	v_cmp_eq_u64_e32 vcc, 0, v[4:5]
	v_cndmask_b32_e32 v9, v8, v9, vcc
	s_branch .LBB75_9
.LBB75_42:
	s_or_b64 exec, exec, s[26:27]
	v_cmp_gt_i32_e32 vcc, s10, v0
	s_and_saveexec_b64 s[0:1], vcc
	s_cbranch_execz .LBB75_61
; %bb.43:
	s_mul_i32 s0, s6, s15
	s_mul_hi_u32 s1, s6, s14
	s_add_i32 s1, s1, s0
	s_mul_i32 s0, s6, s14
	s_lshl_b64 s[0:1], s[0:1], 2
	s_add_u32 s18, s18, s0
	s_addc_u32 s0, s19, s1
	s_ashr_i32 s1, s8, 31
	s_mul_i32 s1, s22, s1
	s_add_i32 s1, s42, s1
	s_add_i32 s1, s1, s43
	s_add_u32 s2, s2, s44
	s_addc_u32 s1, s3, s1
	s_ashr_i32 s3, s9, 31
	s_load_dword s4, s[4:5], 0x8c
	s_mul_i32 s7, s7, s3
	s_waitcnt lgkmcnt(0)
	s_load_dword s20, s[24:25], 0x0
	s_add_i32 s3, s33, s7
	s_add_i32 s3, s3, s11
	s_add_u32 s11, s2, s23
	s_addc_u32 s19, s1, s3
	s_and_b32 s21, s4, 0xffff
	s_mov_b64 s[2:3], 0
	v_mov_b32_e32 v6, s0
	v_mov_b32_e32 v3, 0
	s_movk_i32 s22, 0x80
	s_mov_b64 s[4:5], 0x7f800000
	s_mov_b64 s[6:7], 0x43e00001
	s_movk_i32 s23, 0x7a
	s_mov_b64 s[8:9], 0xffffff
	s_movk_i32 s24, 0x7f
	v_mov_b32_e32 v7, 0xffffff82
	v_mov_b32_e32 v8, 0x78
	s_branch .LBB75_45
.LBB75_44:                              ;   in Loop: Header=BB75_45 Depth=1
	s_or_b64 exec, exec, s[0:1]
	v_mov_b32_e32 v2, s19
	v_add_co_u32_e32 v10, vcc, s11, v0
	v_addc_co_u32_e32 v11, vcc, v2, v1, vcc
	v_add_u32_e32 v0, s21, v0
	v_cmp_le_i32_e32 vcc, s10, v0
	s_or_b64 s[2:3], vcc, s[2:3]
	global_store_byte v[10:11], v5, off
	s_andn2_b64 exec, exec, s[2:3]
	s_cbranch_execz .LBB75_61
.LBB75_45:                              ; =>This Inner Loop Header: Depth=1
	v_ashrrev_i32_e32 v1, 31, v0
	v_lshlrev_b64 v[4:5], 2, v[0:1]
	v_add_co_u32_e32 v4, vcc, s18, v4
	v_addc_co_u32_e32 v5, vcc, v6, v5, vcc
	global_load_ushort v2, v[4:5], off
	s_waitcnt vmcnt(0)
	v_cvt_f32_f16_e32 v2, v2
	s_waitcnt lgkmcnt(0)
	v_div_scale_f32 v4, s[0:1], s20, s20, v2
	v_rcp_f32_e32 v5, v4
	v_div_scale_f32 v9, vcc, v2, s20, v2
	v_fma_f32 v10, -v4, v5, 1.0
	v_fmac_f32_e32 v5, v10, v5
	v_mul_f32_e32 v10, v9, v5
	v_fma_f32 v11, -v4, v10, v9
	v_fmac_f32_e32 v10, v11, v5
	v_fma_f32 v4, -v4, v10, v9
	v_div_fmas_f32 v4, v4, v5, v10
	v_div_fixup_f32 v2, v4, s20, v2
	v_cvt_f16_f32_e32 v2, v2
	v_mov_b32_e32 v11, v3
	v_cvt_f32_f16_e32 v4, v2
	v_and_b32_sdwa v9, v4, s22 dst_sel:DWORD dst_unused:UNUSED_PAD src0_sel:BYTE_3 src1_sel:DWORD
	v_and_b32_e32 v10, 0x7f800000, v4
	v_and_b32_e32 v2, 0x7fffff, v4
	v_or_b32_e32 v5, 0x7e, v9
	v_cmp_ne_u64_e32 vcc, s[4:5], v[10:11]
	s_and_saveexec_b64 s[0:1], vcc
	s_xor_b64 s[12:13], exec, s[0:1]
	s_cbranch_execz .LBB75_59
; %bb.46:                               ;   in Loop: Header=BB75_45 Depth=1
	v_and_b32_e32 v10, 0x7fffffff, v4
	v_mov_b32_e32 v11, v3
	v_cmp_gt_u64_e32 vcc, s[6:7], v[10:11]
	s_and_saveexec_b64 s[0:1], vcc
	s_xor_b64 s[14:15], exec, s[0:1]
	s_cbranch_execz .LBB75_58
; %bb.47:                               ;   in Loop: Header=BB75_45 Depth=1
	v_cmp_ne_u32_e32 vcc, 0, v4
	v_mov_b32_e32 v5, 0
	s_and_saveexec_b64 s[16:17], vcc
	s_cbranch_execz .LBB75_57
; %bb.48:                               ;   in Loop: Header=BB75_45 Depth=1
	v_bfe_u32 v4, v4, 23, 8
	v_sub_u32_e32 v10, 0x79, v4
	v_cmp_gt_u32_e32 vcc, s23, v4
	v_cndmask_b32_e32 v10, 0, v10, vcc
	v_cmp_eq_u32_e32 vcc, 0, v4
	v_cndmask_b32_e32 v10, v10, v8, vcc
	v_add_u32_e32 v5, 0xffffff81, v4
	v_or_b32_e32 v11, 0x800000, v2
	v_add_u32_e32 v4, 20, v10
	v_cndmask_b32_e32 v16, v5, v7, vcc
	v_cndmask_b32_e32 v2, v11, v2, vcc
	v_lshlrev_b64 v[4:5], v4, -1
	v_not_b32_e32 v4, v4
	v_lshrrev_b64 v[14:15], v10, v[2:3]
	v_not_b32_e32 v5, v5
	v_and_b32_e32 v4, v2, v4
	v_add_u32_e32 v11, 19, v10
	v_lshrrev_b32_e32 v2, 23, v14
	v_and_b32_e32 v5, 0, v5
	v_lshlrev_b64 v[12:13], v11, 1
	v_add3_u32 v11, v10, v16, v2
	v_bfe_u32 v2, v14, 20, 1
	v_add_u32_e32 v2, -1, v2
	v_cmp_eq_u64_e32 vcc, v[4:5], v[12:13]
	v_cndmask_b32_e32 v2, 0, v2, vcc
	v_add_u32_e32 v2, v2, v14
	v_and_b32_e32 v2, 0xfffff, v2
	v_add_co_u32_e32 v4, vcc, v2, v14
	v_add_u32_e32 v10, 6, v11
	v_addc_co_u32_e32 v5, vcc, 0, v15, vcc
	v_cmp_ne_u32_e32 vcc, 0, v10
                                        ; implicit-def: $vgpr2
	s_and_saveexec_b64 s[0:1], vcc
	s_xor_b64 s[0:1], exec, s[0:1]
; %bb.49:                               ;   in Loop: Header=BB75_45 Depth=1
	v_add_u32_e32 v2, 7, v11
	v_cmp_lt_u64_e32 vcc, s[8:9], v[4:5]
	v_cndmask_b32_e32 v2, v10, v2, vcc
	v_cndmask_b32_e64 v10, 0, 1, vcc
	v_lshrrev_b64 v[4:5], v10, v[4:5]
; %bb.50:                               ;   in Loop: Header=BB75_45 Depth=1
	s_andn2_saveexec_b64 s[0:1], s[0:1]
; %bb.51:                               ;   in Loop: Header=BB75_45 Depth=1
	v_bfe_u32 v2, v4, 23, 1
; %bb.52:                               ;   in Loop: Header=BB75_45 Depth=1
	s_or_b64 exec, exec, s[0:1]
	v_lshrrev_b64 v[4:5], 20, v[4:5]
	v_cmp_gt_i32_e32 vcc, 16, v2
	v_cndmask_b32_e32 v5, 0, v5, vcc
	v_cndmask_b32_e32 v4, 7, v4, vcc
	v_cmp_ne_u32_e32 vcc, 0, v2
	v_cmp_ne_u64_e64 s[0:1], 0, v[4:5]
	s_or_b64 s[0:1], vcc, s[0:1]
                                        ; implicit-def: $vgpr5
	s_and_saveexec_b64 s[26:27], s[0:1]
	s_xor_b64 s[0:1], exec, s[26:27]
; %bb.53:                               ;   in Loop: Header=BB75_45 Depth=1
	v_min_i32_e32 v2, 15, v2
	v_lshl_or_b32 v2, v2, 3, v9
	v_and_or_b32 v5, v4, 7, v2
                                        ; implicit-def: $vgpr9
; %bb.54:                               ;   in Loop: Header=BB75_45 Depth=1
	s_andn2_saveexec_b64 s[0:1], s[0:1]
; %bb.55:                               ;   in Loop: Header=BB75_45 Depth=1
	v_mov_b32_e32 v5, v9
; %bb.56:                               ;   in Loop: Header=BB75_45 Depth=1
	s_or_b64 exec, exec, s[0:1]
.LBB75_57:                              ;   in Loop: Header=BB75_45 Depth=1
	s_or_b64 exec, exec, s[16:17]
.LBB75_58:                              ;   in Loop: Header=BB75_45 Depth=1
	s_andn2_saveexec_b64 s[0:1], s[14:15]
	s_or_b64 exec, exec, s[0:1]
                                        ; implicit-def: $vgpr4
.LBB75_59:                              ;   in Loop: Header=BB75_45 Depth=1
	s_andn2_saveexec_b64 s[0:1], s[12:13]
	s_cbranch_execz .LBB75_44
; %bb.60:                               ;   in Loop: Header=BB75_45 Depth=1
	v_or_b32_sdwa v4, v4, s24 dst_sel:DWORD dst_unused:UNUSED_PAD src0_sel:BYTE_3 src1_sel:DWORD
	v_cmp_eq_u64_e32 vcc, 0, v[2:3]
	v_cndmask_b32_e32 v5, v4, v5, vcc
	s_branch .LBB75_44
.LBB75_61:
	s_endpgm
.LBB75_62:
                                        ; implicit-def: $sgpr22_sgpr23
	s_branch .LBB75_6
	.section	.rodata,"a",@progbits
	.p2align	6, 0x0
	.amdhsa_kernel _ZN4vllm38concat_and_cache_mla_rope_fused_kernelIfN3c104HalfELb0EthLNS_18Fp8KVCacheDataTypeE1EEEvPKlPT_S7_PKS6_PKT0_illlliPT3_S5_iiiiPKf
		.amdhsa_group_segment_fixed_size 0
		.amdhsa_private_segment_fixed_size 0
		.amdhsa_kernarg_size 384
		.amdhsa_user_sgpr_count 6
		.amdhsa_user_sgpr_private_segment_buffer 1
		.amdhsa_user_sgpr_dispatch_ptr 0
		.amdhsa_user_sgpr_queue_ptr 0
		.amdhsa_user_sgpr_kernarg_segment_ptr 1
		.amdhsa_user_sgpr_dispatch_id 0
		.amdhsa_user_sgpr_flat_scratch_init 0
		.amdhsa_user_sgpr_kernarg_preload_length 0
		.amdhsa_user_sgpr_kernarg_preload_offset 0
		.amdhsa_user_sgpr_private_segment_size 0
		.amdhsa_uses_dynamic_stack 0
		.amdhsa_system_sgpr_private_segment_wavefront_offset 0
		.amdhsa_system_sgpr_workgroup_id_x 1
		.amdhsa_system_sgpr_workgroup_id_y 0
		.amdhsa_system_sgpr_workgroup_id_z 0
		.amdhsa_system_sgpr_workgroup_info 0
		.amdhsa_system_vgpr_workitem_id 0
		.amdhsa_next_free_vgpr 26
		.amdhsa_next_free_sgpr 54
		.amdhsa_accum_offset 28
		.amdhsa_reserve_vcc 1
		.amdhsa_reserve_flat_scratch 0
		.amdhsa_float_round_mode_32 0
		.amdhsa_float_round_mode_16_64 0
		.amdhsa_float_denorm_mode_32 3
		.amdhsa_float_denorm_mode_16_64 3
		.amdhsa_dx10_clamp 1
		.amdhsa_ieee_mode 1
		.amdhsa_fp16_overflow 0
		.amdhsa_tg_split 0
		.amdhsa_exception_fp_ieee_invalid_op 0
		.amdhsa_exception_fp_denorm_src 0
		.amdhsa_exception_fp_ieee_div_zero 0
		.amdhsa_exception_fp_ieee_overflow 0
		.amdhsa_exception_fp_ieee_underflow 0
		.amdhsa_exception_fp_ieee_inexact 0
		.amdhsa_exception_int_div_zero 0
	.end_amdhsa_kernel
	.section	.text._ZN4vllm38concat_and_cache_mla_rope_fused_kernelIfN3c104HalfELb0EthLNS_18Fp8KVCacheDataTypeE1EEEvPKlPT_S7_PKS6_PKT0_illlliPT3_S5_iiiiPKf,"axG",@progbits,_ZN4vllm38concat_and_cache_mla_rope_fused_kernelIfN3c104HalfELb0EthLNS_18Fp8KVCacheDataTypeE1EEEvPKlPT_S7_PKS6_PKT0_illlliPT3_S5_iiiiPKf,comdat
.Lfunc_end75:
	.size	_ZN4vllm38concat_and_cache_mla_rope_fused_kernelIfN3c104HalfELb0EthLNS_18Fp8KVCacheDataTypeE1EEEvPKlPT_S7_PKS6_PKT0_illlliPT3_S5_iiiiPKf, .Lfunc_end75-_ZN4vllm38concat_and_cache_mla_rope_fused_kernelIfN3c104HalfELb0EthLNS_18Fp8KVCacheDataTypeE1EEEvPKlPT_S7_PKS6_PKT0_illlliPT3_S5_iiiiPKf
                                        ; -- End function
	.section	.AMDGPU.csdata,"",@progbits
; Kernel info:
; codeLenInByte = 3676
; NumSgprs: 58
; NumVgprs: 26
; NumAgprs: 0
; TotalNumVgprs: 26
; ScratchSize: 0
; MemoryBound: 0
; FloatMode: 240
; IeeeMode: 1
; LDSByteSize: 0 bytes/workgroup (compile time only)
; SGPRBlocks: 7
; VGPRBlocks: 3
; NumSGPRsForWavesPerEU: 58
; NumVGPRsForWavesPerEU: 26
; AccumOffset: 28
; Occupancy: 8
; WaveLimiterHint : 1
; COMPUTE_PGM_RSRC2:SCRATCH_EN: 0
; COMPUTE_PGM_RSRC2:USER_SGPR: 6
; COMPUTE_PGM_RSRC2:TRAP_HANDLER: 0
; COMPUTE_PGM_RSRC2:TGID_X_EN: 1
; COMPUTE_PGM_RSRC2:TGID_Y_EN: 0
; COMPUTE_PGM_RSRC2:TGID_Z_EN: 0
; COMPUTE_PGM_RSRC2:TIDIG_COMP_CNT: 0
; COMPUTE_PGM_RSRC3_GFX90A:ACCUM_OFFSET: 6
; COMPUTE_PGM_RSRC3_GFX90A:TG_SPLIT: 0
	.section	.text._ZN4vllm38concat_and_cache_mla_rope_fused_kernelIfN3c108BFloat16ELb1EthLNS_18Fp8KVCacheDataTypeE1EEEvPKlPT_S7_PKS6_PKT0_illlliPT3_S5_iiiiPKf,"axG",@progbits,_ZN4vllm38concat_and_cache_mla_rope_fused_kernelIfN3c108BFloat16ELb1EthLNS_18Fp8KVCacheDataTypeE1EEEvPKlPT_S7_PKS6_PKT0_illlliPT3_S5_iiiiPKf,comdat
	.protected	_ZN4vllm38concat_and_cache_mla_rope_fused_kernelIfN3c108BFloat16ELb1EthLNS_18Fp8KVCacheDataTypeE1EEEvPKlPT_S7_PKS6_PKT0_illlliPT3_S5_iiiiPKf ; -- Begin function _ZN4vllm38concat_and_cache_mla_rope_fused_kernelIfN3c108BFloat16ELb1EthLNS_18Fp8KVCacheDataTypeE1EEEvPKlPT_S7_PKS6_PKT0_illlliPT3_S5_iiiiPKf
	.globl	_ZN4vllm38concat_and_cache_mla_rope_fused_kernelIfN3c108BFloat16ELb1EthLNS_18Fp8KVCacheDataTypeE1EEEvPKlPT_S7_PKS6_PKT0_illlliPT3_S5_iiiiPKf
	.p2align	8
	.type	_ZN4vllm38concat_and_cache_mla_rope_fused_kernelIfN3c108BFloat16ELb1EthLNS_18Fp8KVCacheDataTypeE1EEEvPKlPT_S7_PKS6_PKT0_illlliPT3_S5_iiiiPKf,@function
_ZN4vllm38concat_and_cache_mla_rope_fused_kernelIfN3c108BFloat16ELb1EthLNS_18Fp8KVCacheDataTypeE1EEEvPKlPT_S7_PKS6_PKT0_illlliPT3_S5_iiiiPKf: ; @_ZN4vllm38concat_and_cache_mla_rope_fused_kernelIfN3c108BFloat16ELb1EthLNS_18Fp8KVCacheDataTypeE1EEEvPKlPT_S7_PKS6_PKT0_illlliPT3_S5_iiiiPKf
; %bb.0:
	s_load_dwordx2 s[2:3], s[4:5], 0x60
	s_mov_b32 s7, 0
	s_lshl_b64 s[0:1], s[6:7], 3
	s_waitcnt lgkmcnt(0)
	s_add_u32 s2, s2, s0
	s_addc_u32 s3, s3, s1
	s_load_dwordx2 s[26:27], s[2:3], 0x0
	s_waitcnt lgkmcnt(0)
	v_cmp_lt_i64_e64 s[2:3], s[26:27], 0
	s_and_b64 vcc, exec, s[2:3]
	s_cbranch_vccnz .LBB76_61
; %bb.1:
	s_load_dword s7, s[4:5], 0x28
	s_load_dwordx2 s[2:3], s[4:5], 0x0
	s_load_dwordx4 s[16:19], s[4:5], 0x10
	s_waitcnt lgkmcnt(0)
	s_ashr_i32 s22, s7, 31
	s_add_u32 s0, s2, s0
	s_addc_u32 s1, s3, s1
	s_load_dwordx2 s[20:21], s[0:1], 0x0
	s_load_dwordx2 s[28:29], s[4:5], 0x20
	s_load_dwordx8 s[8:15], s[4:5], 0x30
	s_load_dwordx2 s[2:3], s[4:5], 0x58
	s_load_dword s23, s[4:5], 0x50
	s_waitcnt lgkmcnt(0)
	s_mul_i32 s0, s20, s22
	s_mul_hi_u32 s1, s20, s7
	s_mul_i32 s21, s21, s7
	s_add_i32 s0, s1, s0
	s_add_i32 s31, s0, s21
	s_lshr_b32 s0, s7, 31
	s_mul_i32 s30, s20, s7
	s_add_i32 s7, s7, s0
	s_ashr_i32 s20, s7, 1
	s_mul_i32 s7, s20, s23
	v_cmp_gt_i32_e32 vcc, s7, v0
	s_and_saveexec_b64 s[0:1], vcc
	s_cbranch_execz .LBB76_4
; %bb.2:
	s_lshl_b64 s[22:23], s[30:31], 1
	s_add_u32 s33, s28, s22
	s_addc_u32 s24, s29, s23
	s_load_dwordx2 s[22:23], s[4:5], 0x8
	s_mul_i32 s9, s6, s9
	s_mul_hi_u32 s25, s6, s8
	s_add_i32 s9, s25, s9
	s_load_dword s25, s[4:5], 0x8c
	s_mul_i32 s8, s6, s8
	s_ashr_i32 s21, s20, 31
	s_lshl_b64 s[8:9], s[8:9], 2
	s_waitcnt lgkmcnt(0)
	s_add_u32 s34, s22, s8
	s_addc_u32 s38, s23, s9
	s_abs_i32 s35, s20
	v_cvt_f32_u32_e32 v1, s35
	s_sub_i32 s8, 0, s35
	s_and_b32 s36, s25, 0xffff
	v_mov_b32_e32 v3, s24
	v_rcp_iflag_f32_e32 v1, v1
	s_lshl_b64 s[22:23], s[20:21], 1
	s_lshl_b64 s[24:25], s[20:21], 2
	s_sub_i32 s37, 0, s20
	v_mul_f32_e32 v1, 0x4f7ffffe, v1
	v_cvt_u32_f32_e32 v1, v1
	v_mov_b32_e32 v4, s23
	v_mov_b32_e32 v5, s38
	;; [unrolled: 1-line block ×3, first 2 shown]
	v_mul_lo_u32 v2, s8, v1
	v_mul_hi_u32 v2, v1, v2
	v_add_u32_e32 v1, v1, v2
	s_mov_b64 s[8:9], 0
	v_mov_b32_e32 v2, v0
.LBB76_3:                               ; =>This Inner Loop Header: Depth=1
	v_sub_u32_e32 v8, 0, v2
	v_max_i32_e32 v8, v2, v8
	v_mul_hi_u32 v9, v8, v1
	v_mul_lo_u32 v10, v9, s35
	v_sub_u32_e32 v8, v8, v10
	v_add_u32_e32 v11, 1, v9
	v_cmp_le_u32_e32 vcc, s35, v8
	v_subrev_u32_e32 v10, s35, v8
	v_cndmask_b32_e32 v9, v9, v11, vcc
	v_cndmask_b32_e32 v8, v8, v10, vcc
	v_ashrrev_i32_e32 v7, 31, v2
	v_add_u32_e32 v10, 1, v9
	v_cmp_le_u32_e32 vcc, s35, v8
	v_xor_b32_e32 v7, s21, v7
	v_cndmask_b32_e32 v8, v9, v10, vcc
	v_xor_b32_e32 v8, v8, v7
	v_sub_u32_e32 v7, v8, v7
	v_mad_u64_u32 v[8:9], s[38:39], s37, v7, v[2:3]
	v_ashrrev_i32_e32 v12, 31, v7
	v_ashrrev_i32_e32 v9, 31, v8
	v_mul_lo_u32 v14, v7, s11
	v_mad_u64_u32 v[10:11], s[38:39], v7, s10, 0
	v_mul_lo_u32 v7, v12, s10
	v_lshlrev_b64 v[12:13], 1, v[8:9]
	v_add_co_u32_e32 v12, vcc, s33, v12
	v_addc_co_u32_e32 v13, vcc, v3, v13, vcc
	v_add3_u32 v11, v11, v14, v7
	v_add_co_u32_e32 v14, vcc, s22, v12
	v_lshlrev_b64 v[10:11], 2, v[10:11]
	v_addc_co_u32_e32 v15, vcc, v13, v4, vcc
	v_add_co_u32_e32 v7, vcc, s34, v10
	v_lshlrev_b64 v[8:9], 2, v[8:9]
	v_addc_co_u32_e32 v10, vcc, v5, v11, vcc
	v_add_co_u32_e32 v8, vcc, v7, v8
	v_addc_co_u32_e32 v9, vcc, v10, v9, vcc
	global_load_ushort v16, v[12:13], off
	global_load_ushort v17, v[14:15], off
	v_add_co_u32_e32 v10, vcc, s24, v8
	v_addc_co_u32_e32 v11, vcc, v9, v6, vcc
	global_load_dword v7, v[8:9], off
	global_load_dword v12, v[10:11], off
	v_add_u32_e32 v2, s36, v2
	v_cmp_le_i32_e32 vcc, s7, v2
	s_or_b64 s[8:9], vcc, s[8:9]
	s_waitcnt vmcnt(3)
	v_lshlrev_b32_e32 v13, 16, v16
	s_waitcnt vmcnt(2)
	v_lshlrev_b32_e32 v14, 16, v17
	s_waitcnt vmcnt(1)
	v_mul_f32_e32 v15, v7, v14
	s_waitcnt vmcnt(0)
	v_mul_f32_e32 v14, v12, v14
	v_fma_f32 v7, v7, v13, -v14
	v_fmac_f32_e32 v15, v12, v13
	global_store_dword v[8:9], v7, off
	global_store_dword v[10:11], v15, off
	s_andn2_b64 exec, exec, s[8:9]
	s_cbranch_execnz .LBB76_3
.LBB76_4:
	s_or_b64 exec, exec, s[0:1]
	s_load_dwordx4 s[8:11], s[4:5], 0x68
	s_waitcnt lgkmcnt(0)
	s_ashr_i32 s35, s11, 31
	s_mov_b32 s34, s11
	s_or_b64 s[0:1], s[26:27], s[34:35]
	s_mov_b32 s0, 0
	s_cmp_lg_u64 s[0:1], 0
	s_cbranch_scc0 .LBB76_62
; %bb.5:
	s_add_u32 s0, s34, s35
	s_mov_b32 s22, s35
	s_mov_b32 s23, s35
	s_addc_u32 s1, s35, s35
	s_xor_b64 s[36:37], s[0:1], s[22:23]
	v_cvt_f32_u32_e32 v1, s36
	v_cvt_f32_u32_e32 v2, s37
	s_sub_u32 s0, 0, s36
	s_subb_u32 s1, 0, s37
	v_madmk_f32 v1, v2, 0x4f800000, v1
	v_rcp_f32_e32 v1, v1
	v_mul_f32_e32 v1, 0x5f7ffffc, v1
	v_mul_f32_e32 v2, 0x2f800000, v1
	v_trunc_f32_e32 v2, v2
	v_madmk_f32 v1, v2, 0xcf800000, v1
	v_cvt_u32_f32_e32 v2, v2
	v_cvt_u32_f32_e32 v1, v1
	v_readfirstlane_b32 s7, v2
	v_readfirstlane_b32 s11, v1
	s_mul_i32 s21, s0, s7
	s_mul_hi_u32 s38, s0, s11
	s_mul_i32 s33, s1, s11
	s_add_i32 s21, s38, s21
	s_add_i32 s21, s21, s33
	s_mul_i32 s39, s0, s11
	s_mul_hi_u32 s33, s11, s21
	s_mul_i32 s38, s11, s21
	s_mul_hi_u32 s11, s11, s39
	s_add_u32 s11, s11, s38
	s_addc_u32 s33, 0, s33
	s_mul_hi_u32 s40, s7, s39
	s_mul_i32 s39, s7, s39
	s_add_u32 s11, s11, s39
	s_mul_hi_u32 s38, s7, s21
	s_addc_u32 s11, s33, s40
	s_addc_u32 s33, s38, 0
	s_mul_i32 s21, s7, s21
	s_add_u32 s11, s11, s21
	s_addc_u32 s21, 0, s33
	v_add_co_u32_e32 v1, vcc, s11, v1
	s_cmp_lg_u64 vcc, 0
	s_addc_u32 s7, s7, s21
	v_readfirstlane_b32 s21, v1
	s_mul_i32 s11, s0, s7
	s_mul_hi_u32 s33, s0, s21
	s_add_i32 s11, s33, s11
	s_mul_i32 s1, s1, s21
	s_add_i32 s11, s11, s1
	s_mul_i32 s0, s0, s21
	s_mul_hi_u32 s33, s7, s0
	s_mul_i32 s38, s7, s0
	s_mul_i32 s40, s21, s11
	s_mul_hi_u32 s0, s21, s0
	s_mul_hi_u32 s39, s21, s11
	s_add_u32 s0, s0, s40
	s_addc_u32 s21, 0, s39
	s_add_u32 s0, s0, s38
	s_mul_hi_u32 s1, s7, s11
	s_addc_u32 s0, s21, s33
	s_addc_u32 s1, s1, 0
	s_mul_i32 s11, s7, s11
	s_add_u32 s0, s0, s11
	s_addc_u32 s1, 0, s1
	v_add_co_u32_e32 v1, vcc, s0, v1
	s_cmp_lg_u64 vcc, 0
	s_addc_u32 s7, s7, s1
	s_ashr_i32 s38, s27, 31
	s_add_u32 s0, s26, s38
	s_mov_b32 s39, s38
	s_addc_u32 s1, s27, s38
	s_xor_b64 s[40:41], s[0:1], s[38:39]
	v_readfirstlane_b32 s11, v1
	s_mul_i32 s1, s40, s7
	s_mul_hi_u32 s21, s40, s11
	s_mul_hi_u32 s0, s40, s7
	s_add_u32 s1, s21, s1
	s_addc_u32 s0, 0, s0
	s_mul_hi_u32 s33, s41, s11
	s_mul_i32 s11, s41, s11
	s_add_u32 s1, s1, s11
	s_mul_hi_u32 s21, s41, s7
	s_addc_u32 s0, s0, s33
	s_addc_u32 s1, s21, 0
	s_mul_i32 s7, s41, s7
	s_add_u32 s7, s0, s7
	s_addc_u32 s11, 0, s1
	s_mul_i32 s0, s36, s11
	s_mul_hi_u32 s1, s36, s7
	s_add_i32 s0, s1, s0
	s_mul_i32 s1, s37, s7
	s_add_i32 s21, s0, s1
	s_mul_i32 s1, s36, s7
	v_mov_b32_e32 v1, s1
	s_sub_i32 s0, s41, s21
	v_sub_co_u32_e32 v1, vcc, s40, v1
	s_cmp_lg_u64 vcc, 0
	s_subb_u32 s33, s0, s37
	v_subrev_co_u32_e64 v2, s[0:1], s36, v1
	s_cmp_lg_u64 s[0:1], 0
	s_subb_u32 s0, s33, 0
	s_cmp_ge_u32 s0, s37
	v_readfirstlane_b32 s33, v2
	s_cselect_b32 s1, -1, 0
	s_cmp_ge_u32 s33, s36
	s_cselect_b32 s33, -1, 0
	s_cmp_eq_u32 s0, s37
	s_cselect_b32 s0, s33, s1
	s_add_u32 s1, s7, 1
	s_addc_u32 s33, s11, 0
	s_add_u32 s40, s7, 2
	s_addc_u32 s42, s11, 0
	s_cmp_lg_u32 s0, 0
	s_cselect_b32 s0, s40, s1
	s_cselect_b32 s1, s42, s33
	s_cmp_lg_u64 vcc, 0
	s_subb_u32 s21, s41, s21
	s_cmp_ge_u32 s21, s37
	v_readfirstlane_b32 s40, v1
	s_cselect_b32 s33, -1, 0
	s_cmp_ge_u32 s40, s36
	s_cselect_b32 s36, -1, 0
	s_cmp_eq_u32 s21, s37
	s_cselect_b32 s21, s36, s33
	s_cmp_lg_u32 s21, 0
	s_cselect_b32 s1, s1, s11
	s_cselect_b32 s0, s0, s7
	s_xor_b64 s[22:23], s[38:39], s[22:23]
	s_xor_b64 s[0:1], s[0:1], s[22:23]
	s_sub_u32 s22, s0, s22
	s_subb_u32 s23, s1, s23
	s_cbranch_execnz .LBB76_7
.LBB76_6:
	v_cvt_f32_u32_e32 v1, s34
	s_sub_i32 s0, 0, s34
	s_mov_b32 s23, 0
	v_rcp_iflag_f32_e32 v1, v1
	v_mul_f32_e32 v1, 0x4f7ffffe, v1
	v_cvt_u32_f32_e32 v1, v1
	v_readfirstlane_b32 s1, v1
	s_mul_i32 s0, s0, s1
	s_mul_hi_u32 s0, s1, s0
	s_add_i32 s1, s1, s0
	s_mul_hi_u32 s0, s26, s1
	s_mul_i32 s7, s0, s34
	s_sub_i32 s7, s26, s7
	s_add_i32 s1, s0, 1
	s_sub_i32 s11, s7, s34
	s_cmp_ge_u32 s7, s34
	s_cselect_b32 s0, s1, s0
	s_cselect_b32 s7, s11, s7
	s_add_i32 s1, s0, 1
	s_cmp_ge_u32 s7, s34
	s_cselect_b32 s22, s1, s0
.LBB76_7:
	s_mul_i32 s0, s22, s35
	s_mul_hi_u32 s1, s22, s34
	s_load_dwordx2 s[24:25], s[4:5], 0x78
	s_add_i32 s0, s1, s0
	s_mul_i32 s1, s23, s34
	s_add_i32 s0, s0, s1
	s_mul_i32 s1, s22, s34
	s_sub_u32 s7, s26, s1
	s_subb_u32 s11, s27, s0
	v_cmp_gt_i32_e32 vcc, s20, v0
	s_mul_hi_u32 s46, s22, s8
	s_mul_i32 s47, s23, s8
	s_mul_i32 s48, s22, s8
	s_mul_hi_u32 s33, s7, s9
	s_mul_i32 s11, s11, s9
	s_mul_i32 s23, s7, s9
	s_and_saveexec_b64 s[26:27], vcc
	s_cbranch_execz .LBB76_42
; %bb.8:
	s_ashr_i32 s0, s8, 31
	s_ashr_i32 s1, s9, 31
	s_mul_i32 s0, s22, s0
	s_mul_i32 s1, s7, s1
	s_add_i32 s0, s46, s0
	s_add_i32 s1, s33, s1
	s_ashr_i32 s21, s20, 31
	s_add_i32 s0, s0, s47
	s_add_i32 s1, s1, s11
	s_add_u32 s34, s48, s23
	s_load_dword s36, s[4:5], 0x8c
	s_addc_u32 s35, s0, s1
	s_add_u32 s0, s34, s2
	s_addc_u32 s1, s35, s3
	s_ashr_i32 s37, s10, 31
	s_add_u32 s49, s0, s10
	s_addc_u32 s50, s1, s37
	s_waitcnt lgkmcnt(0)
	s_and_b32 s52, s36, 0xffff
	s_lshl_b64 s[0:1], s[30:31], 1
	s_add_u32 s0, s28, s0
	v_lshlrev_b32_e32 v1, 1, v0
	s_addc_u32 s1, s29, s1
	v_mov_b32_e32 v2, s1
	v_add_co_u32_e32 v4, vcc, s0, v1
	s_mul_i32 s0, s13, s6
	s_mul_hi_u32 s1, s12, s6
	s_add_i32 s1, s1, s0
	s_mul_i32 s0, s12, s6
	s_lshl_b32 s54, s52, 1
	s_lshl_b64 s[28:29], s[20:21], 1
	s_lshl_b64 s[30:31], s[20:21], 2
	;; [unrolled: 1-line block ×3, first 2 shown]
	s_add_u32 s0, s16, s0
	v_addc_co_u32_e32 v5, vcc, 0, v2, vcc
	v_lshlrev_b32_e32 v1, 2, v0
	s_addc_u32 s1, s17, s1
	s_lshl_b32 s55, s52, 2
	v_add_co_u32_e32 v6, vcc, s0, v1
	s_add_u32 s0, s34, s20
	s_load_dword s51, s[24:25], 0x0
	v_mov_b32_e32 v2, s1
	s_addc_u32 s1, s35, s21
	s_add_u32 s0, s0, s10
	s_addc_u32 s1, s1, s37
	s_mov_b32 s53, 0
	s_add_u32 s21, s2, s0
	v_mov_b32_e32 v3, 0
	v_addc_co_u32_e32 v7, vcc, 0, v2, vcc
	s_mov_b32 s56, s53
	s_addc_u32 s57, s3, s1
	s_mov_b64 s[12:13], 0
	v_mov_b32_e32 v1, s29
	v_mov_b32_e32 v10, s31
	s_movk_i32 s29, 0x80
	s_mov_b64 s[16:17], 0x7f800000
	s_mov_b64 s[34:35], 0x43e00001
	s_movk_i32 s31, 0x7a
	s_mov_b64 s[36:37], 0xffffff
	s_movk_i32 s58, 0x7f
	v_mov_b32_e32 v11, 0xffffff82
	v_mov_b32_e32 v12, 0x78
	s_mov_b64 s[38:39], 0
	s_branch .LBB76_10
.LBB76_9:                               ;   in Loop: Header=BB76_10 Depth=1
	s_or_b64 exec, exec, s[0:1]
	s_add_u32 s38, s38, s52
	v_mov_b32_e32 v2, s57
	v_add_co_u32_e32 v14, vcc, s21, v0
	s_addc_u32 s39, s39, 0
	v_addc_co_u32_e32 v15, vcc, 0, v2, vcc
	s_add_u32 s21, s21, s52
	v_mov_b32_e32 v8, s53
	v_add_co_u32_e32 v4, vcc, s54, v4
	s_addc_u32 s57, s57, 0
	v_add_u32_e32 v2, s38, v0
	v_addc_co_u32_e32 v5, vcc, v5, v8, vcc
	s_add_u32 s49, s49, s52
	s_addc_u32 s50, s50, 0
	v_cmp_le_i32_e32 vcc, s20, v2
	v_mov_b32_e32 v8, s56
	s_or_b64 s[12:13], vcc, s[12:13]
	v_add_co_u32_e32 v6, vcc, s55, v6
	v_addc_co_u32_e32 v7, vcc, v7, v8, vcc
	global_store_byte v[14:15], v9, off
	s_andn2_b64 exec, exec, s[12:13]
	s_cbranch_execz .LBB76_42
.LBB76_10:                              ; =>This Inner Loop Header: Depth=1
	v_add_co_u32_e32 v8, vcc, s28, v4
	v_addc_co_u32_e32 v9, vcc, v5, v1, vcc
	global_load_ushort v2, v[4:5], off
	v_add_co_u32_e32 v14, vcc, s30, v6
	global_load_ushort v8, v[8:9], off
	v_addc_co_u32_e32 v15, vcc, v7, v10, vcc
	global_load_dword v9, v[14:15], off
	global_load_dword v13, v[6:7], off
	s_waitcnt vmcnt(3)
	v_lshlrev_b32_e32 v2, 16, v2
	s_waitcnt vmcnt(2)
	v_lshlrev_b32_e32 v8, 16, v8
	s_waitcnt vmcnt(1)
	v_mul_f32_e32 v16, v9, v8
	s_waitcnt vmcnt(0)
	v_fma_f32 v16, v13, v2, -v16
	v_cvt_f32_f16_e32 v17, v16
	v_mul_f32_e32 v13, v13, v8
	v_fmac_f32_e32 v13, v9, v2
	global_store_dword v[6:7], v16, off
	global_store_dword v[14:15], v13, off
	s_waitcnt lgkmcnt(0)
	v_div_scale_f32 v18, s[0:1], s51, s51, v17
	v_rcp_f32_e32 v19, v18
	v_div_scale_f32 v20, vcc, v17, s51, v17
	v_fma_f32 v21, -v18, v19, 1.0
	v_fmac_f32_e32 v19, v21, v19
	v_mul_f32_e32 v21, v20, v19
	v_fma_f32 v22, -v18, v21, v20
	v_fmac_f32_e32 v21, v22, v19
	v_fma_f32 v18, -v18, v21, v20
	v_div_fmas_f32 v18, v18, v19, v21
	v_div_fixup_f32 v17, v18, s51, v17
	v_cvt_f16_f32_e32 v18, v17
	v_mov_b32_e32 v17, v3
	v_cvt_f32_f16_e32 v8, v18
	v_and_b32_sdwa v14, v8, s29 dst_sel:DWORD dst_unused:UNUSED_PAD src0_sel:BYTE_3 src1_sel:DWORD
	v_and_b32_e32 v16, 0x7f800000, v8
	v_and_b32_e32 v2, 0x7fffff, v8
	v_or_b32_e32 v9, 0x7e, v14
	v_cmp_ne_u64_e32 vcc, s[16:17], v[16:17]
	s_and_saveexec_b64 s[0:1], vcc
	s_xor_b64 s[40:41], exec, s[0:1]
	s_cbranch_execz .LBB76_24
; %bb.11:                               ;   in Loop: Header=BB76_10 Depth=1
	v_and_b32_e32 v16, 0x7fffffff, v8
	v_mov_b32_e32 v17, v3
	v_cmp_gt_u64_e32 vcc, s[34:35], v[16:17]
	s_and_saveexec_b64 s[0:1], vcc
	s_xor_b64 s[42:43], exec, s[0:1]
	s_cbranch_execz .LBB76_23
; %bb.12:                               ;   in Loop: Header=BB76_10 Depth=1
	v_cmp_ne_u32_e32 vcc, 0, v8
	v_mov_b32_e32 v9, 0
	s_and_saveexec_b64 s[44:45], vcc
	s_cbranch_execz .LBB76_22
; %bb.13:                               ;   in Loop: Header=BB76_10 Depth=1
	v_bfe_u32 v8, v8, 23, 8
	v_sub_u32_e32 v15, 0x79, v8
	v_cmp_gt_u32_e32 vcc, s31, v8
	v_cndmask_b32_e32 v15, 0, v15, vcc
	v_cmp_eq_u32_e32 vcc, 0, v8
	v_cndmask_b32_e32 v15, v15, v12, vcc
	v_add_u32_e32 v9, 0xffffff81, v8
	v_or_b32_e32 v16, 0x800000, v2
	v_add_u32_e32 v8, 20, v15
	v_cndmask_b32_e32 v17, v9, v11, vcc
	v_cndmask_b32_e32 v2, v16, v2, vcc
	v_lshlrev_b64 v[8:9], v8, -1
	v_not_b32_e32 v8, v8
	v_lshrrev_b64 v[20:21], v15, v[2:3]
	v_not_b32_e32 v9, v9
	v_and_b32_e32 v8, v2, v8
	v_add_u32_e32 v16, 19, v15
	v_lshrrev_b32_e32 v2, 23, v20
	v_and_b32_e32 v9, 0, v9
	v_lshlrev_b64 v[18:19], v16, 1
	v_add3_u32 v16, v15, v17, v2
	v_bfe_u32 v2, v20, 20, 1
	v_add_u32_e32 v2, -1, v2
	v_cmp_eq_u64_e32 vcc, v[8:9], v[18:19]
	v_cndmask_b32_e32 v2, 0, v2, vcc
	v_add_u32_e32 v2, v2, v20
	v_and_b32_e32 v2, 0xfffff, v2
	v_add_co_u32_e32 v8, vcc, v2, v20
	v_add_u32_e32 v15, 6, v16
	v_addc_co_u32_e32 v9, vcc, 0, v21, vcc
	v_cmp_ne_u32_e32 vcc, 0, v15
                                        ; implicit-def: $vgpr2
	s_and_saveexec_b64 s[0:1], vcc
	s_xor_b64 s[0:1], exec, s[0:1]
; %bb.14:                               ;   in Loop: Header=BB76_10 Depth=1
	v_add_u32_e32 v2, 7, v16
	v_cmp_lt_u64_e32 vcc, s[36:37], v[8:9]
	v_cndmask_b32_e32 v2, v15, v2, vcc
	v_cndmask_b32_e64 v15, 0, 1, vcc
	v_lshrrev_b64 v[8:9], v15, v[8:9]
; %bb.15:                               ;   in Loop: Header=BB76_10 Depth=1
	s_andn2_saveexec_b64 s[0:1], s[0:1]
; %bb.16:                               ;   in Loop: Header=BB76_10 Depth=1
	v_bfe_u32 v2, v8, 23, 1
; %bb.17:                               ;   in Loop: Header=BB76_10 Depth=1
	s_or_b64 exec, exec, s[0:1]
	v_lshrrev_b64 v[8:9], 20, v[8:9]
	v_cmp_gt_i32_e32 vcc, 16, v2
	v_cndmask_b32_e32 v9, 0, v9, vcc
	v_cndmask_b32_e32 v8, 7, v8, vcc
	v_cmp_ne_u32_e32 vcc, 0, v2
	v_cmp_ne_u64_e64 s[0:1], 0, v[8:9]
	s_or_b64 s[0:1], vcc, s[0:1]
                                        ; implicit-def: $vgpr9
	s_and_saveexec_b64 s[60:61], s[0:1]
	s_xor_b64 s[0:1], exec, s[60:61]
; %bb.18:                               ;   in Loop: Header=BB76_10 Depth=1
	v_min_i32_e32 v2, 15, v2
	v_lshl_or_b32 v2, v2, 3, v14
	v_and_or_b32 v9, v8, 7, v2
                                        ; implicit-def: $vgpr14
; %bb.19:                               ;   in Loop: Header=BB76_10 Depth=1
	s_andn2_saveexec_b64 s[0:1], s[0:1]
; %bb.20:                               ;   in Loop: Header=BB76_10 Depth=1
	v_mov_b32_e32 v9, v14
; %bb.21:                               ;   in Loop: Header=BB76_10 Depth=1
	s_or_b64 exec, exec, s[0:1]
.LBB76_22:                              ;   in Loop: Header=BB76_10 Depth=1
	s_or_b64 exec, exec, s[44:45]
.LBB76_23:                              ;   in Loop: Header=BB76_10 Depth=1
	s_andn2_saveexec_b64 s[0:1], s[42:43]
	s_or_b64 exec, exec, s[0:1]
                                        ; implicit-def: $vgpr8
.LBB76_24:                              ;   in Loop: Header=BB76_10 Depth=1
	s_andn2_saveexec_b64 s[0:1], s[40:41]
; %bb.25:                               ;   in Loop: Header=BB76_10 Depth=1
	v_or_b32_sdwa v8, v8, s58 dst_sel:DWORD dst_unused:UNUSED_PAD src0_sel:BYTE_3 src1_sel:DWORD
	v_cmp_eq_u64_e32 vcc, 0, v[2:3]
	v_cndmask_b32_e32 v9, v8, v9, vcc
; %bb.26:                               ;   in Loop: Header=BB76_10 Depth=1
	s_or_b64 exec, exec, s[0:1]
	v_cvt_f32_f16_e32 v2, v13
	v_div_scale_f32 v8, s[0:1], s51, s51, v2
	v_rcp_f32_e32 v13, v8
	v_div_scale_f32 v14, vcc, v2, s51, v2
	v_fma_f32 v15, -v8, v13, 1.0
	v_fmac_f32_e32 v13, v15, v13
	v_mul_f32_e32 v15, v14, v13
	v_fma_f32 v16, -v8, v15, v14
	v_fmac_f32_e32 v15, v16, v13
	v_fma_f32 v8, -v8, v15, v14
	v_div_fmas_f32 v8, v8, v13, v15
	v_div_fixup_f32 v2, v8, s51, v2
	v_cvt_f16_f32_e32 v2, v2
	v_mov_b32_e32 v13, s50
	v_add_co_u32_e32 v14, vcc, s49, v0
	v_cvt_f32_f16_e32 v8, v2
	v_addc_co_u32_e32 v15, vcc, 0, v13, vcc
	global_store_byte v[14:15], v9, off
	v_and_b32_sdwa v13, v8, s29 dst_sel:DWORD dst_unused:UNUSED_PAD src0_sel:BYTE_3 src1_sel:DWORD
	v_and_b32_e32 v14, 0x7f800000, v8
	v_mov_b32_e32 v15, v3
	v_and_b32_e32 v2, 0x7fffff, v8
	v_or_b32_e32 v9, 0x7e, v13
	v_cmp_ne_u64_e32 vcc, s[16:17], v[14:15]
	s_and_saveexec_b64 s[0:1], vcc
	s_xor_b64 s[40:41], exec, s[0:1]
	s_cbranch_execz .LBB76_40
; %bb.27:                               ;   in Loop: Header=BB76_10 Depth=1
	v_and_b32_e32 v14, 0x7fffffff, v8
	v_mov_b32_e32 v15, v3
	v_cmp_gt_u64_e32 vcc, s[34:35], v[14:15]
	s_and_saveexec_b64 s[0:1], vcc
	s_xor_b64 s[42:43], exec, s[0:1]
	s_cbranch_execz .LBB76_39
; %bb.28:                               ;   in Loop: Header=BB76_10 Depth=1
	v_cmp_ne_u32_e32 vcc, 0, v8
	v_mov_b32_e32 v9, 0
	s_and_saveexec_b64 s[44:45], vcc
	s_cbranch_execz .LBB76_38
; %bb.29:                               ;   in Loop: Header=BB76_10 Depth=1
	v_bfe_u32 v8, v8, 23, 8
	v_sub_u32_e32 v14, 0x79, v8
	v_cmp_gt_u32_e32 vcc, s31, v8
	v_cndmask_b32_e32 v14, 0, v14, vcc
	v_cmp_eq_u32_e32 vcc, 0, v8
	v_cndmask_b32_e32 v14, v14, v12, vcc
	v_add_u32_e32 v9, 0xffffff81, v8
	v_or_b32_e32 v15, 0x800000, v2
	v_add_u32_e32 v8, 20, v14
	v_cndmask_b32_e32 v20, v9, v11, vcc
	v_cndmask_b32_e32 v2, v15, v2, vcc
	v_lshlrev_b64 v[8:9], v8, -1
	v_not_b32_e32 v8, v8
	v_lshrrev_b64 v[18:19], v14, v[2:3]
	v_not_b32_e32 v9, v9
	v_and_b32_e32 v8, v2, v8
	v_add_u32_e32 v15, 19, v14
	v_lshrrev_b32_e32 v2, 23, v18
	v_and_b32_e32 v9, 0, v9
	v_lshlrev_b64 v[16:17], v15, 1
	v_add3_u32 v15, v14, v20, v2
	v_bfe_u32 v2, v18, 20, 1
	v_add_u32_e32 v2, -1, v2
	v_cmp_eq_u64_e32 vcc, v[8:9], v[16:17]
	v_cndmask_b32_e32 v2, 0, v2, vcc
	v_add_u32_e32 v2, v2, v18
	v_and_b32_e32 v2, 0xfffff, v2
	v_add_co_u32_e32 v8, vcc, v2, v18
	v_add_u32_e32 v14, 6, v15
	v_addc_co_u32_e32 v9, vcc, 0, v19, vcc
	v_cmp_ne_u32_e32 vcc, 0, v14
                                        ; implicit-def: $vgpr2
	s_and_saveexec_b64 s[0:1], vcc
	s_xor_b64 s[0:1], exec, s[0:1]
; %bb.30:                               ;   in Loop: Header=BB76_10 Depth=1
	v_add_u32_e32 v2, 7, v15
	v_cmp_lt_u64_e32 vcc, s[36:37], v[8:9]
	v_cndmask_b32_e32 v2, v14, v2, vcc
	v_cndmask_b32_e64 v14, 0, 1, vcc
	v_lshrrev_b64 v[8:9], v14, v[8:9]
; %bb.31:                               ;   in Loop: Header=BB76_10 Depth=1
	s_andn2_saveexec_b64 s[0:1], s[0:1]
; %bb.32:                               ;   in Loop: Header=BB76_10 Depth=1
	v_bfe_u32 v2, v8, 23, 1
; %bb.33:                               ;   in Loop: Header=BB76_10 Depth=1
	s_or_b64 exec, exec, s[0:1]
	v_lshrrev_b64 v[8:9], 20, v[8:9]
	v_cmp_gt_i32_e32 vcc, 16, v2
	v_cndmask_b32_e32 v9, 0, v9, vcc
	v_cndmask_b32_e32 v8, 7, v8, vcc
	v_cmp_ne_u32_e32 vcc, 0, v2
	v_cmp_ne_u64_e64 s[0:1], 0, v[8:9]
	s_or_b64 s[0:1], vcc, s[0:1]
                                        ; implicit-def: $vgpr9
	s_and_saveexec_b64 s[60:61], s[0:1]
	s_xor_b64 s[0:1], exec, s[60:61]
; %bb.34:                               ;   in Loop: Header=BB76_10 Depth=1
	v_min_i32_e32 v2, 15, v2
	v_lshl_or_b32 v2, v2, 3, v13
	v_and_or_b32 v9, v8, 7, v2
                                        ; implicit-def: $vgpr13
; %bb.35:                               ;   in Loop: Header=BB76_10 Depth=1
	s_andn2_saveexec_b64 s[0:1], s[0:1]
; %bb.36:                               ;   in Loop: Header=BB76_10 Depth=1
	v_mov_b32_e32 v9, v13
; %bb.37:                               ;   in Loop: Header=BB76_10 Depth=1
	s_or_b64 exec, exec, s[0:1]
.LBB76_38:                              ;   in Loop: Header=BB76_10 Depth=1
	s_or_b64 exec, exec, s[44:45]
.LBB76_39:                              ;   in Loop: Header=BB76_10 Depth=1
	s_andn2_saveexec_b64 s[0:1], s[42:43]
	s_or_b64 exec, exec, s[0:1]
                                        ; implicit-def: $vgpr8
.LBB76_40:                              ;   in Loop: Header=BB76_10 Depth=1
	s_andn2_saveexec_b64 s[0:1], s[40:41]
	s_cbranch_execz .LBB76_9
; %bb.41:                               ;   in Loop: Header=BB76_10 Depth=1
	v_or_b32_sdwa v8, v8, s58 dst_sel:DWORD dst_unused:UNUSED_PAD src0_sel:BYTE_3 src1_sel:DWORD
	v_cmp_eq_u64_e32 vcc, 0, v[2:3]
	v_cndmask_b32_e32 v9, v8, v9, vcc
	s_branch .LBB76_9
.LBB76_42:
	s_or_b64 exec, exec, s[26:27]
	v_cmp_gt_i32_e32 vcc, s10, v0
	s_and_saveexec_b64 s[0:1], vcc
	s_cbranch_execz .LBB76_61
; %bb.43:
	s_mul_i32 s0, s6, s15
	s_mul_hi_u32 s1, s6, s14
	s_add_i32 s1, s1, s0
	s_mul_i32 s0, s6, s14
	s_lshl_b64 s[0:1], s[0:1], 2
	s_add_u32 s18, s18, s0
	s_addc_u32 s0, s19, s1
	s_ashr_i32 s1, s8, 31
	s_mul_i32 s1, s22, s1
	s_add_i32 s1, s46, s1
	s_add_i32 s1, s1, s47
	s_add_u32 s2, s2, s48
	s_addc_u32 s1, s3, s1
	s_ashr_i32 s3, s9, 31
	s_load_dword s4, s[4:5], 0x8c
	s_mul_i32 s7, s7, s3
	s_waitcnt lgkmcnt(0)
	s_load_dword s20, s[24:25], 0x0
	s_add_i32 s3, s33, s7
	s_add_i32 s3, s3, s11
	s_add_u32 s11, s2, s23
	s_addc_u32 s19, s1, s3
	s_and_b32 s21, s4, 0xffff
	s_mov_b64 s[2:3], 0
	v_mov_b32_e32 v6, s0
	v_mov_b32_e32 v3, 0
	s_movk_i32 s22, 0x80
	s_mov_b64 s[4:5], 0x7f800000
	s_mov_b64 s[6:7], 0x43e00001
	s_movk_i32 s23, 0x7a
	s_mov_b64 s[8:9], 0xffffff
	s_movk_i32 s24, 0x7f
	v_mov_b32_e32 v7, 0xffffff82
	v_mov_b32_e32 v8, 0x78
	s_branch .LBB76_45
.LBB76_44:                              ;   in Loop: Header=BB76_45 Depth=1
	s_or_b64 exec, exec, s[0:1]
	v_mov_b32_e32 v2, s19
	v_add_co_u32_e32 v10, vcc, s11, v0
	v_addc_co_u32_e32 v11, vcc, v2, v1, vcc
	v_add_u32_e32 v0, s21, v0
	v_cmp_le_i32_e32 vcc, s10, v0
	s_or_b64 s[2:3], vcc, s[2:3]
	global_store_byte v[10:11], v5, off
	s_andn2_b64 exec, exec, s[2:3]
	s_cbranch_execz .LBB76_61
.LBB76_45:                              ; =>This Inner Loop Header: Depth=1
	v_ashrrev_i32_e32 v1, 31, v0
	v_lshlrev_b64 v[4:5], 2, v[0:1]
	v_add_co_u32_e32 v4, vcc, s18, v4
	v_addc_co_u32_e32 v5, vcc, v6, v5, vcc
	global_load_ushort v2, v[4:5], off
	s_waitcnt vmcnt(0)
	v_cvt_f32_f16_e32 v2, v2
	s_waitcnt lgkmcnt(0)
	v_div_scale_f32 v4, s[0:1], s20, s20, v2
	v_rcp_f32_e32 v5, v4
	v_div_scale_f32 v9, vcc, v2, s20, v2
	v_fma_f32 v10, -v4, v5, 1.0
	v_fmac_f32_e32 v5, v10, v5
	v_mul_f32_e32 v10, v9, v5
	v_fma_f32 v11, -v4, v10, v9
	v_fmac_f32_e32 v10, v11, v5
	v_fma_f32 v4, -v4, v10, v9
	v_div_fmas_f32 v4, v4, v5, v10
	v_div_fixup_f32 v2, v4, s20, v2
	v_cvt_f16_f32_e32 v2, v2
	v_mov_b32_e32 v11, v3
	v_cvt_f32_f16_e32 v4, v2
	v_and_b32_sdwa v9, v4, s22 dst_sel:DWORD dst_unused:UNUSED_PAD src0_sel:BYTE_3 src1_sel:DWORD
	v_and_b32_e32 v10, 0x7f800000, v4
	v_and_b32_e32 v2, 0x7fffff, v4
	v_or_b32_e32 v5, 0x7e, v9
	v_cmp_ne_u64_e32 vcc, s[4:5], v[10:11]
	s_and_saveexec_b64 s[0:1], vcc
	s_xor_b64 s[12:13], exec, s[0:1]
	s_cbranch_execz .LBB76_59
; %bb.46:                               ;   in Loop: Header=BB76_45 Depth=1
	v_and_b32_e32 v10, 0x7fffffff, v4
	v_mov_b32_e32 v11, v3
	v_cmp_gt_u64_e32 vcc, s[6:7], v[10:11]
	s_and_saveexec_b64 s[0:1], vcc
	s_xor_b64 s[14:15], exec, s[0:1]
	s_cbranch_execz .LBB76_58
; %bb.47:                               ;   in Loop: Header=BB76_45 Depth=1
	v_cmp_ne_u32_e32 vcc, 0, v4
	v_mov_b32_e32 v5, 0
	s_and_saveexec_b64 s[16:17], vcc
	s_cbranch_execz .LBB76_57
; %bb.48:                               ;   in Loop: Header=BB76_45 Depth=1
	v_bfe_u32 v4, v4, 23, 8
	v_sub_u32_e32 v10, 0x79, v4
	v_cmp_gt_u32_e32 vcc, s23, v4
	v_cndmask_b32_e32 v10, 0, v10, vcc
	v_cmp_eq_u32_e32 vcc, 0, v4
	v_cndmask_b32_e32 v10, v10, v8, vcc
	v_add_u32_e32 v5, 0xffffff81, v4
	v_or_b32_e32 v11, 0x800000, v2
	v_add_u32_e32 v4, 20, v10
	v_cndmask_b32_e32 v16, v5, v7, vcc
	v_cndmask_b32_e32 v2, v11, v2, vcc
	v_lshlrev_b64 v[4:5], v4, -1
	v_not_b32_e32 v4, v4
	v_lshrrev_b64 v[14:15], v10, v[2:3]
	v_not_b32_e32 v5, v5
	v_and_b32_e32 v4, v2, v4
	v_add_u32_e32 v11, 19, v10
	v_lshrrev_b32_e32 v2, 23, v14
	v_and_b32_e32 v5, 0, v5
	v_lshlrev_b64 v[12:13], v11, 1
	v_add3_u32 v11, v10, v16, v2
	v_bfe_u32 v2, v14, 20, 1
	v_add_u32_e32 v2, -1, v2
	v_cmp_eq_u64_e32 vcc, v[4:5], v[12:13]
	v_cndmask_b32_e32 v2, 0, v2, vcc
	v_add_u32_e32 v2, v2, v14
	v_and_b32_e32 v2, 0xfffff, v2
	v_add_co_u32_e32 v4, vcc, v2, v14
	v_add_u32_e32 v10, 6, v11
	v_addc_co_u32_e32 v5, vcc, 0, v15, vcc
	v_cmp_ne_u32_e32 vcc, 0, v10
                                        ; implicit-def: $vgpr2
	s_and_saveexec_b64 s[0:1], vcc
	s_xor_b64 s[0:1], exec, s[0:1]
; %bb.49:                               ;   in Loop: Header=BB76_45 Depth=1
	v_add_u32_e32 v2, 7, v11
	v_cmp_lt_u64_e32 vcc, s[8:9], v[4:5]
	v_cndmask_b32_e32 v2, v10, v2, vcc
	v_cndmask_b32_e64 v10, 0, 1, vcc
	v_lshrrev_b64 v[4:5], v10, v[4:5]
; %bb.50:                               ;   in Loop: Header=BB76_45 Depth=1
	s_andn2_saveexec_b64 s[0:1], s[0:1]
; %bb.51:                               ;   in Loop: Header=BB76_45 Depth=1
	v_bfe_u32 v2, v4, 23, 1
; %bb.52:                               ;   in Loop: Header=BB76_45 Depth=1
	s_or_b64 exec, exec, s[0:1]
	v_lshrrev_b64 v[4:5], 20, v[4:5]
	v_cmp_gt_i32_e32 vcc, 16, v2
	v_cndmask_b32_e32 v5, 0, v5, vcc
	v_cndmask_b32_e32 v4, 7, v4, vcc
	v_cmp_ne_u32_e32 vcc, 0, v2
	v_cmp_ne_u64_e64 s[0:1], 0, v[4:5]
	s_or_b64 s[0:1], vcc, s[0:1]
                                        ; implicit-def: $vgpr5
	s_and_saveexec_b64 s[26:27], s[0:1]
	s_xor_b64 s[0:1], exec, s[26:27]
; %bb.53:                               ;   in Loop: Header=BB76_45 Depth=1
	v_min_i32_e32 v2, 15, v2
	v_lshl_or_b32 v2, v2, 3, v9
	v_and_or_b32 v5, v4, 7, v2
                                        ; implicit-def: $vgpr9
; %bb.54:                               ;   in Loop: Header=BB76_45 Depth=1
	s_andn2_saveexec_b64 s[0:1], s[0:1]
; %bb.55:                               ;   in Loop: Header=BB76_45 Depth=1
	v_mov_b32_e32 v5, v9
; %bb.56:                               ;   in Loop: Header=BB76_45 Depth=1
	s_or_b64 exec, exec, s[0:1]
.LBB76_57:                              ;   in Loop: Header=BB76_45 Depth=1
	s_or_b64 exec, exec, s[16:17]
.LBB76_58:                              ;   in Loop: Header=BB76_45 Depth=1
	s_andn2_saveexec_b64 s[0:1], s[14:15]
	s_or_b64 exec, exec, s[0:1]
                                        ; implicit-def: $vgpr4
.LBB76_59:                              ;   in Loop: Header=BB76_45 Depth=1
	s_andn2_saveexec_b64 s[0:1], s[12:13]
	s_cbranch_execz .LBB76_44
; %bb.60:                               ;   in Loop: Header=BB76_45 Depth=1
	v_or_b32_sdwa v4, v4, s24 dst_sel:DWORD dst_unused:UNUSED_PAD src0_sel:BYTE_3 src1_sel:DWORD
	v_cmp_eq_u64_e32 vcc, 0, v[2:3]
	v_cndmask_b32_e32 v5, v4, v5, vcc
	s_branch .LBB76_44
.LBB76_61:
	s_endpgm
.LBB76_62:
                                        ; implicit-def: $sgpr22_sgpr23
	s_branch .LBB76_6
	.section	.rodata,"a",@progbits
	.p2align	6, 0x0
	.amdhsa_kernel _ZN4vllm38concat_and_cache_mla_rope_fused_kernelIfN3c108BFloat16ELb1EthLNS_18Fp8KVCacheDataTypeE1EEEvPKlPT_S7_PKS6_PKT0_illlliPT3_S5_iiiiPKf
		.amdhsa_group_segment_fixed_size 0
		.amdhsa_private_segment_fixed_size 0
		.amdhsa_kernarg_size 384
		.amdhsa_user_sgpr_count 6
		.amdhsa_user_sgpr_private_segment_buffer 1
		.amdhsa_user_sgpr_dispatch_ptr 0
		.amdhsa_user_sgpr_queue_ptr 0
		.amdhsa_user_sgpr_kernarg_segment_ptr 1
		.amdhsa_user_sgpr_dispatch_id 0
		.amdhsa_user_sgpr_flat_scratch_init 0
		.amdhsa_user_sgpr_kernarg_preload_length 0
		.amdhsa_user_sgpr_kernarg_preload_offset 0
		.amdhsa_user_sgpr_private_segment_size 0
		.amdhsa_uses_dynamic_stack 0
		.amdhsa_system_sgpr_private_segment_wavefront_offset 0
		.amdhsa_system_sgpr_workgroup_id_x 1
		.amdhsa_system_sgpr_workgroup_id_y 0
		.amdhsa_system_sgpr_workgroup_id_z 0
		.amdhsa_system_sgpr_workgroup_info 0
		.amdhsa_system_vgpr_workitem_id 0
		.amdhsa_next_free_vgpr 23
		.amdhsa_next_free_sgpr 62
		.amdhsa_accum_offset 24
		.amdhsa_reserve_vcc 1
		.amdhsa_reserve_flat_scratch 0
		.amdhsa_float_round_mode_32 0
		.amdhsa_float_round_mode_16_64 0
		.amdhsa_float_denorm_mode_32 3
		.amdhsa_float_denorm_mode_16_64 3
		.amdhsa_dx10_clamp 1
		.amdhsa_ieee_mode 1
		.amdhsa_fp16_overflow 0
		.amdhsa_tg_split 0
		.amdhsa_exception_fp_ieee_invalid_op 0
		.amdhsa_exception_fp_denorm_src 0
		.amdhsa_exception_fp_ieee_div_zero 0
		.amdhsa_exception_fp_ieee_overflow 0
		.amdhsa_exception_fp_ieee_underflow 0
		.amdhsa_exception_fp_ieee_inexact 0
		.amdhsa_exception_int_div_zero 0
	.end_amdhsa_kernel
	.section	.text._ZN4vllm38concat_and_cache_mla_rope_fused_kernelIfN3c108BFloat16ELb1EthLNS_18Fp8KVCacheDataTypeE1EEEvPKlPT_S7_PKS6_PKT0_illlliPT3_S5_iiiiPKf,"axG",@progbits,_ZN4vllm38concat_and_cache_mla_rope_fused_kernelIfN3c108BFloat16ELb1EthLNS_18Fp8KVCacheDataTypeE1EEEvPKlPT_S7_PKS6_PKT0_illlliPT3_S5_iiiiPKf,comdat
.Lfunc_end76:
	.size	_ZN4vllm38concat_and_cache_mla_rope_fused_kernelIfN3c108BFloat16ELb1EthLNS_18Fp8KVCacheDataTypeE1EEEvPKlPT_S7_PKS6_PKT0_illlliPT3_S5_iiiiPKf, .Lfunc_end76-_ZN4vllm38concat_and_cache_mla_rope_fused_kernelIfN3c108BFloat16ELb1EthLNS_18Fp8KVCacheDataTypeE1EEEvPKlPT_S7_PKS6_PKT0_illlliPT3_S5_iiiiPKf
                                        ; -- End function
	.section	.AMDGPU.csdata,"",@progbits
; Kernel info:
; codeLenInByte = 3724
; NumSgprs: 66
; NumVgprs: 23
; NumAgprs: 0
; TotalNumVgprs: 23
; ScratchSize: 0
; MemoryBound: 0
; FloatMode: 240
; IeeeMode: 1
; LDSByteSize: 0 bytes/workgroup (compile time only)
; SGPRBlocks: 8
; VGPRBlocks: 2
; NumSGPRsForWavesPerEU: 66
; NumVGPRsForWavesPerEU: 23
; AccumOffset: 24
; Occupancy: 8
; WaveLimiterHint : 1
; COMPUTE_PGM_RSRC2:SCRATCH_EN: 0
; COMPUTE_PGM_RSRC2:USER_SGPR: 6
; COMPUTE_PGM_RSRC2:TRAP_HANDLER: 0
; COMPUTE_PGM_RSRC2:TGID_X_EN: 1
; COMPUTE_PGM_RSRC2:TGID_Y_EN: 0
; COMPUTE_PGM_RSRC2:TGID_Z_EN: 0
; COMPUTE_PGM_RSRC2:TIDIG_COMP_CNT: 0
; COMPUTE_PGM_RSRC3_GFX90A:ACCUM_OFFSET: 5
; COMPUTE_PGM_RSRC3_GFX90A:TG_SPLIT: 0
	.section	.text._ZN4vllm38concat_and_cache_mla_rope_fused_kernelIfN3c108BFloat16ELb0EthLNS_18Fp8KVCacheDataTypeE1EEEvPKlPT_S7_PKS6_PKT0_illlliPT3_S5_iiiiPKf,"axG",@progbits,_ZN4vllm38concat_and_cache_mla_rope_fused_kernelIfN3c108BFloat16ELb0EthLNS_18Fp8KVCacheDataTypeE1EEEvPKlPT_S7_PKS6_PKT0_illlliPT3_S5_iiiiPKf,comdat
	.protected	_ZN4vllm38concat_and_cache_mla_rope_fused_kernelIfN3c108BFloat16ELb0EthLNS_18Fp8KVCacheDataTypeE1EEEvPKlPT_S7_PKS6_PKT0_illlliPT3_S5_iiiiPKf ; -- Begin function _ZN4vllm38concat_and_cache_mla_rope_fused_kernelIfN3c108BFloat16ELb0EthLNS_18Fp8KVCacheDataTypeE1EEEvPKlPT_S7_PKS6_PKT0_illlliPT3_S5_iiiiPKf
	.globl	_ZN4vllm38concat_and_cache_mla_rope_fused_kernelIfN3c108BFloat16ELb0EthLNS_18Fp8KVCacheDataTypeE1EEEvPKlPT_S7_PKS6_PKT0_illlliPT3_S5_iiiiPKf
	.p2align	8
	.type	_ZN4vllm38concat_and_cache_mla_rope_fused_kernelIfN3c108BFloat16ELb0EthLNS_18Fp8KVCacheDataTypeE1EEEvPKlPT_S7_PKS6_PKT0_illlliPT3_S5_iiiiPKf,@function
_ZN4vllm38concat_and_cache_mla_rope_fused_kernelIfN3c108BFloat16ELb0EthLNS_18Fp8KVCacheDataTypeE1EEEvPKlPT_S7_PKS6_PKT0_illlliPT3_S5_iiiiPKf: ; @_ZN4vllm38concat_and_cache_mla_rope_fused_kernelIfN3c108BFloat16ELb0EthLNS_18Fp8KVCacheDataTypeE1EEEvPKlPT_S7_PKS6_PKT0_illlliPT3_S5_iiiiPKf
; %bb.0:
	s_load_dwordx2 s[2:3], s[4:5], 0x60
	s_mov_b32 s7, 0
	s_lshl_b64 s[0:1], s[6:7], 3
	s_waitcnt lgkmcnt(0)
	s_add_u32 s2, s2, s0
	s_addc_u32 s3, s3, s1
	s_load_dwordx2 s[26:27], s[2:3], 0x0
	s_waitcnt lgkmcnt(0)
	v_cmp_lt_i64_e64 s[2:3], s[26:27], 0
	s_and_b64 vcc, exec, s[2:3]
	s_cbranch_vccnz .LBB77_61
; %bb.1:
	s_load_dword s7, s[4:5], 0x28
	s_load_dwordx2 s[2:3], s[4:5], 0x0
	s_load_dwordx4 s[16:19], s[4:5], 0x10
	v_lshlrev_b32_e32 v1, 1, v0
	s_waitcnt lgkmcnt(0)
	s_ashr_i32 s22, s7, 31
	s_add_u32 s0, s2, s0
	s_addc_u32 s1, s3, s1
	s_load_dwordx2 s[20:21], s[0:1], 0x0
	s_load_dwordx2 s[28:29], s[4:5], 0x20
	s_load_dwordx8 s[8:15], s[4:5], 0x30
	s_load_dwordx2 s[2:3], s[4:5], 0x58
	s_load_dword s23, s[4:5], 0x50
	s_waitcnt lgkmcnt(0)
	s_mul_i32 s0, s20, s22
	s_mul_hi_u32 s1, s20, s7
	s_mul_i32 s21, s21, s7
	s_add_i32 s0, s1, s0
	s_add_i32 s31, s0, s21
	s_lshr_b32 s0, s7, 31
	s_mul_i32 s30, s20, s7
	s_add_i32 s7, s7, s0
	s_ashr_i32 s20, s7, 1
	s_mul_i32 s7, s20, s23
	v_cmp_gt_i32_e32 vcc, s7, v0
	s_and_saveexec_b64 s[0:1], vcc
	s_cbranch_execz .LBB77_4
; %bb.2:
	s_lshl_b64 s[22:23], s[30:31], 1
	s_add_u32 s24, s28, s22
	s_addc_u32 s38, s29, s23
	s_load_dwordx2 s[22:23], s[4:5], 0x8
	s_load_dword s34, s[4:5], 0x8c
	s_mul_i32 s9, s6, s9
	s_mul_hi_u32 s25, s6, s8
	s_add_i32 s9, s25, s9
	s_mul_i32 s8, s6, s8
	s_ashr_i32 s21, s20, 31
	s_lshl_b64 s[8:9], s[8:9], 2
	s_waitcnt lgkmcnt(0)
	s_add_u32 s25, s22, s8
	s_addc_u32 s39, s23, s9
	s_abs_i32 s33, s20
	v_cvt_f32_u32_e32 v2, s33
	s_sub_i32 s8, 0, s33
	s_and_b32 s34, s34, 0xffff
	s_lshl_b64 s[22:23], s[20:21], 1
	v_rcp_iflag_f32_e32 v2, v2
	s_sub_i32 s35, 0, s20
	s_lshl_b32 s37, s34, 1
	v_mov_b32_e32 v5, s38
	v_mul_f32_e32 v2, 0x4f7ffffe, v2
	v_cvt_u32_f32_e32 v2, v2
	v_mov_b32_e32 v6, s23
	v_mov_b32_e32 v7, s39
	;; [unrolled: 1-line block ×3, first 2 shown]
	v_mul_lo_u32 v3, s8, v2
	v_mul_hi_u32 v3, v2, v3
	s_lshl_b32 s8, s20, 1
	v_add_u32_e32 v3, v2, v3
	s_sub_i32 s36, 0, s8
	s_mov_b64 s[8:9], 0
	v_mov_b32_e32 v2, v1
.LBB77_3:                               ; =>This Inner Loop Header: Depth=1
	v_sub_u32_e32 v9, 0, v4
	v_max_i32_e32 v9, v4, v9
	v_mul_hi_u32 v10, v9, v3
	v_mul_lo_u32 v11, v10, s33
	v_sub_u32_e32 v9, v9, v11
	v_add_u32_e32 v12, 1, v10
	v_cmp_le_u32_e32 vcc, s33, v9
	v_subrev_u32_e32 v11, s33, v9
	v_cndmask_b32_e32 v10, v10, v12, vcc
	v_cndmask_b32_e32 v9, v9, v11, vcc
	v_ashrrev_i32_e32 v8, 31, v4
	v_add_u32_e32 v11, 1, v10
	v_cmp_le_u32_e32 vcc, s33, v9
	v_xor_b32_e32 v8, s21, v8
	v_cndmask_b32_e32 v9, v10, v11, vcc
	v_xor_b32_e32 v9, v9, v8
	v_sub_u32_e32 v12, v9, v8
	v_mad_u64_u32 v[8:9], s[38:39], s35, v12, v[4:5]
	v_ashrrev_i32_e32 v9, 31, v8
	v_lshlrev_b64 v[8:9], 1, v[8:9]
	v_ashrrev_i32_e32 v14, 31, v12
	v_add_co_u32_e32 v8, vcc, s24, v8
	v_mul_lo_u32 v15, v12, s11
	v_mad_u64_u32 v[10:11], s[38:39], v12, s10, 0
	v_mul_lo_u32 v14, v14, s10
	v_addc_co_u32_e32 v9, vcc, v5, v9, vcc
	v_add3_u32 v11, v11, v15, v14
	v_add_co_u32_e32 v14, vcc, s22, v8
	v_mad_u64_u32 v[12:13], s[38:39], s36, v12, v[2:3]
	v_lshlrev_b64 v[10:11], 2, v[10:11]
	v_addc_co_u32_e32 v15, vcc, v9, v6, vcc
	v_ashrrev_i32_e32 v13, 31, v12
	v_add_co_u32_e32 v10, vcc, s25, v10
	v_lshlrev_b64 v[12:13], 2, v[12:13]
	v_addc_co_u32_e32 v11, vcc, v7, v11, vcc
	global_load_ushort v16, v[8:9], off
	global_load_ushort v17, v[14:15], off
	v_add_co_u32_e32 v8, vcc, v10, v12
	v_addc_co_u32_e32 v9, vcc, v11, v13, vcc
	global_load_dwordx2 v[10:11], v[8:9], off
	v_add_u32_e32 v4, s34, v4
	v_cmp_le_i32_e32 vcc, s7, v4
	v_add_u32_e32 v2, s37, v2
	s_or_b64 s[8:9], vcc, s[8:9]
	s_waitcnt vmcnt(2)
	v_lshlrev_b32_e32 v14, 16, v16
	s_waitcnt vmcnt(1)
	v_lshlrev_b32_e32 v12, 16, v17
	s_waitcnt vmcnt(0)
	v_mul_f32_e32 v15, v11, v12
	v_mul_f32_e32 v13, v10, v12
	v_fma_f32 v12, v10, v14, -v15
	v_fmac_f32_e32 v13, v11, v14
	global_store_dwordx2 v[8:9], v[12:13], off
	s_andn2_b64 exec, exec, s[8:9]
	s_cbranch_execnz .LBB77_3
.LBB77_4:
	s_or_b64 exec, exec, s[0:1]
	s_load_dwordx4 s[8:11], s[4:5], 0x68
	s_waitcnt lgkmcnt(0)
	s_ashr_i32 s35, s11, 31
	s_mov_b32 s34, s11
	s_or_b64 s[0:1], s[26:27], s[34:35]
	s_mov_b32 s0, 0
	s_cmp_lg_u64 s[0:1], 0
	s_cbranch_scc0 .LBB77_62
; %bb.5:
	s_add_u32 s0, s34, s35
	s_mov_b32 s22, s35
	s_mov_b32 s23, s35
	s_addc_u32 s1, s35, s35
	s_xor_b64 s[36:37], s[0:1], s[22:23]
	v_cvt_f32_u32_e32 v2, s36
	v_cvt_f32_u32_e32 v3, s37
	s_sub_u32 s0, 0, s36
	s_subb_u32 s1, 0, s37
	v_madmk_f32 v2, v3, 0x4f800000, v2
	v_rcp_f32_e32 v2, v2
	v_mul_f32_e32 v2, 0x5f7ffffc, v2
	v_mul_f32_e32 v3, 0x2f800000, v2
	v_trunc_f32_e32 v3, v3
	v_madmk_f32 v2, v3, 0xcf800000, v2
	v_cvt_u32_f32_e32 v3, v3
	v_cvt_u32_f32_e32 v2, v2
	v_readfirstlane_b32 s7, v3
	v_readfirstlane_b32 s11, v2
	s_mul_i32 s21, s0, s7
	s_mul_hi_u32 s38, s0, s11
	s_mul_i32 s33, s1, s11
	s_add_i32 s21, s38, s21
	s_add_i32 s21, s21, s33
	s_mul_i32 s39, s0, s11
	s_mul_hi_u32 s33, s11, s21
	s_mul_i32 s38, s11, s21
	s_mul_hi_u32 s11, s11, s39
	s_add_u32 s11, s11, s38
	s_addc_u32 s33, 0, s33
	s_mul_hi_u32 s40, s7, s39
	s_mul_i32 s39, s7, s39
	s_add_u32 s11, s11, s39
	s_mul_hi_u32 s38, s7, s21
	s_addc_u32 s11, s33, s40
	s_addc_u32 s33, s38, 0
	s_mul_i32 s21, s7, s21
	s_add_u32 s11, s11, s21
	s_addc_u32 s21, 0, s33
	v_add_co_u32_e32 v2, vcc, s11, v2
	s_cmp_lg_u64 vcc, 0
	s_addc_u32 s7, s7, s21
	v_readfirstlane_b32 s21, v2
	s_mul_i32 s11, s0, s7
	s_mul_hi_u32 s33, s0, s21
	s_add_i32 s11, s33, s11
	s_mul_i32 s1, s1, s21
	s_add_i32 s11, s11, s1
	s_mul_i32 s0, s0, s21
	s_mul_hi_u32 s33, s7, s0
	s_mul_i32 s38, s7, s0
	s_mul_i32 s40, s21, s11
	s_mul_hi_u32 s0, s21, s0
	s_mul_hi_u32 s39, s21, s11
	s_add_u32 s0, s0, s40
	s_addc_u32 s21, 0, s39
	s_add_u32 s0, s0, s38
	s_mul_hi_u32 s1, s7, s11
	s_addc_u32 s0, s21, s33
	s_addc_u32 s1, s1, 0
	s_mul_i32 s11, s7, s11
	s_add_u32 s0, s0, s11
	s_addc_u32 s1, 0, s1
	v_add_co_u32_e32 v2, vcc, s0, v2
	s_cmp_lg_u64 vcc, 0
	s_addc_u32 s7, s7, s1
	s_ashr_i32 s38, s27, 31
	s_add_u32 s0, s26, s38
	s_mov_b32 s39, s38
	s_addc_u32 s1, s27, s38
	s_xor_b64 s[40:41], s[0:1], s[38:39]
	v_readfirstlane_b32 s11, v2
	s_mul_i32 s1, s40, s7
	s_mul_hi_u32 s21, s40, s11
	s_mul_hi_u32 s0, s40, s7
	s_add_u32 s1, s21, s1
	s_addc_u32 s0, 0, s0
	s_mul_hi_u32 s33, s41, s11
	s_mul_i32 s11, s41, s11
	s_add_u32 s1, s1, s11
	s_mul_hi_u32 s21, s41, s7
	s_addc_u32 s0, s0, s33
	s_addc_u32 s1, s21, 0
	s_mul_i32 s7, s41, s7
	s_add_u32 s7, s0, s7
	s_addc_u32 s11, 0, s1
	s_mul_i32 s0, s36, s11
	s_mul_hi_u32 s1, s36, s7
	s_add_i32 s0, s1, s0
	s_mul_i32 s1, s37, s7
	s_add_i32 s21, s0, s1
	s_mul_i32 s1, s36, s7
	v_mov_b32_e32 v2, s1
	s_sub_i32 s0, s41, s21
	v_sub_co_u32_e32 v2, vcc, s40, v2
	s_cmp_lg_u64 vcc, 0
	s_subb_u32 s33, s0, s37
	v_subrev_co_u32_e64 v3, s[0:1], s36, v2
	s_cmp_lg_u64 s[0:1], 0
	s_subb_u32 s0, s33, 0
	s_cmp_ge_u32 s0, s37
	v_readfirstlane_b32 s33, v3
	s_cselect_b32 s1, -1, 0
	s_cmp_ge_u32 s33, s36
	s_cselect_b32 s33, -1, 0
	s_cmp_eq_u32 s0, s37
	s_cselect_b32 s0, s33, s1
	s_add_u32 s1, s7, 1
	s_addc_u32 s33, s11, 0
	s_add_u32 s40, s7, 2
	s_addc_u32 s42, s11, 0
	s_cmp_lg_u32 s0, 0
	s_cselect_b32 s0, s40, s1
	s_cselect_b32 s1, s42, s33
	s_cmp_lg_u64 vcc, 0
	s_subb_u32 s21, s41, s21
	s_cmp_ge_u32 s21, s37
	v_readfirstlane_b32 s40, v2
	s_cselect_b32 s33, -1, 0
	s_cmp_ge_u32 s40, s36
	s_cselect_b32 s36, -1, 0
	s_cmp_eq_u32 s21, s37
	s_cselect_b32 s21, s36, s33
	s_cmp_lg_u32 s21, 0
	s_cselect_b32 s1, s1, s11
	s_cselect_b32 s0, s0, s7
	s_xor_b64 s[22:23], s[38:39], s[22:23]
	s_xor_b64 s[0:1], s[0:1], s[22:23]
	s_sub_u32 s22, s0, s22
	s_subb_u32 s23, s1, s23
	s_cbranch_execnz .LBB77_7
.LBB77_6:
	v_cvt_f32_u32_e32 v2, s34
	s_sub_i32 s0, 0, s34
	s_mov_b32 s23, 0
	v_rcp_iflag_f32_e32 v2, v2
	v_mul_f32_e32 v2, 0x4f7ffffe, v2
	v_cvt_u32_f32_e32 v2, v2
	v_readfirstlane_b32 s1, v2
	s_mul_i32 s0, s0, s1
	s_mul_hi_u32 s0, s1, s0
	s_add_i32 s1, s1, s0
	s_mul_hi_u32 s0, s26, s1
	s_mul_i32 s7, s0, s34
	s_sub_i32 s7, s26, s7
	s_add_i32 s1, s0, 1
	s_sub_i32 s11, s7, s34
	s_cmp_ge_u32 s7, s34
	s_cselect_b32 s0, s1, s0
	s_cselect_b32 s7, s11, s7
	s_add_i32 s1, s0, 1
	s_cmp_ge_u32 s7, s34
	s_cselect_b32 s22, s1, s0
.LBB77_7:
	s_mul_i32 s0, s22, s35
	s_mul_hi_u32 s1, s22, s34
	s_load_dwordx2 s[24:25], s[4:5], 0x78
	s_add_i32 s0, s1, s0
	s_mul_i32 s1, s23, s34
	s_add_i32 s0, s0, s1
	s_mul_i32 s1, s22, s34
	s_sub_u32 s7, s26, s1
	s_subb_u32 s11, s27, s0
	v_cmp_gt_i32_e32 vcc, s20, v0
	s_mul_hi_u32 s42, s22, s8
	s_mul_i32 s43, s23, s8
	s_mul_i32 s44, s22, s8
	s_mul_hi_u32 s33, s7, s9
	s_mul_i32 s11, s11, s9
	s_mul_i32 s23, s7, s9
	s_and_saveexec_b64 s[26:27], vcc
	s_cbranch_execz .LBB77_42
; %bb.8:
	s_ashr_i32 s0, s8, 31
	s_mul_i32 s0, s22, s0
	s_load_dword s1, s[4:5], 0x8c
	s_add_i32 s0, s42, s0
	s_add_i32 s34, s0, s43
	s_ashr_i32 s0, s9, 31
	s_mul_i32 s0, s7, s0
	s_add_i32 s0, s33, s0
	s_ashr_i32 s21, s20, 31
	s_add_i32 s35, s0, s11
	s_ashr_i32 s36, s10, 31
	s_waitcnt lgkmcnt(0)
	s_and_b32 s46, s1, 0xffff
	s_lshl_b64 s[0:1], s[30:31], 1
	s_add_u32 s0, s28, s0
	s_addc_u32 s1, s29, s1
	v_mov_b32_e32 v3, s1
	v_add_co_u32_e32 v2, vcc, s0, v1
	s_mul_i32 s0, s13, s6
	s_mul_hi_u32 s1, s12, s6
	s_add_i32 s1, s1, s0
	s_mul_i32 s0, s12, s6
	s_lshl_b32 s48, s46, 1
	s_lshl_b64 s[28:29], s[20:21], 1
	s_lshl_b64 s[0:1], s[0:1], 2
	s_add_u32 s0, s16, s0
	v_addc_co_u32_e32 v3, vcc, 0, v3, vcc
	v_lshlrev_b32_e32 v4, 3, v0
	s_addc_u32 s1, s17, s1
	s_lshl_b32 s21, s46, 3
	v_add_co_u32_e32 v4, vcc, s0, v4
	s_add_u32 s0, s44, s23
	v_mov_b32_e32 v5, s1
	s_addc_u32 s1, s34, s35
	s_add_u32 s12, s2, s10
	v_addc_co_u32_e32 v5, vcc, 0, v5, vcc
	s_addc_u32 s13, s3, s36
	v_add_co_u32_e32 v4, vcc, 4, v4
	s_add_u32 s0, s12, s0
	s_load_dword s45, s[24:25], 0x0
	v_addc_co_u32_e32 v5, vcc, 0, v5, vcc
	s_addc_u32 s1, s13, s1
	v_mov_b32_e32 v6, s1
	v_add_co_u32_e32 v1, vcc, s0, v1
	v_addc_co_u32_e32 v7, vcc, 0, v6, vcc
	s_mov_b32 s47, 0
	v_add_co_u32_e32 v6, vcc, 1, v1
	s_mov_b32 s49, s47
	v_addc_co_u32_e32 v7, vcc, 0, v7, vcc
	s_mov_b64 s[12:13], 0
	v_mov_b32_e32 v1, s29
	v_mov_b32_e32 v9, 0
	s_movk_i32 s29, 0x80
	s_mov_b64 s[16:17], 0x7f800000
	s_mov_b64 s[30:31], 0x43e00001
	s_movk_i32 s50, 0x7a
	s_mov_b64 s[34:35], 0xffffff
	s_movk_i32 s51, 0x7f
	v_mov_b32_e32 v14, 0xffffff82
	v_mov_b32_e32 v15, 0x78
	;; [unrolled: 1-line block ×3, first 2 shown]
	s_branch .LBB77_10
.LBB77_9:                               ;   in Loop: Header=BB77_10 Depth=1
	s_or_b64 exec, exec, s[0:1]
	v_mov_b32_e32 v8, s47
	v_add_co_u32_e32 v2, vcc, s48, v2
	v_addc_co_u32_e32 v3, vcc, v3, v8, vcc
	v_mov_b32_e32 v10, s49
	v_add_co_u32_e32 v4, vcc, s21, v4
	v_add_u32_e32 v16, s46, v16
	v_addc_co_u32_e32 v5, vcc, v5, v10, vcc
	v_cmp_le_i32_e32 vcc, s20, v16
	global_store_byte v[6:7], v11, off
	s_or_b64 s[12:13], vcc, s[12:13]
	v_add_co_u32_e32 v6, vcc, s48, v6
	v_addc_co_u32_e32 v7, vcc, v7, v8, vcc
	s_andn2_b64 exec, exec, s[12:13]
	s_cbranch_execz .LBB77_42
.LBB77_10:                              ; =>This Inner Loop Header: Depth=1
	v_add_co_u32_e32 v10, vcc, s28, v2
	v_addc_co_u32_e32 v11, vcc, v3, v1, vcc
	global_load_ushort v8, v[2:3], off
	global_load_ushort v17, v[10:11], off
	global_load_dwordx2 v[12:13], v[4:5], off offset:-4
	v_mov_b32_e32 v21, v9
	s_waitcnt vmcnt(2)
	v_lshlrev_b32_e32 v10, 16, v8
	s_waitcnt vmcnt(1)
	v_lshlrev_b32_e32 v11, 16, v17
	s_waitcnt vmcnt(0)
	v_pk_mul_f32 v[18:19], v[12:13], v[10:11]
	v_mov_b32_e32 v8, v19
	v_pk_fma_f32 v[18:19], v[12:13], v[10:11], v[8:9] neg_lo:[0,0,1] neg_hi:[0,0,1]
	v_cvt_f32_f16_e32 v8, v18
	s_waitcnt lgkmcnt(0)
	v_div_scale_f32 v17, s[0:1], s45, s45, v8
	v_rcp_f32_e32 v19, v17
	v_div_scale_f32 v20, vcc, v8, s45, v8
	v_fma_f32 v22, -v17, v19, 1.0
	v_fmac_f32_e32 v19, v22, v19
	v_mul_f32_e32 v22, v20, v19
	v_fma_f32 v23, -v17, v22, v20
	v_fmac_f32_e32 v22, v23, v19
	v_fma_f32 v17, -v17, v22, v20
	v_div_fmas_f32 v17, v17, v19, v22
	v_div_fixup_f32 v8, v17, s45, v8
	v_cvt_f16_f32_e32 v17, v8
	v_mov_b32_e32 v20, v11
	v_pk_mul_f32 v[22:23], v[12:13], v[20:21] op_sel_hi:[1,0]
	v_mov_b32_e32 v8, v13
	v_cvt_f32_f16_e32 v12, v17
	v_pk_fma_f32 v[10:11], v[8:9], v[10:11], v[22:23]
	v_mov_b32_e32 v19, v10
	global_store_dwordx2 v[4:5], v[18:19], off offset:-4
	v_and_b32_sdwa v11, v12, s29 dst_sel:DWORD dst_unused:UNUSED_PAD src0_sel:BYTE_3 src1_sel:DWORD
	v_and_b32_e32 v20, 0x7f800000, v12
	v_and_b32_e32 v8, 0x7fffff, v12
	v_or_b32_e32 v13, 0x7e, v11
	v_cmp_ne_u64_e32 vcc, s[16:17], v[20:21]
	s_and_saveexec_b64 s[0:1], vcc
	s_xor_b64 s[36:37], exec, s[0:1]
	s_cbranch_execz .LBB77_24
; %bb.11:                               ;   in Loop: Header=BB77_10 Depth=1
	v_and_b32_e32 v18, 0x7fffffff, v12
	v_mov_b32_e32 v19, v9
	v_cmp_gt_u64_e32 vcc, s[30:31], v[18:19]
	s_and_saveexec_b64 s[0:1], vcc
	s_xor_b64 s[38:39], exec, s[0:1]
	s_cbranch_execz .LBB77_23
; %bb.12:                               ;   in Loop: Header=BB77_10 Depth=1
	v_cmp_ne_u32_e32 vcc, 0, v12
	v_mov_b32_e32 v13, 0
	s_and_saveexec_b64 s[40:41], vcc
	s_cbranch_execz .LBB77_22
; %bb.13:                               ;   in Loop: Header=BB77_10 Depth=1
	v_bfe_u32 v12, v12, 23, 8
	v_sub_u32_e32 v17, 0x79, v12
	v_cmp_gt_u32_e32 vcc, s50, v12
	v_cndmask_b32_e32 v17, 0, v17, vcc
	v_cmp_eq_u32_e32 vcc, 0, v12
	v_cndmask_b32_e32 v17, v17, v15, vcc
	v_add_u32_e32 v13, 0xffffff81, v12
	v_or_b32_e32 v18, 0x800000, v8
	v_add_u32_e32 v12, 20, v17
	v_cndmask_b32_e32 v19, v13, v14, vcc
	v_cndmask_b32_e32 v8, v18, v8, vcc
	v_lshlrev_b64 v[12:13], v12, -1
	v_not_b32_e32 v12, v12
	v_lshrrev_b64 v[22:23], v17, v[8:9]
	v_not_b32_e32 v13, v13
	v_and_b32_e32 v12, v8, v12
	v_add_u32_e32 v18, 19, v17
	v_lshrrev_b32_e32 v8, 23, v22
	v_and_b32_e32 v13, 0, v13
	v_lshlrev_b64 v[20:21], v18, 1
	v_add3_u32 v18, v17, v19, v8
	v_bfe_u32 v8, v22, 20, 1
	v_add_u32_e32 v8, -1, v8
	v_cmp_eq_u64_e32 vcc, v[12:13], v[20:21]
	v_cndmask_b32_e32 v8, 0, v8, vcc
	v_add_u32_e32 v8, v8, v22
	v_and_b32_e32 v8, 0xfffff, v8
	v_add_co_u32_e32 v12, vcc, v8, v22
	v_add_u32_e32 v17, 6, v18
	v_addc_co_u32_e32 v13, vcc, 0, v23, vcc
	v_cmp_ne_u32_e32 vcc, 0, v17
                                        ; implicit-def: $vgpr8
	s_and_saveexec_b64 s[0:1], vcc
	s_xor_b64 s[0:1], exec, s[0:1]
; %bb.14:                               ;   in Loop: Header=BB77_10 Depth=1
	v_add_u32_e32 v8, 7, v18
	v_cmp_lt_u64_e32 vcc, s[34:35], v[12:13]
	v_cndmask_b32_e32 v8, v17, v8, vcc
	v_cndmask_b32_e64 v17, 0, 1, vcc
	v_lshrrev_b64 v[12:13], v17, v[12:13]
; %bb.15:                               ;   in Loop: Header=BB77_10 Depth=1
	s_andn2_saveexec_b64 s[0:1], s[0:1]
; %bb.16:                               ;   in Loop: Header=BB77_10 Depth=1
	v_bfe_u32 v8, v12, 23, 1
; %bb.17:                               ;   in Loop: Header=BB77_10 Depth=1
	s_or_b64 exec, exec, s[0:1]
	v_lshrrev_b64 v[12:13], 20, v[12:13]
	v_cmp_gt_i32_e32 vcc, 16, v8
	v_cndmask_b32_e32 v13, 0, v13, vcc
	v_cndmask_b32_e32 v12, 7, v12, vcc
	v_cmp_ne_u32_e32 vcc, 0, v8
	v_cmp_ne_u64_e64 s[0:1], 0, v[12:13]
	s_or_b64 s[0:1], vcc, s[0:1]
                                        ; implicit-def: $vgpr13
	s_and_saveexec_b64 s[52:53], s[0:1]
	s_xor_b64 s[0:1], exec, s[52:53]
; %bb.18:                               ;   in Loop: Header=BB77_10 Depth=1
	v_min_i32_e32 v8, 15, v8
	v_lshl_or_b32 v8, v8, 3, v11
	v_and_or_b32 v13, v12, 7, v8
                                        ; implicit-def: $vgpr11
; %bb.19:                               ;   in Loop: Header=BB77_10 Depth=1
	s_andn2_saveexec_b64 s[0:1], s[0:1]
; %bb.20:                               ;   in Loop: Header=BB77_10 Depth=1
	v_mov_b32_e32 v13, v11
; %bb.21:                               ;   in Loop: Header=BB77_10 Depth=1
	s_or_b64 exec, exec, s[0:1]
.LBB77_22:                              ;   in Loop: Header=BB77_10 Depth=1
	s_or_b64 exec, exec, s[40:41]
.LBB77_23:                              ;   in Loop: Header=BB77_10 Depth=1
	s_andn2_saveexec_b64 s[0:1], s[38:39]
	s_or_b64 exec, exec, s[0:1]
                                        ; implicit-def: $vgpr12
.LBB77_24:                              ;   in Loop: Header=BB77_10 Depth=1
	s_andn2_saveexec_b64 s[0:1], s[36:37]
; %bb.25:                               ;   in Loop: Header=BB77_10 Depth=1
	v_or_b32_sdwa v11, v12, s51 dst_sel:DWORD dst_unused:UNUSED_PAD src0_sel:BYTE_3 src1_sel:DWORD
	v_cmp_eq_u64_e32 vcc, 0, v[8:9]
	v_cndmask_b32_e32 v13, v11, v13, vcc
; %bb.26:                               ;   in Loop: Header=BB77_10 Depth=1
	s_or_b64 exec, exec, s[0:1]
	v_cvt_f32_f16_e32 v8, v10
	v_mov_b32_e32 v19, v9
	global_store_byte v[6:7], v13, off offset:-1
	v_div_scale_f32 v10, s[0:1], s45, s45, v8
	v_rcp_f32_e32 v11, v10
	v_div_scale_f32 v12, vcc, v8, s45, v8
	v_fma_f32 v17, -v10, v11, 1.0
	v_fmac_f32_e32 v11, v17, v11
	v_mul_f32_e32 v17, v12, v11
	v_fma_f32 v18, -v10, v17, v12
	v_fmac_f32_e32 v17, v18, v11
	v_fma_f32 v10, -v10, v17, v12
	v_div_fmas_f32 v10, v10, v11, v17
	v_div_fixup_f32 v8, v10, s45, v8
	v_cvt_f16_f32_e32 v8, v8
	v_cvt_f32_f16_e32 v10, v8
	v_and_b32_sdwa v12, v10, s29 dst_sel:DWORD dst_unused:UNUSED_PAD src0_sel:BYTE_3 src1_sel:DWORD
	v_and_b32_e32 v18, 0x7f800000, v10
	v_and_b32_e32 v8, 0x7fffff, v10
	v_or_b32_e32 v11, 0x7e, v12
	v_cmp_ne_u64_e32 vcc, s[16:17], v[18:19]
	s_and_saveexec_b64 s[0:1], vcc
	s_xor_b64 s[36:37], exec, s[0:1]
	s_cbranch_execz .LBB77_40
; %bb.27:                               ;   in Loop: Header=BB77_10 Depth=1
	v_and_b32_e32 v18, 0x7fffffff, v10
	v_mov_b32_e32 v19, v9
	v_cmp_gt_u64_e32 vcc, s[30:31], v[18:19]
	s_and_saveexec_b64 s[0:1], vcc
	s_xor_b64 s[38:39], exec, s[0:1]
	s_cbranch_execz .LBB77_39
; %bb.28:                               ;   in Loop: Header=BB77_10 Depth=1
	v_cmp_ne_u32_e32 vcc, 0, v10
	v_mov_b32_e32 v11, 0
	s_and_saveexec_b64 s[40:41], vcc
	s_cbranch_execz .LBB77_38
; %bb.29:                               ;   in Loop: Header=BB77_10 Depth=1
	v_bfe_u32 v10, v10, 23, 8
	v_sub_u32_e32 v13, 0x79, v10
	v_cmp_gt_u32_e32 vcc, s50, v10
	v_cndmask_b32_e32 v13, 0, v13, vcc
	v_cmp_eq_u32_e32 vcc, 0, v10
	v_cndmask_b32_e32 v13, v13, v15, vcc
	v_add_u32_e32 v11, 0xffffff81, v10
	v_or_b32_e32 v17, 0x800000, v8
	v_add_u32_e32 v10, 20, v13
	v_cndmask_b32_e32 v22, v11, v14, vcc
	v_cndmask_b32_e32 v8, v17, v8, vcc
	v_lshlrev_b64 v[10:11], v10, -1
	v_not_b32_e32 v10, v10
	v_lshrrev_b64 v[20:21], v13, v[8:9]
	v_not_b32_e32 v11, v11
	v_and_b32_e32 v10, v8, v10
	v_add_u32_e32 v17, 19, v13
	v_lshrrev_b32_e32 v8, 23, v20
	v_and_b32_e32 v11, 0, v11
	v_lshlrev_b64 v[18:19], v17, 1
	v_add3_u32 v17, v13, v22, v8
	v_bfe_u32 v8, v20, 20, 1
	v_add_u32_e32 v8, -1, v8
	v_cmp_eq_u64_e32 vcc, v[10:11], v[18:19]
	v_cndmask_b32_e32 v8, 0, v8, vcc
	v_add_u32_e32 v8, v8, v20
	v_and_b32_e32 v8, 0xfffff, v8
	v_add_co_u32_e32 v10, vcc, v8, v20
	v_add_u32_e32 v13, 6, v17
	v_addc_co_u32_e32 v11, vcc, 0, v21, vcc
	v_cmp_ne_u32_e32 vcc, 0, v13
                                        ; implicit-def: $vgpr8
	s_and_saveexec_b64 s[0:1], vcc
	s_xor_b64 s[0:1], exec, s[0:1]
; %bb.30:                               ;   in Loop: Header=BB77_10 Depth=1
	v_add_u32_e32 v8, 7, v17
	v_cmp_lt_u64_e32 vcc, s[34:35], v[10:11]
	v_cndmask_b32_e32 v8, v13, v8, vcc
	v_cndmask_b32_e64 v13, 0, 1, vcc
	v_lshrrev_b64 v[10:11], v13, v[10:11]
; %bb.31:                               ;   in Loop: Header=BB77_10 Depth=1
	s_andn2_saveexec_b64 s[0:1], s[0:1]
; %bb.32:                               ;   in Loop: Header=BB77_10 Depth=1
	v_bfe_u32 v8, v10, 23, 1
; %bb.33:                               ;   in Loop: Header=BB77_10 Depth=1
	s_or_b64 exec, exec, s[0:1]
	v_lshrrev_b64 v[10:11], 20, v[10:11]
	v_cmp_gt_i32_e32 vcc, 16, v8
	v_cndmask_b32_e32 v11, 0, v11, vcc
	v_cndmask_b32_e32 v10, 7, v10, vcc
	v_cmp_ne_u32_e32 vcc, 0, v8
	v_cmp_ne_u64_e64 s[0:1], 0, v[10:11]
	s_or_b64 s[0:1], vcc, s[0:1]
                                        ; implicit-def: $vgpr11
	s_and_saveexec_b64 s[52:53], s[0:1]
	s_xor_b64 s[0:1], exec, s[52:53]
; %bb.34:                               ;   in Loop: Header=BB77_10 Depth=1
	v_min_i32_e32 v8, 15, v8
	v_lshl_or_b32 v8, v8, 3, v12
	v_and_or_b32 v11, v10, 7, v8
                                        ; implicit-def: $vgpr12
; %bb.35:                               ;   in Loop: Header=BB77_10 Depth=1
	s_andn2_saveexec_b64 s[0:1], s[0:1]
; %bb.36:                               ;   in Loop: Header=BB77_10 Depth=1
	v_mov_b32_e32 v11, v12
; %bb.37:                               ;   in Loop: Header=BB77_10 Depth=1
	s_or_b64 exec, exec, s[0:1]
.LBB77_38:                              ;   in Loop: Header=BB77_10 Depth=1
	s_or_b64 exec, exec, s[40:41]
.LBB77_39:                              ;   in Loop: Header=BB77_10 Depth=1
	s_andn2_saveexec_b64 s[0:1], s[38:39]
	s_or_b64 exec, exec, s[0:1]
                                        ; implicit-def: $vgpr10
.LBB77_40:                              ;   in Loop: Header=BB77_10 Depth=1
	s_andn2_saveexec_b64 s[0:1], s[36:37]
	s_cbranch_execz .LBB77_9
; %bb.41:                               ;   in Loop: Header=BB77_10 Depth=1
	v_or_b32_sdwa v10, v10, s51 dst_sel:DWORD dst_unused:UNUSED_PAD src0_sel:BYTE_3 src1_sel:DWORD
	v_cmp_eq_u64_e32 vcc, 0, v[8:9]
	v_cndmask_b32_e32 v11, v10, v11, vcc
	s_branch .LBB77_9
.LBB77_42:
	s_or_b64 exec, exec, s[26:27]
	v_cmp_gt_i32_e32 vcc, s10, v0
	s_and_saveexec_b64 s[0:1], vcc
	s_cbranch_execz .LBB77_61
; %bb.43:
	s_mul_i32 s0, s6, s15
	s_mul_hi_u32 s1, s6, s14
	s_add_i32 s1, s1, s0
	s_mul_i32 s0, s6, s14
	s_lshl_b64 s[0:1], s[0:1], 2
	s_add_u32 s18, s18, s0
	s_addc_u32 s0, s19, s1
	s_ashr_i32 s1, s8, 31
	s_mul_i32 s1, s22, s1
	s_add_i32 s1, s42, s1
	s_add_i32 s1, s1, s43
	s_add_u32 s2, s2, s44
	s_addc_u32 s1, s3, s1
	s_ashr_i32 s3, s9, 31
	s_load_dword s4, s[4:5], 0x8c
	s_mul_i32 s7, s7, s3
	s_waitcnt lgkmcnt(0)
	s_load_dword s20, s[24:25], 0x0
	s_add_i32 s3, s33, s7
	s_add_i32 s3, s3, s11
	s_add_u32 s11, s2, s23
	s_addc_u32 s19, s1, s3
	s_and_b32 s21, s4, 0xffff
	s_mov_b64 s[2:3], 0
	v_mov_b32_e32 v6, s0
	v_mov_b32_e32 v3, 0
	s_movk_i32 s22, 0x80
	s_mov_b64 s[4:5], 0x7f800000
	s_mov_b64 s[6:7], 0x43e00001
	s_movk_i32 s23, 0x7a
	s_mov_b64 s[8:9], 0xffffff
	s_movk_i32 s24, 0x7f
	v_mov_b32_e32 v7, 0xffffff82
	v_mov_b32_e32 v8, 0x78
	s_branch .LBB77_45
.LBB77_44:                              ;   in Loop: Header=BB77_45 Depth=1
	s_or_b64 exec, exec, s[0:1]
	v_mov_b32_e32 v2, s19
	v_add_co_u32_e32 v10, vcc, s11, v0
	v_addc_co_u32_e32 v11, vcc, v2, v1, vcc
	v_add_u32_e32 v0, s21, v0
	v_cmp_le_i32_e32 vcc, s10, v0
	s_or_b64 s[2:3], vcc, s[2:3]
	global_store_byte v[10:11], v5, off
	s_andn2_b64 exec, exec, s[2:3]
	s_cbranch_execz .LBB77_61
.LBB77_45:                              ; =>This Inner Loop Header: Depth=1
	v_ashrrev_i32_e32 v1, 31, v0
	v_lshlrev_b64 v[4:5], 2, v[0:1]
	v_add_co_u32_e32 v4, vcc, s18, v4
	v_addc_co_u32_e32 v5, vcc, v6, v5, vcc
	global_load_ushort v2, v[4:5], off
	s_waitcnt vmcnt(0)
	v_cvt_f32_f16_e32 v2, v2
	s_waitcnt lgkmcnt(0)
	v_div_scale_f32 v4, s[0:1], s20, s20, v2
	v_rcp_f32_e32 v5, v4
	v_div_scale_f32 v9, vcc, v2, s20, v2
	v_fma_f32 v10, -v4, v5, 1.0
	v_fmac_f32_e32 v5, v10, v5
	v_mul_f32_e32 v10, v9, v5
	v_fma_f32 v11, -v4, v10, v9
	v_fmac_f32_e32 v10, v11, v5
	v_fma_f32 v4, -v4, v10, v9
	v_div_fmas_f32 v4, v4, v5, v10
	v_div_fixup_f32 v2, v4, s20, v2
	v_cvt_f16_f32_e32 v2, v2
	v_mov_b32_e32 v11, v3
	v_cvt_f32_f16_e32 v4, v2
	v_and_b32_sdwa v9, v4, s22 dst_sel:DWORD dst_unused:UNUSED_PAD src0_sel:BYTE_3 src1_sel:DWORD
	v_and_b32_e32 v10, 0x7f800000, v4
	v_and_b32_e32 v2, 0x7fffff, v4
	v_or_b32_e32 v5, 0x7e, v9
	v_cmp_ne_u64_e32 vcc, s[4:5], v[10:11]
	s_and_saveexec_b64 s[0:1], vcc
	s_xor_b64 s[12:13], exec, s[0:1]
	s_cbranch_execz .LBB77_59
; %bb.46:                               ;   in Loop: Header=BB77_45 Depth=1
	v_and_b32_e32 v10, 0x7fffffff, v4
	v_mov_b32_e32 v11, v3
	v_cmp_gt_u64_e32 vcc, s[6:7], v[10:11]
	s_and_saveexec_b64 s[0:1], vcc
	s_xor_b64 s[14:15], exec, s[0:1]
	s_cbranch_execz .LBB77_58
; %bb.47:                               ;   in Loop: Header=BB77_45 Depth=1
	v_cmp_ne_u32_e32 vcc, 0, v4
	v_mov_b32_e32 v5, 0
	s_and_saveexec_b64 s[16:17], vcc
	s_cbranch_execz .LBB77_57
; %bb.48:                               ;   in Loop: Header=BB77_45 Depth=1
	v_bfe_u32 v4, v4, 23, 8
	v_sub_u32_e32 v10, 0x79, v4
	v_cmp_gt_u32_e32 vcc, s23, v4
	v_cndmask_b32_e32 v10, 0, v10, vcc
	v_cmp_eq_u32_e32 vcc, 0, v4
	v_cndmask_b32_e32 v10, v10, v8, vcc
	v_add_u32_e32 v5, 0xffffff81, v4
	v_or_b32_e32 v11, 0x800000, v2
	v_add_u32_e32 v4, 20, v10
	v_cndmask_b32_e32 v16, v5, v7, vcc
	v_cndmask_b32_e32 v2, v11, v2, vcc
	v_lshlrev_b64 v[4:5], v4, -1
	v_not_b32_e32 v4, v4
	v_lshrrev_b64 v[14:15], v10, v[2:3]
	v_not_b32_e32 v5, v5
	v_and_b32_e32 v4, v2, v4
	v_add_u32_e32 v11, 19, v10
	v_lshrrev_b32_e32 v2, 23, v14
	v_and_b32_e32 v5, 0, v5
	v_lshlrev_b64 v[12:13], v11, 1
	v_add3_u32 v11, v10, v16, v2
	v_bfe_u32 v2, v14, 20, 1
	v_add_u32_e32 v2, -1, v2
	v_cmp_eq_u64_e32 vcc, v[4:5], v[12:13]
	v_cndmask_b32_e32 v2, 0, v2, vcc
	v_add_u32_e32 v2, v2, v14
	v_and_b32_e32 v2, 0xfffff, v2
	v_add_co_u32_e32 v4, vcc, v2, v14
	v_add_u32_e32 v10, 6, v11
	v_addc_co_u32_e32 v5, vcc, 0, v15, vcc
	v_cmp_ne_u32_e32 vcc, 0, v10
                                        ; implicit-def: $vgpr2
	s_and_saveexec_b64 s[0:1], vcc
	s_xor_b64 s[0:1], exec, s[0:1]
; %bb.49:                               ;   in Loop: Header=BB77_45 Depth=1
	v_add_u32_e32 v2, 7, v11
	v_cmp_lt_u64_e32 vcc, s[8:9], v[4:5]
	v_cndmask_b32_e32 v2, v10, v2, vcc
	v_cndmask_b32_e64 v10, 0, 1, vcc
	v_lshrrev_b64 v[4:5], v10, v[4:5]
; %bb.50:                               ;   in Loop: Header=BB77_45 Depth=1
	s_andn2_saveexec_b64 s[0:1], s[0:1]
; %bb.51:                               ;   in Loop: Header=BB77_45 Depth=1
	v_bfe_u32 v2, v4, 23, 1
; %bb.52:                               ;   in Loop: Header=BB77_45 Depth=1
	s_or_b64 exec, exec, s[0:1]
	v_lshrrev_b64 v[4:5], 20, v[4:5]
	v_cmp_gt_i32_e32 vcc, 16, v2
	v_cndmask_b32_e32 v5, 0, v5, vcc
	v_cndmask_b32_e32 v4, 7, v4, vcc
	v_cmp_ne_u32_e32 vcc, 0, v2
	v_cmp_ne_u64_e64 s[0:1], 0, v[4:5]
	s_or_b64 s[0:1], vcc, s[0:1]
                                        ; implicit-def: $vgpr5
	s_and_saveexec_b64 s[26:27], s[0:1]
	s_xor_b64 s[0:1], exec, s[26:27]
; %bb.53:                               ;   in Loop: Header=BB77_45 Depth=1
	v_min_i32_e32 v2, 15, v2
	v_lshl_or_b32 v2, v2, 3, v9
	v_and_or_b32 v5, v4, 7, v2
                                        ; implicit-def: $vgpr9
; %bb.54:                               ;   in Loop: Header=BB77_45 Depth=1
	s_andn2_saveexec_b64 s[0:1], s[0:1]
; %bb.55:                               ;   in Loop: Header=BB77_45 Depth=1
	v_mov_b32_e32 v5, v9
; %bb.56:                               ;   in Loop: Header=BB77_45 Depth=1
	s_or_b64 exec, exec, s[0:1]
.LBB77_57:                              ;   in Loop: Header=BB77_45 Depth=1
	s_or_b64 exec, exec, s[16:17]
.LBB77_58:                              ;   in Loop: Header=BB77_45 Depth=1
	s_andn2_saveexec_b64 s[0:1], s[14:15]
	s_or_b64 exec, exec, s[0:1]
                                        ; implicit-def: $vgpr4
.LBB77_59:                              ;   in Loop: Header=BB77_45 Depth=1
	s_andn2_saveexec_b64 s[0:1], s[12:13]
	s_cbranch_execz .LBB77_44
; %bb.60:                               ;   in Loop: Header=BB77_45 Depth=1
	v_or_b32_sdwa v4, v4, s24 dst_sel:DWORD dst_unused:UNUSED_PAD src0_sel:BYTE_3 src1_sel:DWORD
	v_cmp_eq_u64_e32 vcc, 0, v[2:3]
	v_cndmask_b32_e32 v5, v4, v5, vcc
	s_branch .LBB77_44
.LBB77_61:
	s_endpgm
.LBB77_62:
                                        ; implicit-def: $sgpr22_sgpr23
	s_branch .LBB77_6
	.section	.rodata,"a",@progbits
	.p2align	6, 0x0
	.amdhsa_kernel _ZN4vllm38concat_and_cache_mla_rope_fused_kernelIfN3c108BFloat16ELb0EthLNS_18Fp8KVCacheDataTypeE1EEEvPKlPT_S7_PKS6_PKT0_illlliPT3_S5_iiiiPKf
		.amdhsa_group_segment_fixed_size 0
		.amdhsa_private_segment_fixed_size 0
		.amdhsa_kernarg_size 384
		.amdhsa_user_sgpr_count 6
		.amdhsa_user_sgpr_private_segment_buffer 1
		.amdhsa_user_sgpr_dispatch_ptr 0
		.amdhsa_user_sgpr_queue_ptr 0
		.amdhsa_user_sgpr_kernarg_segment_ptr 1
		.amdhsa_user_sgpr_dispatch_id 0
		.amdhsa_user_sgpr_flat_scratch_init 0
		.amdhsa_user_sgpr_kernarg_preload_length 0
		.amdhsa_user_sgpr_kernarg_preload_offset 0
		.amdhsa_user_sgpr_private_segment_size 0
		.amdhsa_uses_dynamic_stack 0
		.amdhsa_system_sgpr_private_segment_wavefront_offset 0
		.amdhsa_system_sgpr_workgroup_id_x 1
		.amdhsa_system_sgpr_workgroup_id_y 0
		.amdhsa_system_sgpr_workgroup_id_z 0
		.amdhsa_system_sgpr_workgroup_info 0
		.amdhsa_system_vgpr_workitem_id 0
		.amdhsa_next_free_vgpr 24
		.amdhsa_next_free_sgpr 54
		.amdhsa_accum_offset 24
		.amdhsa_reserve_vcc 1
		.amdhsa_reserve_flat_scratch 0
		.amdhsa_float_round_mode_32 0
		.amdhsa_float_round_mode_16_64 0
		.amdhsa_float_denorm_mode_32 3
		.amdhsa_float_denorm_mode_16_64 3
		.amdhsa_dx10_clamp 1
		.amdhsa_ieee_mode 1
		.amdhsa_fp16_overflow 0
		.amdhsa_tg_split 0
		.amdhsa_exception_fp_ieee_invalid_op 0
		.amdhsa_exception_fp_denorm_src 0
		.amdhsa_exception_fp_ieee_div_zero 0
		.amdhsa_exception_fp_ieee_overflow 0
		.amdhsa_exception_fp_ieee_underflow 0
		.amdhsa_exception_fp_ieee_inexact 0
		.amdhsa_exception_int_div_zero 0
	.end_amdhsa_kernel
	.section	.text._ZN4vllm38concat_and_cache_mla_rope_fused_kernelIfN3c108BFloat16ELb0EthLNS_18Fp8KVCacheDataTypeE1EEEvPKlPT_S7_PKS6_PKT0_illlliPT3_S5_iiiiPKf,"axG",@progbits,_ZN4vllm38concat_and_cache_mla_rope_fused_kernelIfN3c108BFloat16ELb0EthLNS_18Fp8KVCacheDataTypeE1EEEvPKlPT_S7_PKS6_PKT0_illlliPT3_S5_iiiiPKf,comdat
.Lfunc_end77:
	.size	_ZN4vllm38concat_and_cache_mla_rope_fused_kernelIfN3c108BFloat16ELb0EthLNS_18Fp8KVCacheDataTypeE1EEEvPKlPT_S7_PKS6_PKT0_illlliPT3_S5_iiiiPKf, .Lfunc_end77-_ZN4vllm38concat_and_cache_mla_rope_fused_kernelIfN3c108BFloat16ELb0EthLNS_18Fp8KVCacheDataTypeE1EEEvPKlPT_S7_PKS6_PKT0_illlliPT3_S5_iiiiPKf
                                        ; -- End function
	.section	.AMDGPU.csdata,"",@progbits
; Kernel info:
; codeLenInByte = 3676
; NumSgprs: 58
; NumVgprs: 24
; NumAgprs: 0
; TotalNumVgprs: 24
; ScratchSize: 0
; MemoryBound: 0
; FloatMode: 240
; IeeeMode: 1
; LDSByteSize: 0 bytes/workgroup (compile time only)
; SGPRBlocks: 7
; VGPRBlocks: 2
; NumSGPRsForWavesPerEU: 58
; NumVGPRsForWavesPerEU: 24
; AccumOffset: 24
; Occupancy: 8
; WaveLimiterHint : 1
; COMPUTE_PGM_RSRC2:SCRATCH_EN: 0
; COMPUTE_PGM_RSRC2:USER_SGPR: 6
; COMPUTE_PGM_RSRC2:TRAP_HANDLER: 0
; COMPUTE_PGM_RSRC2:TGID_X_EN: 1
; COMPUTE_PGM_RSRC2:TGID_Y_EN: 0
; COMPUTE_PGM_RSRC2:TGID_Z_EN: 0
; COMPUTE_PGM_RSRC2:TIDIG_COMP_CNT: 0
; COMPUTE_PGM_RSRC3_GFX90A:ACCUM_OFFSET: 5
; COMPUTE_PGM_RSRC3_GFX90A:TG_SPLIT: 0
	.section	.text._ZN4vllm38concat_and_cache_mla_rope_fused_kernelIN3c104HalfEfLb1EthLNS_18Fp8KVCacheDataTypeE1EEEvPKlPT_S7_PKS6_PKT0_illlliPT3_S5_iiiiPKf,"axG",@progbits,_ZN4vllm38concat_and_cache_mla_rope_fused_kernelIN3c104HalfEfLb1EthLNS_18Fp8KVCacheDataTypeE1EEEvPKlPT_S7_PKS6_PKT0_illlliPT3_S5_iiiiPKf,comdat
	.protected	_ZN4vllm38concat_and_cache_mla_rope_fused_kernelIN3c104HalfEfLb1EthLNS_18Fp8KVCacheDataTypeE1EEEvPKlPT_S7_PKS6_PKT0_illlliPT3_S5_iiiiPKf ; -- Begin function _ZN4vllm38concat_and_cache_mla_rope_fused_kernelIN3c104HalfEfLb1EthLNS_18Fp8KVCacheDataTypeE1EEEvPKlPT_S7_PKS6_PKT0_illlliPT3_S5_iiiiPKf
	.globl	_ZN4vllm38concat_and_cache_mla_rope_fused_kernelIN3c104HalfEfLb1EthLNS_18Fp8KVCacheDataTypeE1EEEvPKlPT_S7_PKS6_PKT0_illlliPT3_S5_iiiiPKf
	.p2align	8
	.type	_ZN4vllm38concat_and_cache_mla_rope_fused_kernelIN3c104HalfEfLb1EthLNS_18Fp8KVCacheDataTypeE1EEEvPKlPT_S7_PKS6_PKT0_illlliPT3_S5_iiiiPKf,@function
_ZN4vllm38concat_and_cache_mla_rope_fused_kernelIN3c104HalfEfLb1EthLNS_18Fp8KVCacheDataTypeE1EEEvPKlPT_S7_PKS6_PKT0_illlliPT3_S5_iiiiPKf: ; @_ZN4vllm38concat_and_cache_mla_rope_fused_kernelIN3c104HalfEfLb1EthLNS_18Fp8KVCacheDataTypeE1EEEvPKlPT_S7_PKS6_PKT0_illlliPT3_S5_iiiiPKf
; %bb.0:
	s_load_dwordx2 s[2:3], s[4:5], 0x60
	s_mov_b32 s7, 0
	s_lshl_b64 s[0:1], s[6:7], 3
	s_waitcnt lgkmcnt(0)
	s_add_u32 s2, s2, s0
	s_addc_u32 s3, s3, s1
	s_load_dwordx2 s[26:27], s[2:3], 0x0
	s_waitcnt lgkmcnt(0)
	v_cmp_lt_i64_e64 s[2:3], s[26:27], 0
	s_and_b64 vcc, exec, s[2:3]
	s_cbranch_vccnz .LBB78_61
; %bb.1:
	s_load_dword s7, s[4:5], 0x28
	s_load_dwordx2 s[2:3], s[4:5], 0x0
	s_load_dwordx4 s[16:19], s[4:5], 0x10
	s_waitcnt lgkmcnt(0)
	s_ashr_i32 s22, s7, 31
	s_add_u32 s0, s2, s0
	s_addc_u32 s1, s3, s1
	s_load_dwordx2 s[20:21], s[0:1], 0x0
	s_load_dwordx2 s[28:29], s[4:5], 0x20
	s_load_dwordx8 s[8:15], s[4:5], 0x30
	s_load_dwordx2 s[2:3], s[4:5], 0x58
	s_load_dword s23, s[4:5], 0x50
	s_waitcnt lgkmcnt(0)
	s_mul_i32 s0, s20, s22
	s_mul_hi_u32 s1, s20, s7
	s_mul_i32 s21, s21, s7
	s_add_i32 s0, s1, s0
	s_add_i32 s31, s0, s21
	s_lshr_b32 s0, s7, 31
	s_mul_i32 s30, s20, s7
	s_add_i32 s7, s7, s0
	s_ashr_i32 s20, s7, 1
	s_mul_i32 s7, s20, s23
	v_cmp_gt_i32_e32 vcc, s7, v0
	s_and_saveexec_b64 s[0:1], vcc
	s_cbranch_execz .LBB78_4
; %bb.2:
	s_lshl_b64 s[22:23], s[30:31], 2
	s_add_u32 s33, s28, s22
	s_addc_u32 s24, s29, s23
	s_load_dwordx2 s[22:23], s[4:5], 0x8
	s_mul_i32 s9, s6, s9
	s_mul_hi_u32 s25, s6, s8
	s_add_i32 s9, s25, s9
	s_load_dword s25, s[4:5], 0x8c
	s_mul_i32 s8, s6, s8
	s_ashr_i32 s21, s20, 31
	s_lshl_b64 s[8:9], s[8:9], 1
	s_waitcnt lgkmcnt(0)
	s_add_u32 s34, s22, s8
	s_addc_u32 s38, s23, s9
	s_abs_i32 s35, s20
	v_cvt_f32_u32_e32 v1, s35
	s_sub_i32 s8, 0, s35
	s_and_b32 s36, s25, 0xffff
	v_mov_b32_e32 v3, s24
	v_rcp_iflag_f32_e32 v1, v1
	s_lshl_b64 s[22:23], s[20:21], 2
	s_lshl_b64 s[24:25], s[20:21], 1
	s_sub_i32 s37, 0, s20
	v_mul_f32_e32 v1, 0x4f7ffffe, v1
	v_cvt_u32_f32_e32 v1, v1
	v_mov_b32_e32 v4, s23
	v_mov_b32_e32 v5, s38
	;; [unrolled: 1-line block ×3, first 2 shown]
	v_mul_lo_u32 v2, s8, v1
	v_mul_hi_u32 v2, v1, v2
	v_add_u32_e32 v1, v1, v2
	s_mov_b64 s[8:9], 0
	v_mov_b32_e32 v2, v0
.LBB78_3:                               ; =>This Inner Loop Header: Depth=1
	v_sub_u32_e32 v8, 0, v2
	v_max_i32_e32 v8, v2, v8
	v_mul_hi_u32 v9, v8, v1
	v_mul_lo_u32 v10, v9, s35
	v_sub_u32_e32 v8, v8, v10
	v_add_u32_e32 v11, 1, v9
	v_cmp_le_u32_e32 vcc, s35, v8
	v_subrev_u32_e32 v10, s35, v8
	v_cndmask_b32_e32 v9, v9, v11, vcc
	v_cndmask_b32_e32 v8, v8, v10, vcc
	v_ashrrev_i32_e32 v7, 31, v2
	v_add_u32_e32 v10, 1, v9
	v_cmp_le_u32_e32 vcc, s35, v8
	v_xor_b32_e32 v7, s21, v7
	v_cndmask_b32_e32 v8, v9, v10, vcc
	v_xor_b32_e32 v8, v8, v7
	v_sub_u32_e32 v7, v8, v7
	v_mad_u64_u32 v[8:9], s[38:39], s37, v7, v[2:3]
	v_ashrrev_i32_e32 v12, 31, v7
	v_ashrrev_i32_e32 v9, 31, v8
	v_mul_lo_u32 v14, v7, s11
	v_mad_u64_u32 v[10:11], s[38:39], v7, s10, 0
	v_mul_lo_u32 v7, v12, s10
	v_lshlrev_b64 v[12:13], 2, v[8:9]
	v_add_co_u32_e32 v12, vcc, s33, v12
	v_addc_co_u32_e32 v13, vcc, v3, v13, vcc
	v_add3_u32 v11, v11, v14, v7
	v_add_co_u32_e32 v14, vcc, s22, v12
	v_lshlrev_b64 v[10:11], 1, v[10:11]
	v_addc_co_u32_e32 v15, vcc, v13, v4, vcc
	v_add_co_u32_e32 v7, vcc, s34, v10
	v_lshlrev_b64 v[8:9], 1, v[8:9]
	v_addc_co_u32_e32 v10, vcc, v5, v11, vcc
	global_load_dword v16, v[12:13], off
	global_load_dword v17, v[14:15], off
	v_add_co_u32_e32 v8, vcc, v7, v8
	v_addc_co_u32_e32 v9, vcc, v10, v9, vcc
	v_add_co_u32_e32 v10, vcc, s24, v8
	v_addc_co_u32_e32 v11, vcc, v9, v6, vcc
	global_load_ushort v7, v[8:9], off
	global_load_ushort v12, v[10:11], off
	v_add_u32_e32 v2, s36, v2
	v_cmp_le_i32_e32 vcc, s7, v2
	s_or_b64 s[8:9], vcc, s[8:9]
	s_waitcnt vmcnt(3)
	v_cvt_f16_f32_e32 v13, v16
	s_waitcnt vmcnt(2)
	v_cvt_f16_f32_e32 v14, v17
	s_waitcnt vmcnt(0)
	v_mul_f16_e32 v15, v12, v13
	v_mul_f16_e32 v12, v12, v14
	v_fma_f16 v14, v7, v14, v15
	v_fma_f16 v7, v7, v13, -v12
	global_store_short v[8:9], v7, off
	global_store_short v[10:11], v14, off
	s_andn2_b64 exec, exec, s[8:9]
	s_cbranch_execnz .LBB78_3
.LBB78_4:
	s_or_b64 exec, exec, s[0:1]
	s_load_dwordx4 s[8:11], s[4:5], 0x68
	s_waitcnt lgkmcnt(0)
	s_ashr_i32 s35, s11, 31
	s_mov_b32 s34, s11
	s_or_b64 s[0:1], s[26:27], s[34:35]
	s_mov_b32 s0, 0
	s_cmp_lg_u64 s[0:1], 0
	s_cbranch_scc0 .LBB78_62
; %bb.5:
	s_add_u32 s0, s34, s35
	s_mov_b32 s22, s35
	s_mov_b32 s23, s35
	s_addc_u32 s1, s35, s35
	s_xor_b64 s[36:37], s[0:1], s[22:23]
	v_cvt_f32_u32_e32 v1, s36
	v_cvt_f32_u32_e32 v2, s37
	s_sub_u32 s0, 0, s36
	s_subb_u32 s1, 0, s37
	v_madmk_f32 v1, v2, 0x4f800000, v1
	v_rcp_f32_e32 v1, v1
	v_mul_f32_e32 v1, 0x5f7ffffc, v1
	v_mul_f32_e32 v2, 0x2f800000, v1
	v_trunc_f32_e32 v2, v2
	v_madmk_f32 v1, v2, 0xcf800000, v1
	v_cvt_u32_f32_e32 v2, v2
	v_cvt_u32_f32_e32 v1, v1
	v_readfirstlane_b32 s7, v2
	v_readfirstlane_b32 s11, v1
	s_mul_i32 s21, s0, s7
	s_mul_hi_u32 s38, s0, s11
	s_mul_i32 s33, s1, s11
	s_add_i32 s21, s38, s21
	s_add_i32 s21, s21, s33
	s_mul_i32 s39, s0, s11
	s_mul_hi_u32 s33, s11, s21
	s_mul_i32 s38, s11, s21
	s_mul_hi_u32 s11, s11, s39
	s_add_u32 s11, s11, s38
	s_addc_u32 s33, 0, s33
	s_mul_hi_u32 s40, s7, s39
	s_mul_i32 s39, s7, s39
	s_add_u32 s11, s11, s39
	s_mul_hi_u32 s38, s7, s21
	s_addc_u32 s11, s33, s40
	s_addc_u32 s33, s38, 0
	s_mul_i32 s21, s7, s21
	s_add_u32 s11, s11, s21
	s_addc_u32 s21, 0, s33
	v_add_co_u32_e32 v1, vcc, s11, v1
	s_cmp_lg_u64 vcc, 0
	s_addc_u32 s7, s7, s21
	v_readfirstlane_b32 s21, v1
	s_mul_i32 s11, s0, s7
	s_mul_hi_u32 s33, s0, s21
	s_add_i32 s11, s33, s11
	s_mul_i32 s1, s1, s21
	s_add_i32 s11, s11, s1
	s_mul_i32 s0, s0, s21
	s_mul_hi_u32 s33, s7, s0
	s_mul_i32 s38, s7, s0
	s_mul_i32 s40, s21, s11
	s_mul_hi_u32 s0, s21, s0
	s_mul_hi_u32 s39, s21, s11
	s_add_u32 s0, s0, s40
	s_addc_u32 s21, 0, s39
	s_add_u32 s0, s0, s38
	s_mul_hi_u32 s1, s7, s11
	s_addc_u32 s0, s21, s33
	s_addc_u32 s1, s1, 0
	s_mul_i32 s11, s7, s11
	s_add_u32 s0, s0, s11
	s_addc_u32 s1, 0, s1
	v_add_co_u32_e32 v1, vcc, s0, v1
	s_cmp_lg_u64 vcc, 0
	s_addc_u32 s7, s7, s1
	s_ashr_i32 s38, s27, 31
	s_add_u32 s0, s26, s38
	s_mov_b32 s39, s38
	s_addc_u32 s1, s27, s38
	s_xor_b64 s[40:41], s[0:1], s[38:39]
	v_readfirstlane_b32 s11, v1
	s_mul_i32 s1, s40, s7
	s_mul_hi_u32 s21, s40, s11
	s_mul_hi_u32 s0, s40, s7
	s_add_u32 s1, s21, s1
	s_addc_u32 s0, 0, s0
	s_mul_hi_u32 s33, s41, s11
	s_mul_i32 s11, s41, s11
	s_add_u32 s1, s1, s11
	s_mul_hi_u32 s21, s41, s7
	s_addc_u32 s0, s0, s33
	s_addc_u32 s1, s21, 0
	s_mul_i32 s7, s41, s7
	s_add_u32 s7, s0, s7
	s_addc_u32 s11, 0, s1
	s_mul_i32 s0, s36, s11
	s_mul_hi_u32 s1, s36, s7
	s_add_i32 s0, s1, s0
	s_mul_i32 s1, s37, s7
	s_add_i32 s21, s0, s1
	s_mul_i32 s1, s36, s7
	v_mov_b32_e32 v1, s1
	s_sub_i32 s0, s41, s21
	v_sub_co_u32_e32 v1, vcc, s40, v1
	s_cmp_lg_u64 vcc, 0
	s_subb_u32 s33, s0, s37
	v_subrev_co_u32_e64 v2, s[0:1], s36, v1
	s_cmp_lg_u64 s[0:1], 0
	s_subb_u32 s0, s33, 0
	s_cmp_ge_u32 s0, s37
	v_readfirstlane_b32 s33, v2
	s_cselect_b32 s1, -1, 0
	s_cmp_ge_u32 s33, s36
	s_cselect_b32 s33, -1, 0
	s_cmp_eq_u32 s0, s37
	s_cselect_b32 s0, s33, s1
	s_add_u32 s1, s7, 1
	s_addc_u32 s33, s11, 0
	s_add_u32 s40, s7, 2
	s_addc_u32 s42, s11, 0
	s_cmp_lg_u32 s0, 0
	s_cselect_b32 s0, s40, s1
	s_cselect_b32 s1, s42, s33
	s_cmp_lg_u64 vcc, 0
	s_subb_u32 s21, s41, s21
	s_cmp_ge_u32 s21, s37
	v_readfirstlane_b32 s40, v1
	s_cselect_b32 s33, -1, 0
	s_cmp_ge_u32 s40, s36
	s_cselect_b32 s36, -1, 0
	s_cmp_eq_u32 s21, s37
	s_cselect_b32 s21, s36, s33
	s_cmp_lg_u32 s21, 0
	s_cselect_b32 s1, s1, s11
	s_cselect_b32 s0, s0, s7
	s_xor_b64 s[22:23], s[38:39], s[22:23]
	s_xor_b64 s[0:1], s[0:1], s[22:23]
	s_sub_u32 s22, s0, s22
	s_subb_u32 s23, s1, s23
	s_cbranch_execnz .LBB78_7
.LBB78_6:
	v_cvt_f32_u32_e32 v1, s34
	s_sub_i32 s0, 0, s34
	s_mov_b32 s23, 0
	v_rcp_iflag_f32_e32 v1, v1
	v_mul_f32_e32 v1, 0x4f7ffffe, v1
	v_cvt_u32_f32_e32 v1, v1
	v_readfirstlane_b32 s1, v1
	s_mul_i32 s0, s0, s1
	s_mul_hi_u32 s0, s1, s0
	s_add_i32 s1, s1, s0
	s_mul_hi_u32 s0, s26, s1
	s_mul_i32 s7, s0, s34
	s_sub_i32 s7, s26, s7
	s_add_i32 s1, s0, 1
	s_sub_i32 s11, s7, s34
	s_cmp_ge_u32 s7, s34
	s_cselect_b32 s0, s1, s0
	s_cselect_b32 s7, s11, s7
	s_add_i32 s1, s0, 1
	s_cmp_ge_u32 s7, s34
	s_cselect_b32 s22, s1, s0
.LBB78_7:
	s_mul_i32 s0, s22, s35
	s_mul_hi_u32 s1, s22, s34
	s_load_dwordx2 s[24:25], s[4:5], 0x78
	s_add_i32 s0, s1, s0
	s_mul_i32 s1, s23, s34
	s_add_i32 s0, s0, s1
	s_mul_i32 s1, s22, s34
	s_sub_u32 s7, s26, s1
	s_subb_u32 s11, s27, s0
	v_cmp_gt_i32_e32 vcc, s20, v0
	s_mul_hi_u32 s46, s22, s8
	s_mul_i32 s47, s23, s8
	s_mul_i32 s48, s22, s8
	s_mul_hi_u32 s33, s7, s9
	s_mul_i32 s11, s11, s9
	s_mul_i32 s23, s7, s9
	s_and_saveexec_b64 s[26:27], vcc
	s_cbranch_execz .LBB78_42
; %bb.8:
	s_ashr_i32 s0, s8, 31
	s_ashr_i32 s1, s9, 31
	s_mul_i32 s0, s22, s0
	s_mul_i32 s1, s7, s1
	s_add_i32 s0, s46, s0
	s_add_i32 s1, s33, s1
	s_ashr_i32 s21, s20, 31
	s_add_i32 s0, s0, s47
	s_add_i32 s1, s1, s11
	s_add_u32 s34, s48, s23
	s_load_dword s36, s[4:5], 0x8c
	s_addc_u32 s35, s0, s1
	s_add_u32 s0, s34, s2
	s_addc_u32 s1, s35, s3
	s_ashr_i32 s37, s10, 31
	s_add_u32 s49, s0, s10
	s_addc_u32 s50, s1, s37
	s_waitcnt lgkmcnt(0)
	s_and_b32 s52, s36, 0xffff
	s_lshl_b64 s[0:1], s[30:31], 2
	s_add_u32 s0, s28, s0
	v_lshlrev_b32_e32 v1, 2, v0
	s_addc_u32 s1, s29, s1
	v_mov_b32_e32 v2, s1
	v_add_co_u32_e32 v4, vcc, s0, v1
	s_mul_i32 s0, s13, s6
	s_mul_hi_u32 s1, s12, s6
	s_add_i32 s1, s1, s0
	s_mul_i32 s0, s12, s6
	s_lshl_b32 s54, s52, 2
	s_lshl_b64 s[28:29], s[20:21], 2
	s_lshl_b64 s[30:31], s[20:21], 1
	;; [unrolled: 1-line block ×3, first 2 shown]
	s_add_u32 s0, s16, s0
	v_addc_co_u32_e32 v5, vcc, 0, v2, vcc
	v_lshlrev_b32_e32 v1, 1, v0
	s_addc_u32 s1, s17, s1
	s_lshl_b32 s55, s52, 1
	v_add_co_u32_e32 v6, vcc, s0, v1
	s_add_u32 s0, s34, s20
	s_load_dword s51, s[24:25], 0x0
	v_mov_b32_e32 v2, s1
	s_addc_u32 s1, s35, s21
	s_add_u32 s0, s0, s10
	s_addc_u32 s1, s1, s37
	s_mov_b32 s53, 0
	s_add_u32 s21, s2, s0
	v_mov_b32_e32 v3, 0
	v_addc_co_u32_e32 v7, vcc, 0, v2, vcc
	s_mov_b32 s56, s53
	s_addc_u32 s57, s3, s1
	s_mov_b64 s[12:13], 0
	v_mov_b32_e32 v1, s29
	v_mov_b32_e32 v10, s31
	s_movk_i32 s29, 0x80
	s_mov_b64 s[16:17], 0x7f800000
	s_mov_b64 s[34:35], 0x43e00001
	s_movk_i32 s31, 0x7a
	s_mov_b64 s[36:37], 0xffffff
	s_movk_i32 s58, 0x7f
	v_mov_b32_e32 v11, 0xffffff82
	v_mov_b32_e32 v12, 0x78
	s_mov_b64 s[38:39], 0
	s_branch .LBB78_10
.LBB78_9:                               ;   in Loop: Header=BB78_10 Depth=1
	s_or_b64 exec, exec, s[0:1]
	s_add_u32 s38, s38, s52
	v_mov_b32_e32 v2, s57
	v_add_co_u32_e32 v14, vcc, s21, v0
	s_addc_u32 s39, s39, 0
	v_addc_co_u32_e32 v15, vcc, 0, v2, vcc
	s_add_u32 s21, s21, s52
	v_mov_b32_e32 v8, s53
	v_add_co_u32_e32 v4, vcc, s54, v4
	s_addc_u32 s57, s57, 0
	v_add_u32_e32 v2, s38, v0
	v_addc_co_u32_e32 v5, vcc, v5, v8, vcc
	s_add_u32 s49, s49, s52
	s_addc_u32 s50, s50, 0
	v_cmp_le_i32_e32 vcc, s20, v2
	v_mov_b32_e32 v8, s56
	s_or_b64 s[12:13], vcc, s[12:13]
	v_add_co_u32_e32 v6, vcc, s55, v6
	v_addc_co_u32_e32 v7, vcc, v7, v8, vcc
	global_store_byte v[14:15], v9, off
	s_andn2_b64 exec, exec, s[12:13]
	s_cbranch_execz .LBB78_42
.LBB78_10:                              ; =>This Inner Loop Header: Depth=1
	v_add_co_u32_e32 v8, vcc, s28, v4
	v_addc_co_u32_e32 v9, vcc, v5, v1, vcc
	global_load_dword v2, v[4:5], off
	v_add_co_u32_e32 v14, vcc, s30, v6
	global_load_dword v8, v[8:9], off
	v_addc_co_u32_e32 v15, vcc, v7, v10, vcc
	global_load_ushort v9, v[14:15], off
	global_load_ushort v13, v[6:7], off
	s_waitcnt vmcnt(3)
	v_cvt_f16_f32_e32 v2, v2
	s_waitcnt vmcnt(2)
	v_cvt_f16_f32_e32 v16, v8
	s_waitcnt vmcnt(1)
	v_mul_f16_e32 v8, v9, v16
	s_waitcnt vmcnt(0)
	v_fma_f16 v18, v13, v2, -v8
	v_cvt_f32_f16_e32 v8, v18
	v_mul_f16_e32 v2, v9, v2
	v_fma_f16 v13, v13, v16, v2
	global_store_short v[6:7], v18, off
	global_store_short v[14:15], v13, off
	s_waitcnt lgkmcnt(0)
	v_div_scale_f32 v17, s[0:1], s51, s51, v8
	v_rcp_f32_e32 v19, v17
	v_div_scale_f32 v20, vcc, v8, s51, v8
	v_fma_f32 v21, -v17, v19, 1.0
	v_fmac_f32_e32 v19, v21, v19
	v_mul_f32_e32 v21, v20, v19
	v_fma_f32 v22, -v17, v21, v20
	v_fmac_f32_e32 v21, v22, v19
	v_fma_f32 v17, -v17, v21, v20
	v_div_fmas_f32 v17, v17, v19, v21
	v_div_fixup_f32 v8, v17, s51, v8
	v_cvt_f16_f32_e32 v8, v8
	v_mov_b32_e32 v17, v3
	v_cvt_f32_f16_e32 v8, v8
	v_and_b32_sdwa v14, v8, s29 dst_sel:DWORD dst_unused:UNUSED_PAD src0_sel:BYTE_3 src1_sel:DWORD
	v_and_b32_e32 v16, 0x7f800000, v8
	v_and_b32_e32 v2, 0x7fffff, v8
	v_or_b32_e32 v9, 0x7e, v14
	v_cmp_ne_u64_e32 vcc, s[16:17], v[16:17]
	s_and_saveexec_b64 s[0:1], vcc
	s_xor_b64 s[40:41], exec, s[0:1]
	s_cbranch_execz .LBB78_24
; %bb.11:                               ;   in Loop: Header=BB78_10 Depth=1
	v_and_b32_e32 v16, 0x7fffffff, v8
	v_mov_b32_e32 v17, v3
	v_cmp_gt_u64_e32 vcc, s[34:35], v[16:17]
	s_and_saveexec_b64 s[0:1], vcc
	s_xor_b64 s[42:43], exec, s[0:1]
	s_cbranch_execz .LBB78_23
; %bb.12:                               ;   in Loop: Header=BB78_10 Depth=1
	v_cmp_ne_u32_e32 vcc, 0, v8
	v_mov_b32_e32 v9, 0
	s_and_saveexec_b64 s[44:45], vcc
	s_cbranch_execz .LBB78_22
; %bb.13:                               ;   in Loop: Header=BB78_10 Depth=1
	v_bfe_u32 v8, v8, 23, 8
	v_sub_u32_e32 v15, 0x79, v8
	v_cmp_gt_u32_e32 vcc, s31, v8
	v_cndmask_b32_e32 v15, 0, v15, vcc
	v_cmp_eq_u32_e32 vcc, 0, v8
	v_cndmask_b32_e32 v15, v15, v12, vcc
	v_add_u32_e32 v9, 0xffffff81, v8
	v_or_b32_e32 v16, 0x800000, v2
	v_add_u32_e32 v8, 20, v15
	v_cndmask_b32_e32 v17, v9, v11, vcc
	v_cndmask_b32_e32 v2, v16, v2, vcc
	v_lshlrev_b64 v[8:9], v8, -1
	v_not_b32_e32 v8, v8
	v_lshrrev_b64 v[20:21], v15, v[2:3]
	v_not_b32_e32 v9, v9
	v_and_b32_e32 v8, v2, v8
	v_add_u32_e32 v16, 19, v15
	v_lshrrev_b32_e32 v2, 23, v20
	v_and_b32_e32 v9, 0, v9
	v_lshlrev_b64 v[18:19], v16, 1
	v_add3_u32 v16, v15, v17, v2
	v_bfe_u32 v2, v20, 20, 1
	v_add_u32_e32 v2, -1, v2
	v_cmp_eq_u64_e32 vcc, v[8:9], v[18:19]
	v_cndmask_b32_e32 v2, 0, v2, vcc
	v_add_u32_e32 v2, v2, v20
	v_and_b32_e32 v2, 0xfffff, v2
	v_add_co_u32_e32 v8, vcc, v2, v20
	v_add_u32_e32 v15, 6, v16
	v_addc_co_u32_e32 v9, vcc, 0, v21, vcc
	v_cmp_ne_u32_e32 vcc, 0, v15
                                        ; implicit-def: $vgpr2
	s_and_saveexec_b64 s[0:1], vcc
	s_xor_b64 s[0:1], exec, s[0:1]
; %bb.14:                               ;   in Loop: Header=BB78_10 Depth=1
	v_add_u32_e32 v2, 7, v16
	v_cmp_lt_u64_e32 vcc, s[36:37], v[8:9]
	v_cndmask_b32_e32 v2, v15, v2, vcc
	v_cndmask_b32_e64 v15, 0, 1, vcc
	v_lshrrev_b64 v[8:9], v15, v[8:9]
; %bb.15:                               ;   in Loop: Header=BB78_10 Depth=1
	s_andn2_saveexec_b64 s[0:1], s[0:1]
; %bb.16:                               ;   in Loop: Header=BB78_10 Depth=1
	v_bfe_u32 v2, v8, 23, 1
; %bb.17:                               ;   in Loop: Header=BB78_10 Depth=1
	s_or_b64 exec, exec, s[0:1]
	v_lshrrev_b64 v[8:9], 20, v[8:9]
	v_cmp_gt_i32_e32 vcc, 16, v2
	v_cndmask_b32_e32 v9, 0, v9, vcc
	v_cndmask_b32_e32 v8, 7, v8, vcc
	v_cmp_ne_u32_e32 vcc, 0, v2
	v_cmp_ne_u64_e64 s[0:1], 0, v[8:9]
	s_or_b64 s[0:1], vcc, s[0:1]
                                        ; implicit-def: $vgpr9
	s_and_saveexec_b64 s[60:61], s[0:1]
	s_xor_b64 s[0:1], exec, s[60:61]
; %bb.18:                               ;   in Loop: Header=BB78_10 Depth=1
	v_min_i32_e32 v2, 15, v2
	v_lshl_or_b32 v2, v2, 3, v14
	v_and_or_b32 v9, v8, 7, v2
                                        ; implicit-def: $vgpr14
; %bb.19:                               ;   in Loop: Header=BB78_10 Depth=1
	s_andn2_saveexec_b64 s[0:1], s[0:1]
; %bb.20:                               ;   in Loop: Header=BB78_10 Depth=1
	v_mov_b32_e32 v9, v14
; %bb.21:                               ;   in Loop: Header=BB78_10 Depth=1
	s_or_b64 exec, exec, s[0:1]
.LBB78_22:                              ;   in Loop: Header=BB78_10 Depth=1
	s_or_b64 exec, exec, s[44:45]
.LBB78_23:                              ;   in Loop: Header=BB78_10 Depth=1
	s_andn2_saveexec_b64 s[0:1], s[42:43]
	s_or_b64 exec, exec, s[0:1]
                                        ; implicit-def: $vgpr8
.LBB78_24:                              ;   in Loop: Header=BB78_10 Depth=1
	s_andn2_saveexec_b64 s[0:1], s[40:41]
; %bb.25:                               ;   in Loop: Header=BB78_10 Depth=1
	v_or_b32_sdwa v8, v8, s58 dst_sel:DWORD dst_unused:UNUSED_PAD src0_sel:BYTE_3 src1_sel:DWORD
	v_cmp_eq_u64_e32 vcc, 0, v[2:3]
	v_cndmask_b32_e32 v9, v8, v9, vcc
; %bb.26:                               ;   in Loop: Header=BB78_10 Depth=1
	s_or_b64 exec, exec, s[0:1]
	v_cvt_f32_f16_e32 v2, v13
	v_div_scale_f32 v8, s[0:1], s51, s51, v2
	v_rcp_f32_e32 v13, v8
	v_div_scale_f32 v14, vcc, v2, s51, v2
	v_fma_f32 v15, -v8, v13, 1.0
	v_fmac_f32_e32 v13, v15, v13
	v_mul_f32_e32 v15, v14, v13
	v_fma_f32 v16, -v8, v15, v14
	v_fmac_f32_e32 v15, v16, v13
	v_fma_f32 v8, -v8, v15, v14
	v_div_fmas_f32 v8, v8, v13, v15
	v_div_fixup_f32 v2, v8, s51, v2
	v_cvt_f16_f32_e32 v2, v2
	v_mov_b32_e32 v13, s50
	v_add_co_u32_e32 v14, vcc, s49, v0
	v_cvt_f32_f16_e32 v8, v2
	v_addc_co_u32_e32 v15, vcc, 0, v13, vcc
	global_store_byte v[14:15], v9, off
	v_and_b32_sdwa v13, v8, s29 dst_sel:DWORD dst_unused:UNUSED_PAD src0_sel:BYTE_3 src1_sel:DWORD
	v_and_b32_e32 v14, 0x7f800000, v8
	v_mov_b32_e32 v15, v3
	v_and_b32_e32 v2, 0x7fffff, v8
	v_or_b32_e32 v9, 0x7e, v13
	v_cmp_ne_u64_e32 vcc, s[16:17], v[14:15]
	s_and_saveexec_b64 s[0:1], vcc
	s_xor_b64 s[40:41], exec, s[0:1]
	s_cbranch_execz .LBB78_40
; %bb.27:                               ;   in Loop: Header=BB78_10 Depth=1
	v_and_b32_e32 v14, 0x7fffffff, v8
	v_mov_b32_e32 v15, v3
	v_cmp_gt_u64_e32 vcc, s[34:35], v[14:15]
	s_and_saveexec_b64 s[0:1], vcc
	s_xor_b64 s[42:43], exec, s[0:1]
	s_cbranch_execz .LBB78_39
; %bb.28:                               ;   in Loop: Header=BB78_10 Depth=1
	v_cmp_ne_u32_e32 vcc, 0, v8
	v_mov_b32_e32 v9, 0
	s_and_saveexec_b64 s[44:45], vcc
	s_cbranch_execz .LBB78_38
; %bb.29:                               ;   in Loop: Header=BB78_10 Depth=1
	v_bfe_u32 v8, v8, 23, 8
	v_sub_u32_e32 v14, 0x79, v8
	v_cmp_gt_u32_e32 vcc, s31, v8
	v_cndmask_b32_e32 v14, 0, v14, vcc
	v_cmp_eq_u32_e32 vcc, 0, v8
	v_cndmask_b32_e32 v14, v14, v12, vcc
	v_add_u32_e32 v9, 0xffffff81, v8
	v_or_b32_e32 v15, 0x800000, v2
	v_add_u32_e32 v8, 20, v14
	v_cndmask_b32_e32 v20, v9, v11, vcc
	v_cndmask_b32_e32 v2, v15, v2, vcc
	v_lshlrev_b64 v[8:9], v8, -1
	v_not_b32_e32 v8, v8
	v_lshrrev_b64 v[18:19], v14, v[2:3]
	v_not_b32_e32 v9, v9
	v_and_b32_e32 v8, v2, v8
	v_add_u32_e32 v15, 19, v14
	v_lshrrev_b32_e32 v2, 23, v18
	v_and_b32_e32 v9, 0, v9
	v_lshlrev_b64 v[16:17], v15, 1
	v_add3_u32 v15, v14, v20, v2
	v_bfe_u32 v2, v18, 20, 1
	v_add_u32_e32 v2, -1, v2
	v_cmp_eq_u64_e32 vcc, v[8:9], v[16:17]
	v_cndmask_b32_e32 v2, 0, v2, vcc
	v_add_u32_e32 v2, v2, v18
	v_and_b32_e32 v2, 0xfffff, v2
	v_add_co_u32_e32 v8, vcc, v2, v18
	v_add_u32_e32 v14, 6, v15
	v_addc_co_u32_e32 v9, vcc, 0, v19, vcc
	v_cmp_ne_u32_e32 vcc, 0, v14
                                        ; implicit-def: $vgpr2
	s_and_saveexec_b64 s[0:1], vcc
	s_xor_b64 s[0:1], exec, s[0:1]
; %bb.30:                               ;   in Loop: Header=BB78_10 Depth=1
	v_add_u32_e32 v2, 7, v15
	v_cmp_lt_u64_e32 vcc, s[36:37], v[8:9]
	v_cndmask_b32_e32 v2, v14, v2, vcc
	v_cndmask_b32_e64 v14, 0, 1, vcc
	v_lshrrev_b64 v[8:9], v14, v[8:9]
; %bb.31:                               ;   in Loop: Header=BB78_10 Depth=1
	s_andn2_saveexec_b64 s[0:1], s[0:1]
; %bb.32:                               ;   in Loop: Header=BB78_10 Depth=1
	v_bfe_u32 v2, v8, 23, 1
; %bb.33:                               ;   in Loop: Header=BB78_10 Depth=1
	s_or_b64 exec, exec, s[0:1]
	v_lshrrev_b64 v[8:9], 20, v[8:9]
	v_cmp_gt_i32_e32 vcc, 16, v2
	v_cndmask_b32_e32 v9, 0, v9, vcc
	v_cndmask_b32_e32 v8, 7, v8, vcc
	v_cmp_ne_u32_e32 vcc, 0, v2
	v_cmp_ne_u64_e64 s[0:1], 0, v[8:9]
	s_or_b64 s[0:1], vcc, s[0:1]
                                        ; implicit-def: $vgpr9
	s_and_saveexec_b64 s[60:61], s[0:1]
	s_xor_b64 s[0:1], exec, s[60:61]
; %bb.34:                               ;   in Loop: Header=BB78_10 Depth=1
	v_min_i32_e32 v2, 15, v2
	v_lshl_or_b32 v2, v2, 3, v13
	v_and_or_b32 v9, v8, 7, v2
                                        ; implicit-def: $vgpr13
; %bb.35:                               ;   in Loop: Header=BB78_10 Depth=1
	s_andn2_saveexec_b64 s[0:1], s[0:1]
; %bb.36:                               ;   in Loop: Header=BB78_10 Depth=1
	v_mov_b32_e32 v9, v13
; %bb.37:                               ;   in Loop: Header=BB78_10 Depth=1
	s_or_b64 exec, exec, s[0:1]
.LBB78_38:                              ;   in Loop: Header=BB78_10 Depth=1
	s_or_b64 exec, exec, s[44:45]
.LBB78_39:                              ;   in Loop: Header=BB78_10 Depth=1
	s_andn2_saveexec_b64 s[0:1], s[42:43]
	s_or_b64 exec, exec, s[0:1]
                                        ; implicit-def: $vgpr8
.LBB78_40:                              ;   in Loop: Header=BB78_10 Depth=1
	s_andn2_saveexec_b64 s[0:1], s[40:41]
	s_cbranch_execz .LBB78_9
; %bb.41:                               ;   in Loop: Header=BB78_10 Depth=1
	v_or_b32_sdwa v8, v8, s58 dst_sel:DWORD dst_unused:UNUSED_PAD src0_sel:BYTE_3 src1_sel:DWORD
	v_cmp_eq_u64_e32 vcc, 0, v[2:3]
	v_cndmask_b32_e32 v9, v8, v9, vcc
	s_branch .LBB78_9
.LBB78_42:
	s_or_b64 exec, exec, s[26:27]
	v_cmp_gt_i32_e32 vcc, s10, v0
	s_and_saveexec_b64 s[0:1], vcc
	s_cbranch_execz .LBB78_61
; %bb.43:
	s_mul_i32 s0, s6, s15
	s_mul_hi_u32 s1, s6, s14
	s_add_i32 s1, s1, s0
	s_mul_i32 s0, s6, s14
	s_lshl_b64 s[0:1], s[0:1], 1
	s_add_u32 s18, s18, s0
	s_addc_u32 s0, s19, s1
	s_ashr_i32 s1, s8, 31
	s_mul_i32 s1, s22, s1
	s_add_i32 s1, s46, s1
	s_add_i32 s1, s1, s47
	s_add_u32 s2, s2, s48
	s_addc_u32 s1, s3, s1
	s_ashr_i32 s3, s9, 31
	s_load_dword s4, s[4:5], 0x8c
	s_mul_i32 s7, s7, s3
	s_waitcnt lgkmcnt(0)
	s_load_dword s20, s[24:25], 0x0
	s_add_i32 s3, s33, s7
	s_add_i32 s3, s3, s11
	s_add_u32 s11, s2, s23
	s_addc_u32 s19, s1, s3
	s_and_b32 s21, s4, 0xffff
	s_mov_b64 s[2:3], 0
	v_mov_b32_e32 v6, s0
	v_mov_b32_e32 v3, 0
	s_movk_i32 s22, 0x80
	s_mov_b64 s[4:5], 0x7f800000
	s_mov_b64 s[6:7], 0x43e00001
	s_movk_i32 s23, 0x7a
	s_mov_b64 s[8:9], 0xffffff
	s_movk_i32 s24, 0x7f
	v_mov_b32_e32 v7, 0xffffff82
	v_mov_b32_e32 v8, 0x78
	s_branch .LBB78_45
.LBB78_44:                              ;   in Loop: Header=BB78_45 Depth=1
	s_or_b64 exec, exec, s[0:1]
	v_mov_b32_e32 v2, s19
	v_add_co_u32_e32 v10, vcc, s11, v0
	v_addc_co_u32_e32 v11, vcc, v2, v1, vcc
	v_add_u32_e32 v0, s21, v0
	v_cmp_le_i32_e32 vcc, s10, v0
	s_or_b64 s[2:3], vcc, s[2:3]
	global_store_byte v[10:11], v5, off
	s_andn2_b64 exec, exec, s[2:3]
	s_cbranch_execz .LBB78_61
.LBB78_45:                              ; =>This Inner Loop Header: Depth=1
	v_ashrrev_i32_e32 v1, 31, v0
	v_lshlrev_b64 v[4:5], 1, v[0:1]
	v_add_co_u32_e32 v4, vcc, s18, v4
	v_addc_co_u32_e32 v5, vcc, v6, v5, vcc
	global_load_ushort v2, v[4:5], off
	s_waitcnt vmcnt(0)
	v_cvt_f32_f16_e32 v2, v2
	s_waitcnt lgkmcnt(0)
	v_div_scale_f32 v4, s[0:1], s20, s20, v2
	v_rcp_f32_e32 v5, v4
	v_div_scale_f32 v9, vcc, v2, s20, v2
	v_fma_f32 v10, -v4, v5, 1.0
	v_fmac_f32_e32 v5, v10, v5
	v_mul_f32_e32 v10, v9, v5
	v_fma_f32 v11, -v4, v10, v9
	v_fmac_f32_e32 v10, v11, v5
	v_fma_f32 v4, -v4, v10, v9
	v_div_fmas_f32 v4, v4, v5, v10
	v_div_fixup_f32 v2, v4, s20, v2
	v_cvt_f16_f32_e32 v2, v2
	v_mov_b32_e32 v11, v3
	v_cvt_f32_f16_e32 v4, v2
	v_and_b32_sdwa v9, v4, s22 dst_sel:DWORD dst_unused:UNUSED_PAD src0_sel:BYTE_3 src1_sel:DWORD
	v_and_b32_e32 v10, 0x7f800000, v4
	v_and_b32_e32 v2, 0x7fffff, v4
	v_or_b32_e32 v5, 0x7e, v9
	v_cmp_ne_u64_e32 vcc, s[4:5], v[10:11]
	s_and_saveexec_b64 s[0:1], vcc
	s_xor_b64 s[12:13], exec, s[0:1]
	s_cbranch_execz .LBB78_59
; %bb.46:                               ;   in Loop: Header=BB78_45 Depth=1
	v_and_b32_e32 v10, 0x7fffffff, v4
	v_mov_b32_e32 v11, v3
	v_cmp_gt_u64_e32 vcc, s[6:7], v[10:11]
	s_and_saveexec_b64 s[0:1], vcc
	s_xor_b64 s[14:15], exec, s[0:1]
	s_cbranch_execz .LBB78_58
; %bb.47:                               ;   in Loop: Header=BB78_45 Depth=1
	v_cmp_ne_u32_e32 vcc, 0, v4
	v_mov_b32_e32 v5, 0
	s_and_saveexec_b64 s[16:17], vcc
	s_cbranch_execz .LBB78_57
; %bb.48:                               ;   in Loop: Header=BB78_45 Depth=1
	v_bfe_u32 v4, v4, 23, 8
	v_sub_u32_e32 v10, 0x79, v4
	v_cmp_gt_u32_e32 vcc, s23, v4
	v_cndmask_b32_e32 v10, 0, v10, vcc
	v_cmp_eq_u32_e32 vcc, 0, v4
	v_cndmask_b32_e32 v10, v10, v8, vcc
	v_add_u32_e32 v5, 0xffffff81, v4
	v_or_b32_e32 v11, 0x800000, v2
	v_add_u32_e32 v4, 20, v10
	v_cndmask_b32_e32 v16, v5, v7, vcc
	v_cndmask_b32_e32 v2, v11, v2, vcc
	v_lshlrev_b64 v[4:5], v4, -1
	v_not_b32_e32 v4, v4
	v_lshrrev_b64 v[14:15], v10, v[2:3]
	v_not_b32_e32 v5, v5
	v_and_b32_e32 v4, v2, v4
	v_add_u32_e32 v11, 19, v10
	v_lshrrev_b32_e32 v2, 23, v14
	v_and_b32_e32 v5, 0, v5
	v_lshlrev_b64 v[12:13], v11, 1
	v_add3_u32 v11, v10, v16, v2
	v_bfe_u32 v2, v14, 20, 1
	v_add_u32_e32 v2, -1, v2
	v_cmp_eq_u64_e32 vcc, v[4:5], v[12:13]
	v_cndmask_b32_e32 v2, 0, v2, vcc
	v_add_u32_e32 v2, v2, v14
	v_and_b32_e32 v2, 0xfffff, v2
	v_add_co_u32_e32 v4, vcc, v2, v14
	v_add_u32_e32 v10, 6, v11
	v_addc_co_u32_e32 v5, vcc, 0, v15, vcc
	v_cmp_ne_u32_e32 vcc, 0, v10
                                        ; implicit-def: $vgpr2
	s_and_saveexec_b64 s[0:1], vcc
	s_xor_b64 s[0:1], exec, s[0:1]
; %bb.49:                               ;   in Loop: Header=BB78_45 Depth=1
	v_add_u32_e32 v2, 7, v11
	v_cmp_lt_u64_e32 vcc, s[8:9], v[4:5]
	v_cndmask_b32_e32 v2, v10, v2, vcc
	v_cndmask_b32_e64 v10, 0, 1, vcc
	v_lshrrev_b64 v[4:5], v10, v[4:5]
; %bb.50:                               ;   in Loop: Header=BB78_45 Depth=1
	s_andn2_saveexec_b64 s[0:1], s[0:1]
; %bb.51:                               ;   in Loop: Header=BB78_45 Depth=1
	v_bfe_u32 v2, v4, 23, 1
; %bb.52:                               ;   in Loop: Header=BB78_45 Depth=1
	s_or_b64 exec, exec, s[0:1]
	v_lshrrev_b64 v[4:5], 20, v[4:5]
	v_cmp_gt_i32_e32 vcc, 16, v2
	v_cndmask_b32_e32 v5, 0, v5, vcc
	v_cndmask_b32_e32 v4, 7, v4, vcc
	v_cmp_ne_u32_e32 vcc, 0, v2
	v_cmp_ne_u64_e64 s[0:1], 0, v[4:5]
	s_or_b64 s[0:1], vcc, s[0:1]
                                        ; implicit-def: $vgpr5
	s_and_saveexec_b64 s[26:27], s[0:1]
	s_xor_b64 s[0:1], exec, s[26:27]
; %bb.53:                               ;   in Loop: Header=BB78_45 Depth=1
	v_min_i32_e32 v2, 15, v2
	v_lshl_or_b32 v2, v2, 3, v9
	v_and_or_b32 v5, v4, 7, v2
                                        ; implicit-def: $vgpr9
; %bb.54:                               ;   in Loop: Header=BB78_45 Depth=1
	s_andn2_saveexec_b64 s[0:1], s[0:1]
; %bb.55:                               ;   in Loop: Header=BB78_45 Depth=1
	v_mov_b32_e32 v5, v9
; %bb.56:                               ;   in Loop: Header=BB78_45 Depth=1
	s_or_b64 exec, exec, s[0:1]
.LBB78_57:                              ;   in Loop: Header=BB78_45 Depth=1
	s_or_b64 exec, exec, s[16:17]
.LBB78_58:                              ;   in Loop: Header=BB78_45 Depth=1
	s_andn2_saveexec_b64 s[0:1], s[14:15]
	s_or_b64 exec, exec, s[0:1]
                                        ; implicit-def: $vgpr4
.LBB78_59:                              ;   in Loop: Header=BB78_45 Depth=1
	s_andn2_saveexec_b64 s[0:1], s[12:13]
	s_cbranch_execz .LBB78_44
; %bb.60:                               ;   in Loop: Header=BB78_45 Depth=1
	v_or_b32_sdwa v4, v4, s24 dst_sel:DWORD dst_unused:UNUSED_PAD src0_sel:BYTE_3 src1_sel:DWORD
	v_cmp_eq_u64_e32 vcc, 0, v[2:3]
	v_cndmask_b32_e32 v5, v4, v5, vcc
	s_branch .LBB78_44
.LBB78_61:
	s_endpgm
.LBB78_62:
                                        ; implicit-def: $sgpr22_sgpr23
	s_branch .LBB78_6
	.section	.rodata,"a",@progbits
	.p2align	6, 0x0
	.amdhsa_kernel _ZN4vllm38concat_and_cache_mla_rope_fused_kernelIN3c104HalfEfLb1EthLNS_18Fp8KVCacheDataTypeE1EEEvPKlPT_S7_PKS6_PKT0_illlliPT3_S5_iiiiPKf
		.amdhsa_group_segment_fixed_size 0
		.amdhsa_private_segment_fixed_size 0
		.amdhsa_kernarg_size 384
		.amdhsa_user_sgpr_count 6
		.amdhsa_user_sgpr_private_segment_buffer 1
		.amdhsa_user_sgpr_dispatch_ptr 0
		.amdhsa_user_sgpr_queue_ptr 0
		.amdhsa_user_sgpr_kernarg_segment_ptr 1
		.amdhsa_user_sgpr_dispatch_id 0
		.amdhsa_user_sgpr_flat_scratch_init 0
		.amdhsa_user_sgpr_kernarg_preload_length 0
		.amdhsa_user_sgpr_kernarg_preload_offset 0
		.amdhsa_user_sgpr_private_segment_size 0
		.amdhsa_uses_dynamic_stack 0
		.amdhsa_system_sgpr_private_segment_wavefront_offset 0
		.amdhsa_system_sgpr_workgroup_id_x 1
		.amdhsa_system_sgpr_workgroup_id_y 0
		.amdhsa_system_sgpr_workgroup_id_z 0
		.amdhsa_system_sgpr_workgroup_info 0
		.amdhsa_system_vgpr_workitem_id 0
		.amdhsa_next_free_vgpr 23
		.amdhsa_next_free_sgpr 62
		.amdhsa_accum_offset 24
		.amdhsa_reserve_vcc 1
		.amdhsa_reserve_flat_scratch 0
		.amdhsa_float_round_mode_32 0
		.amdhsa_float_round_mode_16_64 0
		.amdhsa_float_denorm_mode_32 3
		.amdhsa_float_denorm_mode_16_64 3
		.amdhsa_dx10_clamp 1
		.amdhsa_ieee_mode 1
		.amdhsa_fp16_overflow 0
		.amdhsa_tg_split 0
		.amdhsa_exception_fp_ieee_invalid_op 0
		.amdhsa_exception_fp_denorm_src 0
		.amdhsa_exception_fp_ieee_div_zero 0
		.amdhsa_exception_fp_ieee_overflow 0
		.amdhsa_exception_fp_ieee_underflow 0
		.amdhsa_exception_fp_ieee_inexact 0
		.amdhsa_exception_int_div_zero 0
	.end_amdhsa_kernel
	.section	.text._ZN4vllm38concat_and_cache_mla_rope_fused_kernelIN3c104HalfEfLb1EthLNS_18Fp8KVCacheDataTypeE1EEEvPKlPT_S7_PKS6_PKT0_illlliPT3_S5_iiiiPKf,"axG",@progbits,_ZN4vllm38concat_and_cache_mla_rope_fused_kernelIN3c104HalfEfLb1EthLNS_18Fp8KVCacheDataTypeE1EEEvPKlPT_S7_PKS6_PKT0_illlliPT3_S5_iiiiPKf,comdat
.Lfunc_end78:
	.size	_ZN4vllm38concat_and_cache_mla_rope_fused_kernelIN3c104HalfEfLb1EthLNS_18Fp8KVCacheDataTypeE1EEEvPKlPT_S7_PKS6_PKT0_illlliPT3_S5_iiiiPKf, .Lfunc_end78-_ZN4vllm38concat_and_cache_mla_rope_fused_kernelIN3c104HalfEfLb1EthLNS_18Fp8KVCacheDataTypeE1EEEvPKlPT_S7_PKS6_PKT0_illlliPT3_S5_iiiiPKf
                                        ; -- End function
	.section	.AMDGPU.csdata,"",@progbits
; Kernel info:
; codeLenInByte = 3728
; NumSgprs: 66
; NumVgprs: 23
; NumAgprs: 0
; TotalNumVgprs: 23
; ScratchSize: 0
; MemoryBound: 0
; FloatMode: 240
; IeeeMode: 1
; LDSByteSize: 0 bytes/workgroup (compile time only)
; SGPRBlocks: 8
; VGPRBlocks: 2
; NumSGPRsForWavesPerEU: 66
; NumVGPRsForWavesPerEU: 23
; AccumOffset: 24
; Occupancy: 8
; WaveLimiterHint : 1
; COMPUTE_PGM_RSRC2:SCRATCH_EN: 0
; COMPUTE_PGM_RSRC2:USER_SGPR: 6
; COMPUTE_PGM_RSRC2:TRAP_HANDLER: 0
; COMPUTE_PGM_RSRC2:TGID_X_EN: 1
; COMPUTE_PGM_RSRC2:TGID_Y_EN: 0
; COMPUTE_PGM_RSRC2:TGID_Z_EN: 0
; COMPUTE_PGM_RSRC2:TIDIG_COMP_CNT: 0
; COMPUTE_PGM_RSRC3_GFX90A:ACCUM_OFFSET: 5
; COMPUTE_PGM_RSRC3_GFX90A:TG_SPLIT: 0
	.section	.text._ZN4vllm38concat_and_cache_mla_rope_fused_kernelIN3c104HalfEfLb0EthLNS_18Fp8KVCacheDataTypeE1EEEvPKlPT_S7_PKS6_PKT0_illlliPT3_S5_iiiiPKf,"axG",@progbits,_ZN4vllm38concat_and_cache_mla_rope_fused_kernelIN3c104HalfEfLb0EthLNS_18Fp8KVCacheDataTypeE1EEEvPKlPT_S7_PKS6_PKT0_illlliPT3_S5_iiiiPKf,comdat
	.protected	_ZN4vllm38concat_and_cache_mla_rope_fused_kernelIN3c104HalfEfLb0EthLNS_18Fp8KVCacheDataTypeE1EEEvPKlPT_S7_PKS6_PKT0_illlliPT3_S5_iiiiPKf ; -- Begin function _ZN4vllm38concat_and_cache_mla_rope_fused_kernelIN3c104HalfEfLb0EthLNS_18Fp8KVCacheDataTypeE1EEEvPKlPT_S7_PKS6_PKT0_illlliPT3_S5_iiiiPKf
	.globl	_ZN4vllm38concat_and_cache_mla_rope_fused_kernelIN3c104HalfEfLb0EthLNS_18Fp8KVCacheDataTypeE1EEEvPKlPT_S7_PKS6_PKT0_illlliPT3_S5_iiiiPKf
	.p2align	8
	.type	_ZN4vllm38concat_and_cache_mla_rope_fused_kernelIN3c104HalfEfLb0EthLNS_18Fp8KVCacheDataTypeE1EEEvPKlPT_S7_PKS6_PKT0_illlliPT3_S5_iiiiPKf,@function
_ZN4vllm38concat_and_cache_mla_rope_fused_kernelIN3c104HalfEfLb0EthLNS_18Fp8KVCacheDataTypeE1EEEvPKlPT_S7_PKS6_PKT0_illlliPT3_S5_iiiiPKf: ; @_ZN4vllm38concat_and_cache_mla_rope_fused_kernelIN3c104HalfEfLb0EthLNS_18Fp8KVCacheDataTypeE1EEEvPKlPT_S7_PKS6_PKT0_illlliPT3_S5_iiiiPKf
; %bb.0:
	s_load_dwordx2 s[2:3], s[4:5], 0x60
	s_mov_b32 s7, 0
	s_lshl_b64 s[0:1], s[6:7], 3
	s_waitcnt lgkmcnt(0)
	s_add_u32 s2, s2, s0
	s_addc_u32 s3, s3, s1
	s_load_dwordx2 s[26:27], s[2:3], 0x0
	s_waitcnt lgkmcnt(0)
	v_cmp_lt_i64_e64 s[2:3], s[26:27], 0
	s_and_b64 vcc, exec, s[2:3]
	s_cbranch_vccnz .LBB79_61
; %bb.1:
	s_load_dword s7, s[4:5], 0x28
	s_load_dwordx2 s[2:3], s[4:5], 0x0
	s_load_dwordx4 s[16:19], s[4:5], 0x10
	v_lshlrev_b32_e32 v3, 1, v0
	s_waitcnt lgkmcnt(0)
	s_ashr_i32 s22, s7, 31
	s_add_u32 s0, s2, s0
	s_addc_u32 s1, s3, s1
	s_load_dwordx2 s[20:21], s[0:1], 0x0
	s_load_dwordx2 s[28:29], s[4:5], 0x20
	s_load_dwordx8 s[8:15], s[4:5], 0x30
	s_load_dwordx2 s[2:3], s[4:5], 0x58
	s_load_dword s23, s[4:5], 0x50
	s_waitcnt lgkmcnt(0)
	s_mul_i32 s0, s20, s22
	s_mul_hi_u32 s1, s20, s7
	s_mul_i32 s21, s21, s7
	s_add_i32 s0, s1, s0
	s_add_i32 s31, s0, s21
	s_lshr_b32 s0, s7, 31
	s_mul_i32 s30, s20, s7
	s_add_i32 s7, s7, s0
	s_ashr_i32 s20, s7, 1
	s_mul_i32 s7, s20, s23
	v_cmp_gt_i32_e32 vcc, s7, v0
	s_and_saveexec_b64 s[0:1], vcc
	s_cbranch_execz .LBB79_4
; %bb.2:
	s_lshl_b64 s[22:23], s[30:31], 2
	s_add_u32 s24, s28, s22
	s_addc_u32 s38, s29, s23
	s_load_dwordx2 s[22:23], s[4:5], 0x8
	s_load_dword s34, s[4:5], 0x8c
	s_mul_i32 s9, s6, s9
	s_mul_hi_u32 s25, s6, s8
	s_add_i32 s9, s25, s9
	s_mul_i32 s8, s6, s8
	s_ashr_i32 s21, s20, 31
	s_lshl_b64 s[8:9], s[8:9], 1
	s_waitcnt lgkmcnt(0)
	s_add_u32 s25, s22, s8
	s_addc_u32 s39, s23, s9
	s_abs_i32 s33, s20
	v_cvt_f32_u32_e32 v1, s33
	s_sub_i32 s8, 0, s33
	s_and_b32 s34, s34, 0xffff
	s_lshl_b64 s[22:23], s[20:21], 2
	v_rcp_iflag_f32_e32 v1, v1
	s_sub_i32 s35, 0, s20
	s_lshl_b32 s37, s34, 1
	v_mov_b32_e32 v5, s38
	v_mul_f32_e32 v1, 0x4f7ffffe, v1
	v_cvt_u32_f32_e32 v1, v1
	v_mov_b32_e32 v6, s23
	v_mov_b32_e32 v7, s39
	;; [unrolled: 1-line block ×3, first 2 shown]
	v_mul_lo_u32 v2, s8, v1
	v_mul_hi_u32 v2, v1, v2
	s_lshl_b32 s8, s20, 1
	v_add_u32_e32 v1, v1, v2
	s_sub_i32 s36, 0, s8
	s_mov_b64 s[8:9], 0
	v_mov_b32_e32 v2, v3
.LBB79_3:                               ; =>This Inner Loop Header: Depth=1
	v_sub_u32_e32 v9, 0, v4
	v_max_i32_e32 v9, v4, v9
	v_mul_hi_u32 v10, v9, v1
	v_mul_lo_u32 v11, v10, s33
	v_sub_u32_e32 v9, v9, v11
	v_add_u32_e32 v12, 1, v10
	v_cmp_le_u32_e32 vcc, s33, v9
	v_subrev_u32_e32 v11, s33, v9
	v_cndmask_b32_e32 v10, v10, v12, vcc
	v_cndmask_b32_e32 v9, v9, v11, vcc
	v_ashrrev_i32_e32 v8, 31, v4
	v_add_u32_e32 v11, 1, v10
	v_cmp_le_u32_e32 vcc, s33, v9
	v_xor_b32_e32 v8, s21, v8
	v_cndmask_b32_e32 v9, v10, v11, vcc
	v_xor_b32_e32 v9, v9, v8
	v_sub_u32_e32 v12, v9, v8
	v_mad_u64_u32 v[8:9], s[38:39], s35, v12, v[4:5]
	v_ashrrev_i32_e32 v9, 31, v8
	v_lshlrev_b64 v[8:9], 2, v[8:9]
	v_ashrrev_i32_e32 v14, 31, v12
	v_add_co_u32_e32 v8, vcc, s24, v8
	v_mul_lo_u32 v15, v12, s11
	v_mad_u64_u32 v[10:11], s[38:39], v12, s10, 0
	v_mul_lo_u32 v14, v14, s10
	v_addc_co_u32_e32 v9, vcc, v5, v9, vcc
	v_add3_u32 v11, v11, v15, v14
	v_add_co_u32_e32 v14, vcc, s22, v8
	v_mad_u64_u32 v[12:13], s[38:39], s36, v12, v[2:3]
	v_lshlrev_b64 v[10:11], 1, v[10:11]
	v_addc_co_u32_e32 v15, vcc, v9, v6, vcc
	v_ashrrev_i32_e32 v13, 31, v12
	v_add_co_u32_e32 v10, vcc, s25, v10
	global_load_dword v16, v[8:9], off
	global_load_dword v17, v[14:15], off
	v_lshlrev_b64 v[12:13], 1, v[12:13]
	v_addc_co_u32_e32 v11, vcc, v7, v11, vcc
	v_add_co_u32_e32 v8, vcc, v10, v12
	v_addc_co_u32_e32 v9, vcc, v11, v13, vcc
	global_load_dword v10, v[8:9], off
	v_add_u32_e32 v4, s34, v4
	v_cmp_le_i32_e32 vcc, s7, v4
	v_add_u32_e32 v2, s37, v2
	s_or_b64 s[8:9], vcc, s[8:9]
	s_waitcnt vmcnt(2)
	v_cvt_f16_f32_e32 v11, v16
	s_waitcnt vmcnt(1)
	v_cvt_f16_f32_e32 v12, v17
	s_waitcnt vmcnt(0)
	v_mul_f16_sdwa v13, v10, v11 dst_sel:DWORD dst_unused:UNUSED_PAD src0_sel:WORD_1 src1_sel:DWORD
	v_mul_f16_sdwa v14, v10, v12 dst_sel:DWORD dst_unused:UNUSED_PAD src0_sel:WORD_1 src1_sel:DWORD
	v_fma_f16 v12, v10, v12, v13
	v_fma_f16 v10, v10, v11, -v14
	v_pack_b32_f16 v10, v10, v12
	global_store_dword v[8:9], v10, off
	s_andn2_b64 exec, exec, s[8:9]
	s_cbranch_execnz .LBB79_3
.LBB79_4:
	s_or_b64 exec, exec, s[0:1]
	s_load_dwordx4 s[8:11], s[4:5], 0x68
	s_waitcnt lgkmcnt(0)
	s_ashr_i32 s35, s11, 31
	s_mov_b32 s34, s11
	s_or_b64 s[0:1], s[26:27], s[34:35]
	s_mov_b32 s0, 0
	s_cmp_lg_u64 s[0:1], 0
	s_cbranch_scc0 .LBB79_62
; %bb.5:
	s_add_u32 s0, s34, s35
	s_mov_b32 s22, s35
	s_mov_b32 s23, s35
	s_addc_u32 s1, s35, s35
	s_xor_b64 s[36:37], s[0:1], s[22:23]
	v_cvt_f32_u32_e32 v1, s36
	v_cvt_f32_u32_e32 v2, s37
	s_sub_u32 s0, 0, s36
	s_subb_u32 s1, 0, s37
	v_madmk_f32 v1, v2, 0x4f800000, v1
	v_rcp_f32_e32 v1, v1
	v_mul_f32_e32 v1, 0x5f7ffffc, v1
	v_mul_f32_e32 v2, 0x2f800000, v1
	v_trunc_f32_e32 v2, v2
	v_madmk_f32 v1, v2, 0xcf800000, v1
	v_cvt_u32_f32_e32 v2, v2
	v_cvt_u32_f32_e32 v1, v1
	v_readfirstlane_b32 s7, v2
	v_readfirstlane_b32 s11, v1
	s_mul_i32 s21, s0, s7
	s_mul_hi_u32 s38, s0, s11
	s_mul_i32 s33, s1, s11
	s_add_i32 s21, s38, s21
	s_add_i32 s21, s21, s33
	s_mul_i32 s39, s0, s11
	s_mul_hi_u32 s33, s11, s21
	s_mul_i32 s38, s11, s21
	s_mul_hi_u32 s11, s11, s39
	s_add_u32 s11, s11, s38
	s_addc_u32 s33, 0, s33
	s_mul_hi_u32 s40, s7, s39
	s_mul_i32 s39, s7, s39
	s_add_u32 s11, s11, s39
	s_mul_hi_u32 s38, s7, s21
	s_addc_u32 s11, s33, s40
	s_addc_u32 s33, s38, 0
	s_mul_i32 s21, s7, s21
	s_add_u32 s11, s11, s21
	s_addc_u32 s21, 0, s33
	v_add_co_u32_e32 v1, vcc, s11, v1
	s_cmp_lg_u64 vcc, 0
	s_addc_u32 s7, s7, s21
	v_readfirstlane_b32 s21, v1
	s_mul_i32 s11, s0, s7
	s_mul_hi_u32 s33, s0, s21
	s_add_i32 s11, s33, s11
	s_mul_i32 s1, s1, s21
	s_add_i32 s11, s11, s1
	s_mul_i32 s0, s0, s21
	s_mul_hi_u32 s33, s7, s0
	s_mul_i32 s38, s7, s0
	s_mul_i32 s40, s21, s11
	s_mul_hi_u32 s0, s21, s0
	s_mul_hi_u32 s39, s21, s11
	s_add_u32 s0, s0, s40
	s_addc_u32 s21, 0, s39
	s_add_u32 s0, s0, s38
	s_mul_hi_u32 s1, s7, s11
	s_addc_u32 s0, s21, s33
	s_addc_u32 s1, s1, 0
	s_mul_i32 s11, s7, s11
	s_add_u32 s0, s0, s11
	s_addc_u32 s1, 0, s1
	v_add_co_u32_e32 v1, vcc, s0, v1
	s_cmp_lg_u64 vcc, 0
	s_addc_u32 s7, s7, s1
	s_ashr_i32 s38, s27, 31
	s_add_u32 s0, s26, s38
	s_mov_b32 s39, s38
	s_addc_u32 s1, s27, s38
	s_xor_b64 s[40:41], s[0:1], s[38:39]
	v_readfirstlane_b32 s11, v1
	s_mul_i32 s1, s40, s7
	s_mul_hi_u32 s21, s40, s11
	s_mul_hi_u32 s0, s40, s7
	s_add_u32 s1, s21, s1
	s_addc_u32 s0, 0, s0
	s_mul_hi_u32 s33, s41, s11
	s_mul_i32 s11, s41, s11
	s_add_u32 s1, s1, s11
	s_mul_hi_u32 s21, s41, s7
	s_addc_u32 s0, s0, s33
	s_addc_u32 s1, s21, 0
	s_mul_i32 s7, s41, s7
	s_add_u32 s7, s0, s7
	s_addc_u32 s11, 0, s1
	s_mul_i32 s0, s36, s11
	s_mul_hi_u32 s1, s36, s7
	s_add_i32 s0, s1, s0
	s_mul_i32 s1, s37, s7
	s_add_i32 s21, s0, s1
	s_mul_i32 s1, s36, s7
	v_mov_b32_e32 v1, s1
	s_sub_i32 s0, s41, s21
	v_sub_co_u32_e32 v1, vcc, s40, v1
	s_cmp_lg_u64 vcc, 0
	s_subb_u32 s33, s0, s37
	v_subrev_co_u32_e64 v2, s[0:1], s36, v1
	s_cmp_lg_u64 s[0:1], 0
	s_subb_u32 s0, s33, 0
	s_cmp_ge_u32 s0, s37
	v_readfirstlane_b32 s33, v2
	s_cselect_b32 s1, -1, 0
	s_cmp_ge_u32 s33, s36
	s_cselect_b32 s33, -1, 0
	s_cmp_eq_u32 s0, s37
	s_cselect_b32 s0, s33, s1
	s_add_u32 s1, s7, 1
	s_addc_u32 s33, s11, 0
	s_add_u32 s40, s7, 2
	s_addc_u32 s42, s11, 0
	s_cmp_lg_u32 s0, 0
	s_cselect_b32 s0, s40, s1
	s_cselect_b32 s1, s42, s33
	s_cmp_lg_u64 vcc, 0
	s_subb_u32 s21, s41, s21
	s_cmp_ge_u32 s21, s37
	v_readfirstlane_b32 s40, v1
	s_cselect_b32 s33, -1, 0
	s_cmp_ge_u32 s40, s36
	s_cselect_b32 s36, -1, 0
	s_cmp_eq_u32 s21, s37
	s_cselect_b32 s21, s36, s33
	s_cmp_lg_u32 s21, 0
	s_cselect_b32 s1, s1, s11
	s_cselect_b32 s0, s0, s7
	s_xor_b64 s[22:23], s[38:39], s[22:23]
	s_xor_b64 s[0:1], s[0:1], s[22:23]
	s_sub_u32 s22, s0, s22
	s_subb_u32 s23, s1, s23
	s_cbranch_execnz .LBB79_7
.LBB79_6:
	v_cvt_f32_u32_e32 v1, s34
	s_sub_i32 s0, 0, s34
	s_mov_b32 s23, 0
	v_rcp_iflag_f32_e32 v1, v1
	v_mul_f32_e32 v1, 0x4f7ffffe, v1
	v_cvt_u32_f32_e32 v1, v1
	v_readfirstlane_b32 s1, v1
	s_mul_i32 s0, s0, s1
	s_mul_hi_u32 s0, s1, s0
	s_add_i32 s1, s1, s0
	s_mul_hi_u32 s0, s26, s1
	s_mul_i32 s7, s0, s34
	s_sub_i32 s7, s26, s7
	s_add_i32 s1, s0, 1
	s_sub_i32 s11, s7, s34
	s_cmp_ge_u32 s7, s34
	s_cselect_b32 s0, s1, s0
	s_cselect_b32 s7, s11, s7
	s_add_i32 s1, s0, 1
	s_cmp_ge_u32 s7, s34
	s_cselect_b32 s22, s1, s0
.LBB79_7:
	s_mul_i32 s0, s22, s35
	s_mul_hi_u32 s1, s22, s34
	s_load_dwordx2 s[24:25], s[4:5], 0x78
	s_add_i32 s0, s1, s0
	s_mul_i32 s1, s23, s34
	s_add_i32 s0, s0, s1
	s_mul_i32 s1, s22, s34
	s_sub_u32 s7, s26, s1
	s_subb_u32 s11, s27, s0
	v_cmp_gt_i32_e32 vcc, s20, v0
	s_mul_hi_u32 s42, s22, s8
	s_mul_i32 s43, s23, s8
	s_mul_i32 s44, s22, s8
	s_mul_hi_u32 s33, s7, s9
	s_mul_i32 s11, s11, s9
	s_mul_i32 s23, s7, s9
	s_and_saveexec_b64 s[26:27], vcc
	s_cbranch_execz .LBB79_42
; %bb.8:
	s_ashr_i32 s0, s8, 31
	s_mul_i32 s0, s22, s0
	s_load_dword s1, s[4:5], 0x8c
	s_add_i32 s0, s42, s0
	s_add_i32 s34, s0, s43
	s_ashr_i32 s0, s9, 31
	s_mul_i32 s0, s7, s0
	s_add_i32 s0, s33, s0
	s_ashr_i32 s21, s20, 31
	s_add_i32 s35, s0, s11
	s_ashr_i32 s36, s10, 31
	s_waitcnt lgkmcnt(0)
	s_and_b32 s46, s1, 0xffff
	s_lshl_b64 s[0:1], s[30:31], 2
	s_add_u32 s0, s28, s0
	v_lshlrev_b32_e32 v4, 2, v0
	s_addc_u32 s1, s29, s1
	v_mov_b32_e32 v2, s1
	v_add_co_u32_e32 v1, vcc, s0, v4
	v_addc_co_u32_e32 v8, vcc, 0, v2, vcc
	s_lshl_b32 s48, s46, 2
	s_lshl_b64 s[0:1], s[20:21], 2
	v_add_co_u32_e32 v9, vcc, s0, v1
	s_add_u32 s0, s44, s23
	v_mov_b32_e32 v2, s1
	s_addc_u32 s1, s34, s35
	s_add_u32 s21, s2, s10
	s_addc_u32 s28, s3, s36
	s_add_u32 s0, s21, s0
	v_addc_co_u32_e32 v10, vcc, v8, v2, vcc
	s_addc_u32 s1, s28, s1
	v_mov_b32_e32 v2, s1
	v_add_co_u32_e32 v3, vcc, s0, v3
	s_mul_i32 s0, s13, s6
	s_mul_hi_u32 s1, s12, s6
	s_add_i32 s1, s1, s0
	s_mul_i32 s0, s12, s6
	s_load_dword s45, s[24:25], 0x0
	v_addc_co_u32_e32 v5, vcc, 0, v2, vcc
	s_lshl_b32 s21, s46, 1
	s_lshl_b64 s[0:1], s[0:1], 1
	v_add_co_u32_e32 v2, vcc, 1, v3
	s_add_u32 s0, s16, s0
	v_addc_co_u32_e32 v3, vcc, 0, v5, vcc
	s_addc_u32 s1, s17, s1
	v_mov_b32_e32 v5, s1
	v_add_co_u32_e32 v11, vcc, s0, v4
	s_mov_b32 s47, 0
	v_addc_co_u32_e32 v12, vcc, 0, v5, vcc
	s_mov_b64 s[12:13], 0
	v_mov_b32_e32 v5, 0
	s_movk_i32 s49, 0x80
	s_mov_b64 s[16:17], 0x7f800000
	s_mov_b64 s[28:29], 0x43e00001
	s_movk_i32 s50, 0x7a
	s_mov_b64 s[30:31], 0xffffff
	s_movk_i32 s51, 0x7f
	v_mov_b32_e32 v13, 0xffffff82
	v_mov_b32_e32 v14, 0x78
	s_mov_b64 s[34:35], 0
	v_mov_b32_e32 v15, v0
	s_branch .LBB79_10
.LBB79_9:                               ;   in Loop: Header=BB79_10 Depth=1
	s_or_b64 exec, exec, s[0:1]
	v_add_u32_e32 v15, s46, v15
	s_add_u32 s34, s34, s48
	s_addc_u32 s35, s35, 0
	v_cmp_le_i32_e32 vcc, s20, v15
	global_store_byte v[2:3], v7, off
	v_mov_b32_e32 v4, s47
	s_or_b64 s[12:13], vcc, s[12:13]
	v_add_co_u32_e32 v2, vcc, s21, v2
	v_addc_co_u32_e32 v3, vcc, v3, v4, vcc
	s_andn2_b64 exec, exec, s[12:13]
	s_cbranch_execz .LBB79_42
.LBB79_10:                              ; =>This Inner Loop Header: Depth=1
	v_mov_b32_e32 v4, s35
	v_add_co_u32_e32 v6, vcc, s34, v1
	v_addc_co_u32_e32 v7, vcc, v8, v4, vcc
	v_add_co_u32_e32 v16, vcc, s34, v9
	v_addc_co_u32_e32 v17, vcc, v10, v4, vcc
	global_load_dword v20, v[6:7], off
	global_load_dword v21, v[16:17], off
	v_add_co_u32_e32 v18, vcc, s34, v11
	v_addc_co_u32_e32 v19, vcc, v12, v4, vcc
	global_load_dword v4, v[18:19], off
	s_waitcnt vmcnt(2)
	v_cvt_f16_f32_e32 v6, v20
	s_waitcnt vmcnt(1)
	v_cvt_f16_f32_e32 v7, v21
	s_waitcnt vmcnt(0)
	v_mul_f16_sdwa v16, v4, v7 dst_sel:DWORD dst_unused:UNUSED_PAD src0_sel:WORD_1 src1_sel:DWORD
	v_fma_f16 v17, v4, v6, -v16
	v_cvt_f32_f16_e32 v16, v17
	s_waitcnt lgkmcnt(0)
	v_div_scale_f32 v20, s[0:1], s45, s45, v16
	v_rcp_f32_e32 v21, v20
	v_div_scale_f32 v22, vcc, v16, s45, v16
	v_fma_f32 v23, -v20, v21, 1.0
	v_fmac_f32_e32 v21, v23, v21
	v_mul_f32_e32 v23, v22, v21
	v_fma_f32 v24, -v20, v23, v22
	v_fmac_f32_e32 v23, v24, v21
	v_fma_f32 v20, -v20, v23, v22
	v_div_fmas_f32 v20, v20, v21, v23
	v_div_fixup_f32 v16, v20, s45, v16
	v_cvt_f16_f32_e32 v16, v16
	v_mul_f16_sdwa v20, v4, v6 dst_sel:DWORD dst_unused:UNUSED_PAD src0_sel:WORD_1 src1_sel:DWORD
	v_mov_b32_e32 v21, v5
	v_cvt_f32_f16_e32 v6, v16
	v_fma_f16 v16, v4, v7, v20
	v_pack_b32_f16 v4, v17, v16
	global_store_dword v[18:19], v4, off
	v_and_b32_sdwa v17, v6, s49 dst_sel:DWORD dst_unused:UNUSED_PAD src0_sel:BYTE_3 src1_sel:DWORD
	v_and_b32_e32 v20, 0x7f800000, v6
	v_and_b32_e32 v4, 0x7fffff, v6
	v_or_b32_e32 v7, 0x7e, v17
	v_cmp_ne_u64_e32 vcc, s[16:17], v[20:21]
	s_and_saveexec_b64 s[0:1], vcc
	s_xor_b64 s[36:37], exec, s[0:1]
	s_cbranch_execz .LBB79_24
; %bb.11:                               ;   in Loop: Header=BB79_10 Depth=1
	v_and_b32_e32 v18, 0x7fffffff, v6
	v_mov_b32_e32 v19, v5
	v_cmp_gt_u64_e32 vcc, s[28:29], v[18:19]
	s_and_saveexec_b64 s[0:1], vcc
	s_xor_b64 s[38:39], exec, s[0:1]
	s_cbranch_execz .LBB79_23
; %bb.12:                               ;   in Loop: Header=BB79_10 Depth=1
	v_cmp_ne_u32_e32 vcc, 0, v6
	v_mov_b32_e32 v7, 0
	s_and_saveexec_b64 s[40:41], vcc
	s_cbranch_execz .LBB79_22
; %bb.13:                               ;   in Loop: Header=BB79_10 Depth=1
	v_bfe_u32 v6, v6, 23, 8
	v_sub_u32_e32 v18, 0x79, v6
	v_cmp_gt_u32_e32 vcc, s50, v6
	v_cndmask_b32_e32 v18, 0, v18, vcc
	v_cmp_eq_u32_e32 vcc, 0, v6
	v_cndmask_b32_e32 v18, v18, v14, vcc
	v_add_u32_e32 v7, 0xffffff81, v6
	v_or_b32_e32 v19, 0x800000, v4
	v_add_u32_e32 v6, 20, v18
	v_cndmask_b32_e32 v24, v7, v13, vcc
	v_cndmask_b32_e32 v4, v19, v4, vcc
	v_lshlrev_b64 v[6:7], v6, -1
	v_not_b32_e32 v6, v6
	v_lshrrev_b64 v[22:23], v18, v[4:5]
	v_not_b32_e32 v7, v7
	v_and_b32_e32 v6, v4, v6
	v_add_u32_e32 v19, 19, v18
	v_lshrrev_b32_e32 v4, 23, v22
	v_and_b32_e32 v7, 0, v7
	v_lshlrev_b64 v[20:21], v19, 1
	v_add3_u32 v19, v18, v24, v4
	v_bfe_u32 v4, v22, 20, 1
	v_add_u32_e32 v4, -1, v4
	v_cmp_eq_u64_e32 vcc, v[6:7], v[20:21]
	v_cndmask_b32_e32 v4, 0, v4, vcc
	v_add_u32_e32 v4, v4, v22
	v_and_b32_e32 v4, 0xfffff, v4
	v_add_co_u32_e32 v6, vcc, v4, v22
	v_add_u32_e32 v18, 6, v19
	v_addc_co_u32_e32 v7, vcc, 0, v23, vcc
	v_cmp_ne_u32_e32 vcc, 0, v18
                                        ; implicit-def: $vgpr4
	s_and_saveexec_b64 s[0:1], vcc
	s_xor_b64 s[0:1], exec, s[0:1]
; %bb.14:                               ;   in Loop: Header=BB79_10 Depth=1
	v_add_u32_e32 v4, 7, v19
	v_cmp_lt_u64_e32 vcc, s[30:31], v[6:7]
	v_cndmask_b32_e32 v4, v18, v4, vcc
	v_cndmask_b32_e64 v18, 0, 1, vcc
	v_lshrrev_b64 v[6:7], v18, v[6:7]
; %bb.15:                               ;   in Loop: Header=BB79_10 Depth=1
	s_andn2_saveexec_b64 s[0:1], s[0:1]
; %bb.16:                               ;   in Loop: Header=BB79_10 Depth=1
	v_bfe_u32 v4, v6, 23, 1
; %bb.17:                               ;   in Loop: Header=BB79_10 Depth=1
	s_or_b64 exec, exec, s[0:1]
	v_lshrrev_b64 v[6:7], 20, v[6:7]
	v_cmp_gt_i32_e32 vcc, 16, v4
	v_cndmask_b32_e32 v7, 0, v7, vcc
	v_cndmask_b32_e32 v6, 7, v6, vcc
	v_cmp_ne_u32_e32 vcc, 0, v4
	v_cmp_ne_u64_e64 s[0:1], 0, v[6:7]
	s_or_b64 s[0:1], vcc, s[0:1]
                                        ; implicit-def: $vgpr7
	s_and_saveexec_b64 s[52:53], s[0:1]
	s_xor_b64 s[0:1], exec, s[52:53]
; %bb.18:                               ;   in Loop: Header=BB79_10 Depth=1
	v_min_i32_e32 v4, 15, v4
	v_lshl_or_b32 v4, v4, 3, v17
	v_and_or_b32 v7, v6, 7, v4
                                        ; implicit-def: $vgpr17
; %bb.19:                               ;   in Loop: Header=BB79_10 Depth=1
	s_andn2_saveexec_b64 s[0:1], s[0:1]
; %bb.20:                               ;   in Loop: Header=BB79_10 Depth=1
	v_mov_b32_e32 v7, v17
; %bb.21:                               ;   in Loop: Header=BB79_10 Depth=1
	s_or_b64 exec, exec, s[0:1]
.LBB79_22:                              ;   in Loop: Header=BB79_10 Depth=1
	s_or_b64 exec, exec, s[40:41]
.LBB79_23:                              ;   in Loop: Header=BB79_10 Depth=1
	s_andn2_saveexec_b64 s[0:1], s[38:39]
	s_or_b64 exec, exec, s[0:1]
                                        ; implicit-def: $vgpr6
.LBB79_24:                              ;   in Loop: Header=BB79_10 Depth=1
	s_andn2_saveexec_b64 s[0:1], s[36:37]
; %bb.25:                               ;   in Loop: Header=BB79_10 Depth=1
	v_or_b32_sdwa v6, v6, s51 dst_sel:DWORD dst_unused:UNUSED_PAD src0_sel:BYTE_3 src1_sel:DWORD
	v_cmp_eq_u64_e32 vcc, 0, v[4:5]
	v_cndmask_b32_e32 v7, v6, v7, vcc
; %bb.26:                               ;   in Loop: Header=BB79_10 Depth=1
	s_or_b64 exec, exec, s[0:1]
	v_cvt_f32_f16_e32 v4, v16
	global_store_byte v[2:3], v7, off offset:-1
	v_div_scale_f32 v6, s[0:1], s45, s45, v4
	v_rcp_f32_e32 v16, v6
	v_div_scale_f32 v17, vcc, v4, s45, v4
	v_fma_f32 v18, -v6, v16, 1.0
	v_fmac_f32_e32 v16, v18, v16
	v_mul_f32_e32 v18, v17, v16
	v_fma_f32 v19, -v6, v18, v17
	v_fmac_f32_e32 v18, v19, v16
	v_fma_f32 v6, -v6, v18, v17
	v_div_fmas_f32 v6, v6, v16, v18
	v_div_fixup_f32 v4, v6, s45, v4
	v_cvt_f16_f32_e32 v4, v4
	v_mov_b32_e32 v19, v5
	v_cvt_f32_f16_e32 v6, v4
	v_and_b32_sdwa v16, v6, s49 dst_sel:DWORD dst_unused:UNUSED_PAD src0_sel:BYTE_3 src1_sel:DWORD
	v_and_b32_e32 v18, 0x7f800000, v6
	v_and_b32_e32 v4, 0x7fffff, v6
	v_or_b32_e32 v7, 0x7e, v16
	v_cmp_ne_u64_e32 vcc, s[16:17], v[18:19]
	s_and_saveexec_b64 s[0:1], vcc
	s_xor_b64 s[36:37], exec, s[0:1]
	s_cbranch_execz .LBB79_40
; %bb.27:                               ;   in Loop: Header=BB79_10 Depth=1
	v_and_b32_e32 v18, 0x7fffffff, v6
	v_mov_b32_e32 v19, v5
	v_cmp_gt_u64_e32 vcc, s[28:29], v[18:19]
	s_and_saveexec_b64 s[0:1], vcc
	s_xor_b64 s[38:39], exec, s[0:1]
	s_cbranch_execz .LBB79_39
; %bb.28:                               ;   in Loop: Header=BB79_10 Depth=1
	v_cmp_ne_u32_e32 vcc, 0, v6
	v_mov_b32_e32 v7, 0
	s_and_saveexec_b64 s[40:41], vcc
	s_cbranch_execz .LBB79_38
; %bb.29:                               ;   in Loop: Header=BB79_10 Depth=1
	v_bfe_u32 v6, v6, 23, 8
	v_sub_u32_e32 v17, 0x79, v6
	v_cmp_gt_u32_e32 vcc, s50, v6
	v_cndmask_b32_e32 v17, 0, v17, vcc
	v_cmp_eq_u32_e32 vcc, 0, v6
	v_cndmask_b32_e32 v17, v17, v14, vcc
	v_add_u32_e32 v7, 0xffffff81, v6
	v_or_b32_e32 v18, 0x800000, v4
	v_add_u32_e32 v6, 20, v17
	v_cndmask_b32_e32 v19, v7, v13, vcc
	v_cndmask_b32_e32 v4, v18, v4, vcc
	v_lshlrev_b64 v[6:7], v6, -1
	v_not_b32_e32 v6, v6
	v_lshrrev_b64 v[22:23], v17, v[4:5]
	v_not_b32_e32 v7, v7
	v_and_b32_e32 v6, v4, v6
	v_add_u32_e32 v18, 19, v17
	v_lshrrev_b32_e32 v4, 23, v22
	v_and_b32_e32 v7, 0, v7
	v_lshlrev_b64 v[20:21], v18, 1
	v_add3_u32 v18, v17, v19, v4
	v_bfe_u32 v4, v22, 20, 1
	v_add_u32_e32 v4, -1, v4
	v_cmp_eq_u64_e32 vcc, v[6:7], v[20:21]
	v_cndmask_b32_e32 v4, 0, v4, vcc
	v_add_u32_e32 v4, v4, v22
	v_and_b32_e32 v4, 0xfffff, v4
	v_add_co_u32_e32 v6, vcc, v4, v22
	v_add_u32_e32 v17, 6, v18
	v_addc_co_u32_e32 v7, vcc, 0, v23, vcc
	v_cmp_ne_u32_e32 vcc, 0, v17
                                        ; implicit-def: $vgpr4
	s_and_saveexec_b64 s[0:1], vcc
	s_xor_b64 s[0:1], exec, s[0:1]
; %bb.30:                               ;   in Loop: Header=BB79_10 Depth=1
	v_add_u32_e32 v4, 7, v18
	v_cmp_lt_u64_e32 vcc, s[30:31], v[6:7]
	v_cndmask_b32_e32 v4, v17, v4, vcc
	v_cndmask_b32_e64 v17, 0, 1, vcc
	v_lshrrev_b64 v[6:7], v17, v[6:7]
; %bb.31:                               ;   in Loop: Header=BB79_10 Depth=1
	s_andn2_saveexec_b64 s[0:1], s[0:1]
; %bb.32:                               ;   in Loop: Header=BB79_10 Depth=1
	v_bfe_u32 v4, v6, 23, 1
; %bb.33:                               ;   in Loop: Header=BB79_10 Depth=1
	s_or_b64 exec, exec, s[0:1]
	v_lshrrev_b64 v[6:7], 20, v[6:7]
	v_cmp_gt_i32_e32 vcc, 16, v4
	v_cndmask_b32_e32 v7, 0, v7, vcc
	v_cndmask_b32_e32 v6, 7, v6, vcc
	v_cmp_ne_u32_e32 vcc, 0, v4
	v_cmp_ne_u64_e64 s[0:1], 0, v[6:7]
	s_or_b64 s[0:1], vcc, s[0:1]
                                        ; implicit-def: $vgpr7
	s_and_saveexec_b64 s[52:53], s[0:1]
	s_xor_b64 s[0:1], exec, s[52:53]
; %bb.34:                               ;   in Loop: Header=BB79_10 Depth=1
	v_min_i32_e32 v4, 15, v4
	v_lshl_or_b32 v4, v4, 3, v16
	v_and_or_b32 v7, v6, 7, v4
                                        ; implicit-def: $vgpr16
; %bb.35:                               ;   in Loop: Header=BB79_10 Depth=1
	s_andn2_saveexec_b64 s[0:1], s[0:1]
; %bb.36:                               ;   in Loop: Header=BB79_10 Depth=1
	v_mov_b32_e32 v7, v16
; %bb.37:                               ;   in Loop: Header=BB79_10 Depth=1
	s_or_b64 exec, exec, s[0:1]
.LBB79_38:                              ;   in Loop: Header=BB79_10 Depth=1
	s_or_b64 exec, exec, s[40:41]
.LBB79_39:                              ;   in Loop: Header=BB79_10 Depth=1
	s_andn2_saveexec_b64 s[0:1], s[38:39]
	s_or_b64 exec, exec, s[0:1]
                                        ; implicit-def: $vgpr6
.LBB79_40:                              ;   in Loop: Header=BB79_10 Depth=1
	s_andn2_saveexec_b64 s[0:1], s[36:37]
	s_cbranch_execz .LBB79_9
; %bb.41:                               ;   in Loop: Header=BB79_10 Depth=1
	v_or_b32_sdwa v6, v6, s51 dst_sel:DWORD dst_unused:UNUSED_PAD src0_sel:BYTE_3 src1_sel:DWORD
	v_cmp_eq_u64_e32 vcc, 0, v[4:5]
	v_cndmask_b32_e32 v7, v6, v7, vcc
	s_branch .LBB79_9
.LBB79_42:
	s_or_b64 exec, exec, s[26:27]
	v_cmp_gt_i32_e32 vcc, s10, v0
	s_and_saveexec_b64 s[0:1], vcc
	s_cbranch_execz .LBB79_61
; %bb.43:
	s_mul_i32 s0, s6, s15
	s_mul_hi_u32 s1, s6, s14
	s_add_i32 s1, s1, s0
	s_mul_i32 s0, s6, s14
	s_lshl_b64 s[0:1], s[0:1], 1
	s_add_u32 s18, s18, s0
	s_addc_u32 s0, s19, s1
	s_ashr_i32 s1, s8, 31
	s_mul_i32 s1, s22, s1
	s_add_i32 s1, s42, s1
	s_add_i32 s1, s1, s43
	s_add_u32 s2, s2, s44
	s_addc_u32 s1, s3, s1
	s_ashr_i32 s3, s9, 31
	s_load_dword s4, s[4:5], 0x8c
	s_mul_i32 s7, s7, s3
	s_waitcnt lgkmcnt(0)
	s_load_dword s20, s[24:25], 0x0
	s_add_i32 s3, s33, s7
	s_add_i32 s3, s3, s11
	s_add_u32 s11, s2, s23
	s_addc_u32 s19, s1, s3
	s_and_b32 s21, s4, 0xffff
	s_mov_b64 s[2:3], 0
	v_mov_b32_e32 v6, s0
	v_mov_b32_e32 v3, 0
	s_movk_i32 s22, 0x80
	s_mov_b64 s[4:5], 0x7f800000
	s_mov_b64 s[6:7], 0x43e00001
	s_movk_i32 s23, 0x7a
	s_mov_b64 s[8:9], 0xffffff
	s_movk_i32 s24, 0x7f
	v_mov_b32_e32 v7, 0xffffff82
	v_mov_b32_e32 v8, 0x78
	s_branch .LBB79_45
.LBB79_44:                              ;   in Loop: Header=BB79_45 Depth=1
	s_or_b64 exec, exec, s[0:1]
	v_mov_b32_e32 v2, s19
	v_add_co_u32_e32 v10, vcc, s11, v0
	v_addc_co_u32_e32 v11, vcc, v2, v1, vcc
	v_add_u32_e32 v0, s21, v0
	v_cmp_le_i32_e32 vcc, s10, v0
	s_or_b64 s[2:3], vcc, s[2:3]
	global_store_byte v[10:11], v5, off
	s_andn2_b64 exec, exec, s[2:3]
	s_cbranch_execz .LBB79_61
.LBB79_45:                              ; =>This Inner Loop Header: Depth=1
	v_ashrrev_i32_e32 v1, 31, v0
	v_lshlrev_b64 v[4:5], 1, v[0:1]
	v_add_co_u32_e32 v4, vcc, s18, v4
	v_addc_co_u32_e32 v5, vcc, v6, v5, vcc
	global_load_ushort v2, v[4:5], off
	s_waitcnt vmcnt(0)
	v_cvt_f32_f16_e32 v2, v2
	s_waitcnt lgkmcnt(0)
	v_div_scale_f32 v4, s[0:1], s20, s20, v2
	v_rcp_f32_e32 v5, v4
	v_div_scale_f32 v9, vcc, v2, s20, v2
	v_fma_f32 v10, -v4, v5, 1.0
	v_fmac_f32_e32 v5, v10, v5
	v_mul_f32_e32 v10, v9, v5
	v_fma_f32 v11, -v4, v10, v9
	v_fmac_f32_e32 v10, v11, v5
	v_fma_f32 v4, -v4, v10, v9
	v_div_fmas_f32 v4, v4, v5, v10
	v_div_fixup_f32 v2, v4, s20, v2
	v_cvt_f16_f32_e32 v2, v2
	v_mov_b32_e32 v11, v3
	v_cvt_f32_f16_e32 v4, v2
	v_and_b32_sdwa v9, v4, s22 dst_sel:DWORD dst_unused:UNUSED_PAD src0_sel:BYTE_3 src1_sel:DWORD
	v_and_b32_e32 v10, 0x7f800000, v4
	v_and_b32_e32 v2, 0x7fffff, v4
	v_or_b32_e32 v5, 0x7e, v9
	v_cmp_ne_u64_e32 vcc, s[4:5], v[10:11]
	s_and_saveexec_b64 s[0:1], vcc
	s_xor_b64 s[12:13], exec, s[0:1]
	s_cbranch_execz .LBB79_59
; %bb.46:                               ;   in Loop: Header=BB79_45 Depth=1
	v_and_b32_e32 v10, 0x7fffffff, v4
	v_mov_b32_e32 v11, v3
	v_cmp_gt_u64_e32 vcc, s[6:7], v[10:11]
	s_and_saveexec_b64 s[0:1], vcc
	s_xor_b64 s[14:15], exec, s[0:1]
	s_cbranch_execz .LBB79_58
; %bb.47:                               ;   in Loop: Header=BB79_45 Depth=1
	v_cmp_ne_u32_e32 vcc, 0, v4
	v_mov_b32_e32 v5, 0
	s_and_saveexec_b64 s[16:17], vcc
	s_cbranch_execz .LBB79_57
; %bb.48:                               ;   in Loop: Header=BB79_45 Depth=1
	v_bfe_u32 v4, v4, 23, 8
	v_sub_u32_e32 v10, 0x79, v4
	v_cmp_gt_u32_e32 vcc, s23, v4
	v_cndmask_b32_e32 v10, 0, v10, vcc
	v_cmp_eq_u32_e32 vcc, 0, v4
	v_cndmask_b32_e32 v10, v10, v8, vcc
	v_add_u32_e32 v5, 0xffffff81, v4
	v_or_b32_e32 v11, 0x800000, v2
	v_add_u32_e32 v4, 20, v10
	v_cndmask_b32_e32 v16, v5, v7, vcc
	v_cndmask_b32_e32 v2, v11, v2, vcc
	v_lshlrev_b64 v[4:5], v4, -1
	v_not_b32_e32 v4, v4
	v_lshrrev_b64 v[14:15], v10, v[2:3]
	v_not_b32_e32 v5, v5
	v_and_b32_e32 v4, v2, v4
	v_add_u32_e32 v11, 19, v10
	v_lshrrev_b32_e32 v2, 23, v14
	v_and_b32_e32 v5, 0, v5
	v_lshlrev_b64 v[12:13], v11, 1
	v_add3_u32 v11, v10, v16, v2
	v_bfe_u32 v2, v14, 20, 1
	v_add_u32_e32 v2, -1, v2
	v_cmp_eq_u64_e32 vcc, v[4:5], v[12:13]
	v_cndmask_b32_e32 v2, 0, v2, vcc
	v_add_u32_e32 v2, v2, v14
	v_and_b32_e32 v2, 0xfffff, v2
	v_add_co_u32_e32 v4, vcc, v2, v14
	v_add_u32_e32 v10, 6, v11
	v_addc_co_u32_e32 v5, vcc, 0, v15, vcc
	v_cmp_ne_u32_e32 vcc, 0, v10
                                        ; implicit-def: $vgpr2
	s_and_saveexec_b64 s[0:1], vcc
	s_xor_b64 s[0:1], exec, s[0:1]
; %bb.49:                               ;   in Loop: Header=BB79_45 Depth=1
	v_add_u32_e32 v2, 7, v11
	v_cmp_lt_u64_e32 vcc, s[8:9], v[4:5]
	v_cndmask_b32_e32 v2, v10, v2, vcc
	v_cndmask_b32_e64 v10, 0, 1, vcc
	v_lshrrev_b64 v[4:5], v10, v[4:5]
; %bb.50:                               ;   in Loop: Header=BB79_45 Depth=1
	s_andn2_saveexec_b64 s[0:1], s[0:1]
; %bb.51:                               ;   in Loop: Header=BB79_45 Depth=1
	v_bfe_u32 v2, v4, 23, 1
; %bb.52:                               ;   in Loop: Header=BB79_45 Depth=1
	s_or_b64 exec, exec, s[0:1]
	v_lshrrev_b64 v[4:5], 20, v[4:5]
	v_cmp_gt_i32_e32 vcc, 16, v2
	v_cndmask_b32_e32 v5, 0, v5, vcc
	v_cndmask_b32_e32 v4, 7, v4, vcc
	v_cmp_ne_u32_e32 vcc, 0, v2
	v_cmp_ne_u64_e64 s[0:1], 0, v[4:5]
	s_or_b64 s[0:1], vcc, s[0:1]
                                        ; implicit-def: $vgpr5
	s_and_saveexec_b64 s[26:27], s[0:1]
	s_xor_b64 s[0:1], exec, s[26:27]
; %bb.53:                               ;   in Loop: Header=BB79_45 Depth=1
	v_min_i32_e32 v2, 15, v2
	v_lshl_or_b32 v2, v2, 3, v9
	v_and_or_b32 v5, v4, 7, v2
                                        ; implicit-def: $vgpr9
; %bb.54:                               ;   in Loop: Header=BB79_45 Depth=1
	s_andn2_saveexec_b64 s[0:1], s[0:1]
; %bb.55:                               ;   in Loop: Header=BB79_45 Depth=1
	v_mov_b32_e32 v5, v9
; %bb.56:                               ;   in Loop: Header=BB79_45 Depth=1
	s_or_b64 exec, exec, s[0:1]
.LBB79_57:                              ;   in Loop: Header=BB79_45 Depth=1
	s_or_b64 exec, exec, s[16:17]
.LBB79_58:                              ;   in Loop: Header=BB79_45 Depth=1
	s_andn2_saveexec_b64 s[0:1], s[14:15]
	s_or_b64 exec, exec, s[0:1]
                                        ; implicit-def: $vgpr4
.LBB79_59:                              ;   in Loop: Header=BB79_45 Depth=1
	s_andn2_saveexec_b64 s[0:1], s[12:13]
	s_cbranch_execz .LBB79_44
; %bb.60:                               ;   in Loop: Header=BB79_45 Depth=1
	v_or_b32_sdwa v4, v4, s24 dst_sel:DWORD dst_unused:UNUSED_PAD src0_sel:BYTE_3 src1_sel:DWORD
	v_cmp_eq_u64_e32 vcc, 0, v[2:3]
	v_cndmask_b32_e32 v5, v4, v5, vcc
	s_branch .LBB79_44
.LBB79_61:
	s_endpgm
.LBB79_62:
                                        ; implicit-def: $sgpr22_sgpr23
	s_branch .LBB79_6
	.section	.rodata,"a",@progbits
	.p2align	6, 0x0
	.amdhsa_kernel _ZN4vllm38concat_and_cache_mla_rope_fused_kernelIN3c104HalfEfLb0EthLNS_18Fp8KVCacheDataTypeE1EEEvPKlPT_S7_PKS6_PKT0_illlliPT3_S5_iiiiPKf
		.amdhsa_group_segment_fixed_size 0
		.amdhsa_private_segment_fixed_size 0
		.amdhsa_kernarg_size 384
		.amdhsa_user_sgpr_count 6
		.amdhsa_user_sgpr_private_segment_buffer 1
		.amdhsa_user_sgpr_dispatch_ptr 0
		.amdhsa_user_sgpr_queue_ptr 0
		.amdhsa_user_sgpr_kernarg_segment_ptr 1
		.amdhsa_user_sgpr_dispatch_id 0
		.amdhsa_user_sgpr_flat_scratch_init 0
		.amdhsa_user_sgpr_kernarg_preload_length 0
		.amdhsa_user_sgpr_kernarg_preload_offset 0
		.amdhsa_user_sgpr_private_segment_size 0
		.amdhsa_uses_dynamic_stack 0
		.amdhsa_system_sgpr_private_segment_wavefront_offset 0
		.amdhsa_system_sgpr_workgroup_id_x 1
		.amdhsa_system_sgpr_workgroup_id_y 0
		.amdhsa_system_sgpr_workgroup_id_z 0
		.amdhsa_system_sgpr_workgroup_info 0
		.amdhsa_system_vgpr_workitem_id 0
		.amdhsa_next_free_vgpr 25
		.amdhsa_next_free_sgpr 54
		.amdhsa_accum_offset 28
		.amdhsa_reserve_vcc 1
		.amdhsa_reserve_flat_scratch 0
		.amdhsa_float_round_mode_32 0
		.amdhsa_float_round_mode_16_64 0
		.amdhsa_float_denorm_mode_32 3
		.amdhsa_float_denorm_mode_16_64 3
		.amdhsa_dx10_clamp 1
		.amdhsa_ieee_mode 1
		.amdhsa_fp16_overflow 0
		.amdhsa_tg_split 0
		.amdhsa_exception_fp_ieee_invalid_op 0
		.amdhsa_exception_fp_denorm_src 0
		.amdhsa_exception_fp_ieee_div_zero 0
		.amdhsa_exception_fp_ieee_overflow 0
		.amdhsa_exception_fp_ieee_underflow 0
		.amdhsa_exception_fp_ieee_inexact 0
		.amdhsa_exception_int_div_zero 0
	.end_amdhsa_kernel
	.section	.text._ZN4vllm38concat_and_cache_mla_rope_fused_kernelIN3c104HalfEfLb0EthLNS_18Fp8KVCacheDataTypeE1EEEvPKlPT_S7_PKS6_PKT0_illlliPT3_S5_iiiiPKf,"axG",@progbits,_ZN4vllm38concat_and_cache_mla_rope_fused_kernelIN3c104HalfEfLb0EthLNS_18Fp8KVCacheDataTypeE1EEEvPKlPT_S7_PKS6_PKT0_illlliPT3_S5_iiiiPKf,comdat
.Lfunc_end79:
	.size	_ZN4vllm38concat_and_cache_mla_rope_fused_kernelIN3c104HalfEfLb0EthLNS_18Fp8KVCacheDataTypeE1EEEvPKlPT_S7_PKS6_PKT0_illlliPT3_S5_iiiiPKf, .Lfunc_end79-_ZN4vllm38concat_and_cache_mla_rope_fused_kernelIN3c104HalfEfLb0EthLNS_18Fp8KVCacheDataTypeE1EEEvPKlPT_S7_PKS6_PKT0_illlliPT3_S5_iiiiPKf
                                        ; -- End function
	.section	.AMDGPU.csdata,"",@progbits
; Kernel info:
; codeLenInByte = 3696
; NumSgprs: 58
; NumVgprs: 25
; NumAgprs: 0
; TotalNumVgprs: 25
; ScratchSize: 0
; MemoryBound: 0
; FloatMode: 240
; IeeeMode: 1
; LDSByteSize: 0 bytes/workgroup (compile time only)
; SGPRBlocks: 7
; VGPRBlocks: 3
; NumSGPRsForWavesPerEU: 58
; NumVGPRsForWavesPerEU: 25
; AccumOffset: 28
; Occupancy: 8
; WaveLimiterHint : 1
; COMPUTE_PGM_RSRC2:SCRATCH_EN: 0
; COMPUTE_PGM_RSRC2:USER_SGPR: 6
; COMPUTE_PGM_RSRC2:TRAP_HANDLER: 0
; COMPUTE_PGM_RSRC2:TGID_X_EN: 1
; COMPUTE_PGM_RSRC2:TGID_Y_EN: 0
; COMPUTE_PGM_RSRC2:TGID_Z_EN: 0
; COMPUTE_PGM_RSRC2:TIDIG_COMP_CNT: 0
; COMPUTE_PGM_RSRC3_GFX90A:ACCUM_OFFSET: 6
; COMPUTE_PGM_RSRC3_GFX90A:TG_SPLIT: 0
	.section	.text._ZN4vllm38concat_and_cache_mla_rope_fused_kernelIN3c104HalfES2_Lb1EthLNS_18Fp8KVCacheDataTypeE1EEEvPKlPT_S7_PKS6_PKT0_illlliPT3_S5_iiiiPKf,"axG",@progbits,_ZN4vllm38concat_and_cache_mla_rope_fused_kernelIN3c104HalfES2_Lb1EthLNS_18Fp8KVCacheDataTypeE1EEEvPKlPT_S7_PKS6_PKT0_illlliPT3_S5_iiiiPKf,comdat
	.protected	_ZN4vllm38concat_and_cache_mla_rope_fused_kernelIN3c104HalfES2_Lb1EthLNS_18Fp8KVCacheDataTypeE1EEEvPKlPT_S7_PKS6_PKT0_illlliPT3_S5_iiiiPKf ; -- Begin function _ZN4vllm38concat_and_cache_mla_rope_fused_kernelIN3c104HalfES2_Lb1EthLNS_18Fp8KVCacheDataTypeE1EEEvPKlPT_S7_PKS6_PKT0_illlliPT3_S5_iiiiPKf
	.globl	_ZN4vllm38concat_and_cache_mla_rope_fused_kernelIN3c104HalfES2_Lb1EthLNS_18Fp8KVCacheDataTypeE1EEEvPKlPT_S7_PKS6_PKT0_illlliPT3_S5_iiiiPKf
	.p2align	8
	.type	_ZN4vllm38concat_and_cache_mla_rope_fused_kernelIN3c104HalfES2_Lb1EthLNS_18Fp8KVCacheDataTypeE1EEEvPKlPT_S7_PKS6_PKT0_illlliPT3_S5_iiiiPKf,@function
_ZN4vllm38concat_and_cache_mla_rope_fused_kernelIN3c104HalfES2_Lb1EthLNS_18Fp8KVCacheDataTypeE1EEEvPKlPT_S7_PKS6_PKT0_illlliPT3_S5_iiiiPKf: ; @_ZN4vllm38concat_and_cache_mla_rope_fused_kernelIN3c104HalfES2_Lb1EthLNS_18Fp8KVCacheDataTypeE1EEEvPKlPT_S7_PKS6_PKT0_illlliPT3_S5_iiiiPKf
; %bb.0:
	s_load_dwordx2 s[2:3], s[4:5], 0x60
	s_mov_b32 s7, 0
	s_lshl_b64 s[0:1], s[6:7], 3
	s_waitcnt lgkmcnt(0)
	s_add_u32 s2, s2, s0
	s_addc_u32 s3, s3, s1
	s_load_dwordx2 s[26:27], s[2:3], 0x0
	s_waitcnt lgkmcnt(0)
	v_cmp_lt_i64_e64 s[2:3], s[26:27], 0
	s_and_b64 vcc, exec, s[2:3]
	s_cbranch_vccnz .LBB80_61
; %bb.1:
	s_load_dword s22, s[4:5], 0x28
	s_load_dwordx2 s[2:3], s[4:5], 0x0
	s_load_dwordx4 s[16:19], s[4:5], 0x10
	s_waitcnt lgkmcnt(0)
	s_ashr_i32 s7, s22, 31
	s_add_u32 s0, s2, s0
	s_addc_u32 s1, s3, s1
	s_load_dwordx2 s[20:21], s[0:1], 0x0
	s_load_dwordx2 s[28:29], s[4:5], 0x20
	s_load_dwordx8 s[8:15], s[4:5], 0x30
	s_load_dwordx2 s[2:3], s[4:5], 0x58
	s_load_dword s23, s[4:5], 0x50
	s_waitcnt lgkmcnt(0)
	s_mul_i32 s0, s20, s7
	s_mul_hi_u32 s1, s20, s22
	s_mul_i32 s7, s21, s22
	s_add_i32 s0, s1, s0
	s_add_i32 s1, s0, s7
	s_mul_i32 s0, s20, s22
	s_lshl_b64 s[30:31], s[0:1], 1
	s_add_u32 s7, s28, s30
	s_addc_u32 s33, s29, s31
	s_lshr_b32 s0, s22, 31
	s_add_i32 s22, s22, s0
	s_ashr_i32 s20, s22, 1
	s_mul_i32 s24, s20, s23
	v_cmp_gt_i32_e32 vcc, s24, v0
	s_and_saveexec_b64 s[0:1], vcc
	s_cbranch_execz .LBB80_4
; %bb.2:
	s_load_dwordx2 s[22:23], s[4:5], 0x8
	s_load_dword s35, s[4:5], 0x8c
	s_mul_i32 s9, s6, s9
	s_mul_hi_u32 s25, s6, s8
	s_add_i32 s9, s25, s9
	s_mul_i32 s8, s6, s8
	s_ashr_i32 s21, s20, 31
	s_lshl_b64 s[8:9], s[8:9], 1
	s_waitcnt lgkmcnt(0)
	s_add_u32 s25, s22, s8
	s_addc_u32 s37, s23, s9
	s_abs_i32 s34, s20
	v_cvt_f32_u32_e32 v1, s34
	s_sub_i32 s22, 0, s34
	s_mov_b64 s[8:9], 0
	s_and_b32 s35, s35, 0xffff
	v_rcp_iflag_f32_e32 v2, v1
	v_mov_b32_e32 v1, s33
	s_sub_i32 s36, 0, s20
	v_mov_b32_e32 v5, s37
	v_mul_f32_e32 v2, 0x4f7ffffe, v2
	v_cvt_u32_f32_e32 v2, v2
	v_mul_lo_u32 v3, s22, v2
	v_mul_hi_u32 v3, v2, v3
	s_lshl_b64 s[22:23], s[20:21], 1
	v_add_u32_e32 v3, v2, v3
	v_mov_b32_e32 v4, s23
	v_mov_b32_e32 v2, v0
.LBB80_3:                               ; =>This Inner Loop Header: Depth=1
	v_sub_u32_e32 v7, 0, v2
	v_max_i32_e32 v7, v2, v7
	v_mul_hi_u32 v8, v7, v3
	v_mul_lo_u32 v9, v8, s34
	v_sub_u32_e32 v7, v7, v9
	v_add_u32_e32 v10, 1, v8
	v_cmp_le_u32_e32 vcc, s34, v7
	v_subrev_u32_e32 v9, s34, v7
	v_cndmask_b32_e32 v8, v8, v10, vcc
	v_cndmask_b32_e32 v7, v7, v9, vcc
	v_ashrrev_i32_e32 v6, 31, v2
	v_add_u32_e32 v9, 1, v8
	v_cmp_le_u32_e32 vcc, s34, v7
	v_xor_b32_e32 v6, s21, v6
	v_cndmask_b32_e32 v7, v8, v9, vcc
	v_xor_b32_e32 v7, v7, v6
	v_sub_u32_e32 v8, v7, v6
	v_mad_u64_u32 v[6:7], s[38:39], s36, v8, v[2:3]
	v_ashrrev_i32_e32 v10, 31, v8
	v_ashrrev_i32_e32 v7, 31, v6
	v_mul_lo_u32 v11, v8, s11
	v_mad_u64_u32 v[8:9], s[38:39], v8, s10, 0
	v_mul_lo_u32 v10, v10, s10
	v_lshlrev_b64 v[6:7], 1, v[6:7]
	v_add3_u32 v9, v9, v11, v10
	v_add_co_u32_e32 v10, vcc, s7, v6
	v_addc_co_u32_e32 v11, vcc, v1, v7, vcc
	v_add_co_u32_e32 v12, vcc, s22, v10
	v_lshlrev_b64 v[8:9], 1, v[8:9]
	v_addc_co_u32_e32 v13, vcc, v11, v4, vcc
	v_add_co_u32_e32 v8, vcc, s25, v8
	v_addc_co_u32_e32 v9, vcc, v5, v9, vcc
	v_add_co_u32_e32 v6, vcc, v8, v6
	;; [unrolled: 2-line block ×3, first 2 shown]
	global_load_ushort v14, v[10:11], off
	global_load_ushort v15, v[12:13], off
	v_addc_co_u32_e32 v9, vcc, v7, v4, vcc
	global_load_ushort v10, v[6:7], off
	global_load_ushort v11, v[8:9], off
	v_add_u32_e32 v2, s35, v2
	v_cmp_le_i32_e32 vcc, s24, v2
	s_or_b64 s[8:9], vcc, s[8:9]
	s_waitcnt vmcnt(0)
	v_mul_f16_e32 v12, v15, v11
	v_mul_f16_e32 v11, v14, v11
	v_fma_f16 v12, v14, v10, -v12
	v_fma_f16 v10, v15, v10, v11
	global_store_short v[6:7], v12, off
	global_store_short v[8:9], v10, off
	s_andn2_b64 exec, exec, s[8:9]
	s_cbranch_execnz .LBB80_3
.LBB80_4:
	s_or_b64 exec, exec, s[0:1]
	s_load_dwordx4 s[8:11], s[4:5], 0x68
	s_waitcnt lgkmcnt(0)
	s_ashr_i32 s35, s11, 31
	s_mov_b32 s34, s11
	s_or_b64 s[0:1], s[26:27], s[34:35]
	s_mov_b32 s0, 0
	s_cmp_lg_u64 s[0:1], 0
	s_cbranch_scc0 .LBB80_62
; %bb.5:
	s_add_u32 s0, s34, s35
	s_mov_b32 s22, s35
	s_mov_b32 s23, s35
	s_addc_u32 s1, s35, s35
	s_xor_b64 s[36:37], s[0:1], s[22:23]
	v_cvt_f32_u32_e32 v1, s36
	v_cvt_f32_u32_e32 v2, s37
	s_sub_u32 s0, 0, s36
	s_subb_u32 s1, 0, s37
	v_madmk_f32 v1, v2, 0x4f800000, v1
	v_rcp_f32_e32 v1, v1
	v_mul_f32_e32 v1, 0x5f7ffffc, v1
	v_mul_f32_e32 v2, 0x2f800000, v1
	v_trunc_f32_e32 v2, v2
	v_madmk_f32 v1, v2, 0xcf800000, v1
	v_cvt_u32_f32_e32 v2, v2
	v_cvt_u32_f32_e32 v1, v1
	v_readfirstlane_b32 s11, v2
	v_readfirstlane_b32 s21, v1
	s_mul_i32 s38, s0, s11
	s_mul_hi_u32 s40, s0, s21
	s_mul_i32 s39, s1, s21
	s_add_i32 s38, s40, s38
	s_add_i32 s38, s38, s39
	s_mul_i32 s41, s0, s21
	s_mul_hi_u32 s39, s21, s38
	s_mul_i32 s40, s21, s38
	s_mul_hi_u32 s21, s21, s41
	s_add_u32 s21, s21, s40
	s_addc_u32 s39, 0, s39
	s_mul_hi_u32 s42, s11, s41
	s_mul_i32 s41, s11, s41
	s_add_u32 s21, s21, s41
	s_mul_hi_u32 s40, s11, s38
	s_addc_u32 s21, s39, s42
	s_addc_u32 s39, s40, 0
	s_mul_i32 s38, s11, s38
	s_add_u32 s21, s21, s38
	s_addc_u32 s38, 0, s39
	v_add_co_u32_e32 v1, vcc, s21, v1
	s_cmp_lg_u64 vcc, 0
	s_addc_u32 s11, s11, s38
	v_readfirstlane_b32 s38, v1
	s_mul_i32 s21, s0, s11
	s_mul_hi_u32 s39, s0, s38
	s_add_i32 s21, s39, s21
	s_mul_i32 s1, s1, s38
	s_add_i32 s21, s21, s1
	s_mul_i32 s0, s0, s38
	s_mul_hi_u32 s39, s11, s0
	s_mul_i32 s40, s11, s0
	s_mul_i32 s42, s38, s21
	s_mul_hi_u32 s0, s38, s0
	s_mul_hi_u32 s41, s38, s21
	s_add_u32 s0, s0, s42
	s_addc_u32 s38, 0, s41
	s_add_u32 s0, s0, s40
	s_mul_hi_u32 s1, s11, s21
	s_addc_u32 s0, s38, s39
	s_addc_u32 s1, s1, 0
	s_mul_i32 s21, s11, s21
	s_add_u32 s0, s0, s21
	s_addc_u32 s1, 0, s1
	v_add_co_u32_e32 v1, vcc, s0, v1
	s_cmp_lg_u64 vcc, 0
	s_addc_u32 s11, s11, s1
	s_ashr_i32 s38, s27, 31
	s_add_u32 s0, s26, s38
	s_mov_b32 s39, s38
	s_addc_u32 s1, s27, s38
	s_xor_b64 s[40:41], s[0:1], s[38:39]
	v_readfirstlane_b32 s21, v1
	s_mul_i32 s1, s40, s11
	s_mul_hi_u32 s42, s40, s21
	s_mul_hi_u32 s0, s40, s11
	s_add_u32 s1, s42, s1
	s_addc_u32 s0, 0, s0
	s_mul_hi_u32 s43, s41, s21
	s_mul_i32 s21, s41, s21
	s_add_u32 s1, s1, s21
	s_mul_hi_u32 s42, s41, s11
	s_addc_u32 s0, s0, s43
	s_addc_u32 s1, s42, 0
	s_mul_i32 s11, s41, s11
	s_add_u32 s11, s0, s11
	s_addc_u32 s21, 0, s1
	s_mul_i32 s0, s36, s21
	s_mul_hi_u32 s1, s36, s11
	s_add_i32 s0, s1, s0
	s_mul_i32 s1, s37, s11
	s_add_i32 s42, s0, s1
	s_mul_i32 s1, s36, s11
	v_mov_b32_e32 v1, s1
	s_sub_i32 s0, s41, s42
	v_sub_co_u32_e32 v1, vcc, s40, v1
	s_cmp_lg_u64 vcc, 0
	s_subb_u32 s40, s0, s37
	v_subrev_co_u32_e64 v2, s[0:1], s36, v1
	s_cmp_lg_u64 s[0:1], 0
	s_subb_u32 s0, s40, 0
	s_cmp_ge_u32 s0, s37
	v_readfirstlane_b32 s40, v2
	s_cselect_b32 s1, -1, 0
	s_cmp_ge_u32 s40, s36
	s_cselect_b32 s40, -1, 0
	s_cmp_eq_u32 s0, s37
	s_cselect_b32 s0, s40, s1
	s_add_u32 s1, s11, 1
	s_addc_u32 s40, s21, 0
	s_add_u32 s43, s11, 2
	s_addc_u32 s44, s21, 0
	s_cmp_lg_u32 s0, 0
	s_cselect_b32 s0, s43, s1
	s_cselect_b32 s1, s44, s40
	s_cmp_lg_u64 vcc, 0
	s_subb_u32 s40, s41, s42
	s_cmp_ge_u32 s40, s37
	v_readfirstlane_b32 s42, v1
	s_cselect_b32 s41, -1, 0
	s_cmp_ge_u32 s42, s36
	s_cselect_b32 s36, -1, 0
	s_cmp_eq_u32 s40, s37
	s_cselect_b32 s36, s36, s41
	s_cmp_lg_u32 s36, 0
	s_cselect_b32 s1, s1, s21
	s_cselect_b32 s0, s0, s11
	s_xor_b64 s[22:23], s[38:39], s[22:23]
	s_xor_b64 s[0:1], s[0:1], s[22:23]
	s_sub_u32 s22, s0, s22
	s_subb_u32 s23, s1, s23
	s_cbranch_execnz .LBB80_7
.LBB80_6:
	v_cvt_f32_u32_e32 v1, s34
	s_sub_i32 s0, 0, s34
	s_mov_b32 s23, 0
	v_rcp_iflag_f32_e32 v1, v1
	v_mul_f32_e32 v1, 0x4f7ffffe, v1
	v_cvt_u32_f32_e32 v1, v1
	v_readfirstlane_b32 s1, v1
	s_mul_i32 s0, s0, s1
	s_mul_hi_u32 s0, s1, s0
	s_add_i32 s1, s1, s0
	s_mul_hi_u32 s0, s26, s1
	s_mul_i32 s11, s0, s34
	s_sub_i32 s11, s26, s11
	s_add_i32 s1, s0, 1
	s_sub_i32 s21, s11, s34
	s_cmp_ge_u32 s11, s34
	s_cselect_b32 s0, s1, s0
	s_cselect_b32 s11, s21, s11
	s_add_i32 s1, s0, 1
	s_cmp_ge_u32 s11, s34
	s_cselect_b32 s22, s1, s0
.LBB80_7:
	s_mul_i32 s0, s22, s35
	s_mul_hi_u32 s1, s22, s34
	s_load_dwordx2 s[24:25], s[4:5], 0x78
	s_add_i32 s0, s1, s0
	s_mul_i32 s1, s23, s34
	s_add_i32 s0, s0, s1
	s_mul_i32 s1, s22, s34
	s_sub_u32 s11, s26, s1
	s_subb_u32 s0, s27, s0
	v_cmp_gt_i32_e32 vcc, s20, v0
	s_mul_hi_u32 s42, s22, s8
	s_mul_i32 s43, s23, s8
	s_mul_i32 s44, s22, s8
	s_mul_hi_u32 s41, s11, s9
	s_mul_i32 s23, s0, s9
	s_mul_i32 s40, s11, s9
	s_and_saveexec_b64 s[26:27], vcc
	s_cbranch_execz .LBB80_42
; %bb.8:
	s_mul_i32 s0, s6, s13
	s_mul_hi_u32 s1, s6, s12
	s_add_i32 s1, s1, s0
	s_mul_i32 s0, s6, s12
	s_ashr_i32 s21, s20, 31
	s_lshl_b64 s[0:1], s[0:1], 1
	s_add_u32 s45, s16, s0
	s_addc_u32 s46, s17, s1
	s_ashr_i32 s12, s8, 31
	s_load_dword s13, s[4:5], 0x8c
	s_mul_i32 s12, s22, s12
	s_add_i32 s12, s42, s12
	s_add_i32 s34, s12, s43
	s_ashr_i32 s12, s9, 31
	s_mul_i32 s12, s11, s12
	s_add_i32 s12, s41, s12
	s_waitcnt lgkmcnt(0)
	s_and_b32 s48, s13, 0xffff
	s_add_i32 s35, s12, s23
	s_ashr_i32 s36, s10, 31
	s_lshl_b32 s50, s48, 1
	s_lshl_b64 s[12:13], s[20:21], 1
	s_add_u32 s30, s30, s12
	s_addc_u32 s31, s31, s13
	s_add_u32 s51, s28, s30
	s_addc_u32 s52, s29, s31
	;; [unrolled: 2-line block ×5, first 2 shown]
	s_add_u32 s0, s0, s10
	s_load_dword s47, s[24:25], 0x0
	s_addc_u32 s1, s1, s36
	s_add_u32 s0, s2, s0
	s_addc_u32 s1, s3, s1
	v_mov_b32_e32 v1, s1
	v_add_co_u32_e32 v6, vcc, s0, v0
	s_mov_b32 s49, 0
	v_mov_b32_e32 v3, 0
	v_lshlrev_b32_e32 v4, 1, v0
	v_addc_co_u32_e32 v7, vcc, 0, v1, vcc
	s_mov_b64 s[12:13], 0
	s_movk_i32 s55, 0x80
	s_mov_b64 s[16:17], 0x7f800000
	s_mov_b64 s[28:29], 0x43e00001
	s_movk_i32 s56, 0x7a
	s_mov_b64 s[30:31], 0xffffff
	s_movk_i32 s57, 0x7f
	v_mov_b32_e32 v1, 0xffffff82
	v_mov_b32_e32 v5, 0x78
	v_mov_b32_e32 v10, v0
	s_branch .LBB80_10
.LBB80_9:                               ;   in Loop: Header=BB80_10 Depth=1
	s_or_b64 exec, exec, s[0:1]
	s_add_u32 s7, s7, s50
	s_addc_u32 s33, s33, 0
	s_add_u32 s51, s51, s50
	s_addc_u32 s52, s52, 0
	s_add_u32 s53, s53, s50
	v_mov_b32_e32 v2, s21
	v_add_co_u32_e32 v12, vcc, s20, v6
	s_addc_u32 s54, s54, 0
	v_addc_co_u32_e32 v13, vcc, v7, v2, vcc
	v_add_u32_e32 v10, s48, v10
	s_add_u32 s45, s45, s50
	s_addc_u32 s46, s46, 0
	v_cmp_le_i32_e32 vcc, s20, v10
	v_mov_b32_e32 v2, s49
	s_or_b64 s[12:13], vcc, s[12:13]
	v_add_co_u32_e32 v6, vcc, s48, v6
	v_addc_co_u32_e32 v7, vcc, v7, v2, vcc
	global_store_byte v[12:13], v9, off
	s_andn2_b64 exec, exec, s[12:13]
	s_cbranch_execz .LBB80_42
.LBB80_10:                              ; =>This Inner Loop Header: Depth=1
	v_mov_b32_e32 v2, s33
	v_add_co_u32_e32 v8, vcc, s7, v4
	v_addc_co_u32_e32 v9, vcc, 0, v2, vcc
	global_load_ushort v2, v[8:9], off
	v_mov_b32_e32 v9, s52
	v_add_co_u32_e32 v8, vcc, s51, v4
	v_addc_co_u32_e32 v9, vcc, 0, v9, vcc
	global_load_ushort v9, v[8:9], off
	v_mov_b32_e32 v8, s46
	v_add_co_u32_e32 v12, vcc, s45, v4
	v_addc_co_u32_e32 v13, vcc, 0, v8, vcc
	v_mov_b32_e32 v8, s54
	v_add_co_u32_e32 v14, vcc, s53, v4
	v_addc_co_u32_e32 v15, vcc, 0, v8, vcc
	global_load_ushort v8, v[14:15], off
	global_load_ushort v11, v[12:13], off
	s_waitcnt vmcnt(1)
	v_mul_f16_e32 v16, v9, v8
	s_waitcnt vmcnt(0)
	v_fma_f16 v16, v2, v11, -v16
	v_cvt_f32_f16_e32 v17, v16
	v_mul_f16_e32 v2, v2, v8
	v_fma_f16 v11, v9, v11, v2
	global_store_short v[12:13], v16, off
	global_store_short v[14:15], v11, off
	s_waitcnt lgkmcnt(0)
	v_div_scale_f32 v18, s[0:1], s47, s47, v17
	v_rcp_f32_e32 v19, v18
	v_div_scale_f32 v20, vcc, v17, s47, v17
	v_fma_f32 v21, -v18, v19, 1.0
	v_fmac_f32_e32 v19, v21, v19
	v_mul_f32_e32 v21, v20, v19
	v_fma_f32 v22, -v18, v21, v20
	v_fmac_f32_e32 v21, v22, v19
	v_fma_f32 v18, -v18, v21, v20
	v_div_fmas_f32 v18, v18, v19, v21
	v_div_fixup_f32 v17, v18, s47, v17
	v_cvt_f16_f32_e32 v18, v17
	v_mov_b32_e32 v17, v3
	v_cvt_f32_f16_e32 v8, v18
	v_and_b32_sdwa v12, v8, s55 dst_sel:DWORD dst_unused:UNUSED_PAD src0_sel:BYTE_3 src1_sel:DWORD
	v_and_b32_e32 v16, 0x7f800000, v8
	v_and_b32_e32 v2, 0x7fffff, v8
	v_or_b32_e32 v9, 0x7e, v12
	v_cmp_ne_u64_e32 vcc, s[16:17], v[16:17]
	s_and_saveexec_b64 s[0:1], vcc
	s_xor_b64 s[34:35], exec, s[0:1]
	s_cbranch_execz .LBB80_24
; %bb.11:                               ;   in Loop: Header=BB80_10 Depth=1
	v_and_b32_e32 v14, 0x7fffffff, v8
	v_mov_b32_e32 v15, v3
	v_cmp_gt_u64_e32 vcc, s[28:29], v[14:15]
	s_and_saveexec_b64 s[0:1], vcc
	s_xor_b64 s[36:37], exec, s[0:1]
	s_cbranch_execz .LBB80_23
; %bb.12:                               ;   in Loop: Header=BB80_10 Depth=1
	v_cmp_ne_u32_e32 vcc, 0, v8
	v_mov_b32_e32 v9, 0
	s_and_saveexec_b64 s[38:39], vcc
	s_cbranch_execz .LBB80_22
; %bb.13:                               ;   in Loop: Header=BB80_10 Depth=1
	v_bfe_u32 v8, v8, 23, 8
	v_sub_u32_e32 v13, 0x79, v8
	v_cmp_gt_u32_e32 vcc, s56, v8
	v_cndmask_b32_e32 v13, 0, v13, vcc
	v_cmp_eq_u32_e32 vcc, 0, v8
	v_cndmask_b32_e32 v13, v13, v5, vcc
	v_add_u32_e32 v9, 0xffffff81, v8
	v_or_b32_e32 v14, 0x800000, v2
	v_add_u32_e32 v8, 20, v13
	v_cndmask_b32_e32 v15, v9, v1, vcc
	v_cndmask_b32_e32 v2, v14, v2, vcc
	v_lshlrev_b64 v[8:9], v8, -1
	v_not_b32_e32 v8, v8
	v_lshrrev_b64 v[18:19], v13, v[2:3]
	v_not_b32_e32 v9, v9
	v_and_b32_e32 v8, v2, v8
	v_add_u32_e32 v14, 19, v13
	v_lshrrev_b32_e32 v2, 23, v18
	v_and_b32_e32 v9, 0, v9
	v_lshlrev_b64 v[16:17], v14, 1
	v_add3_u32 v14, v13, v15, v2
	v_bfe_u32 v2, v18, 20, 1
	v_add_u32_e32 v2, -1, v2
	v_cmp_eq_u64_e32 vcc, v[8:9], v[16:17]
	v_cndmask_b32_e32 v2, 0, v2, vcc
	v_add_u32_e32 v2, v2, v18
	v_and_b32_e32 v2, 0xfffff, v2
	v_add_co_u32_e32 v8, vcc, v2, v18
	v_add_u32_e32 v13, 6, v14
	v_addc_co_u32_e32 v9, vcc, 0, v19, vcc
	v_cmp_ne_u32_e32 vcc, 0, v13
                                        ; implicit-def: $vgpr2
	s_and_saveexec_b64 s[0:1], vcc
	s_xor_b64 s[0:1], exec, s[0:1]
; %bb.14:                               ;   in Loop: Header=BB80_10 Depth=1
	v_add_u32_e32 v2, 7, v14
	v_cmp_lt_u64_e32 vcc, s[30:31], v[8:9]
	v_cndmask_b32_e32 v2, v13, v2, vcc
	v_cndmask_b32_e64 v13, 0, 1, vcc
	v_lshrrev_b64 v[8:9], v13, v[8:9]
; %bb.15:                               ;   in Loop: Header=BB80_10 Depth=1
	s_andn2_saveexec_b64 s[0:1], s[0:1]
; %bb.16:                               ;   in Loop: Header=BB80_10 Depth=1
	v_bfe_u32 v2, v8, 23, 1
; %bb.17:                               ;   in Loop: Header=BB80_10 Depth=1
	s_or_b64 exec, exec, s[0:1]
	v_lshrrev_b64 v[8:9], 20, v[8:9]
	v_cmp_gt_i32_e32 vcc, 16, v2
	v_cndmask_b32_e32 v9, 0, v9, vcc
	v_cndmask_b32_e32 v8, 7, v8, vcc
	v_cmp_ne_u32_e32 vcc, 0, v2
	v_cmp_ne_u64_e64 s[0:1], 0, v[8:9]
	s_or_b64 s[0:1], vcc, s[0:1]
                                        ; implicit-def: $vgpr9
	s_and_saveexec_b64 s[58:59], s[0:1]
	s_xor_b64 s[0:1], exec, s[58:59]
; %bb.18:                               ;   in Loop: Header=BB80_10 Depth=1
	v_min_i32_e32 v2, 15, v2
	v_lshl_or_b32 v2, v2, 3, v12
	v_and_or_b32 v9, v8, 7, v2
                                        ; implicit-def: $vgpr12
; %bb.19:                               ;   in Loop: Header=BB80_10 Depth=1
	s_andn2_saveexec_b64 s[0:1], s[0:1]
; %bb.20:                               ;   in Loop: Header=BB80_10 Depth=1
	v_mov_b32_e32 v9, v12
; %bb.21:                               ;   in Loop: Header=BB80_10 Depth=1
	s_or_b64 exec, exec, s[0:1]
.LBB80_22:                              ;   in Loop: Header=BB80_10 Depth=1
	s_or_b64 exec, exec, s[38:39]
.LBB80_23:                              ;   in Loop: Header=BB80_10 Depth=1
	s_andn2_saveexec_b64 s[0:1], s[36:37]
	s_or_b64 exec, exec, s[0:1]
                                        ; implicit-def: $vgpr8
.LBB80_24:                              ;   in Loop: Header=BB80_10 Depth=1
	s_andn2_saveexec_b64 s[0:1], s[34:35]
; %bb.25:                               ;   in Loop: Header=BB80_10 Depth=1
	v_or_b32_sdwa v8, v8, s57 dst_sel:DWORD dst_unused:UNUSED_PAD src0_sel:BYTE_3 src1_sel:DWORD
	v_cmp_eq_u64_e32 vcc, 0, v[2:3]
	v_cndmask_b32_e32 v9, v8, v9, vcc
; %bb.26:                               ;   in Loop: Header=BB80_10 Depth=1
	s_or_b64 exec, exec, s[0:1]
	v_cvt_f32_f16_e32 v2, v11
	global_store_byte v[6:7], v9, off
	v_div_scale_f32 v8, s[0:1], s47, s47, v2
	v_rcp_f32_e32 v11, v8
	v_div_scale_f32 v12, vcc, v2, s47, v2
	v_fma_f32 v13, -v8, v11, 1.0
	v_fmac_f32_e32 v11, v13, v11
	v_mul_f32_e32 v13, v12, v11
	v_fma_f32 v14, -v8, v13, v12
	v_fmac_f32_e32 v13, v14, v11
	v_fma_f32 v8, -v8, v13, v12
	v_div_fmas_f32 v8, v8, v11, v13
	v_div_fixup_f32 v2, v8, s47, v2
	v_cvt_f16_f32_e32 v2, v2
	v_mov_b32_e32 v13, v3
	v_cvt_f32_f16_e32 v8, v2
	v_and_b32_sdwa v11, v8, s55 dst_sel:DWORD dst_unused:UNUSED_PAD src0_sel:BYTE_3 src1_sel:DWORD
	v_and_b32_e32 v12, 0x7f800000, v8
	v_and_b32_e32 v2, 0x7fffff, v8
	v_or_b32_e32 v9, 0x7e, v11
	v_cmp_ne_u64_e32 vcc, s[16:17], v[12:13]
	s_and_saveexec_b64 s[0:1], vcc
	s_xor_b64 s[34:35], exec, s[0:1]
	s_cbranch_execz .LBB80_40
; %bb.27:                               ;   in Loop: Header=BB80_10 Depth=1
	v_and_b32_e32 v12, 0x7fffffff, v8
	v_mov_b32_e32 v13, v3
	v_cmp_gt_u64_e32 vcc, s[28:29], v[12:13]
	s_and_saveexec_b64 s[0:1], vcc
	s_xor_b64 s[36:37], exec, s[0:1]
	s_cbranch_execz .LBB80_39
; %bb.28:                               ;   in Loop: Header=BB80_10 Depth=1
	v_cmp_ne_u32_e32 vcc, 0, v8
	v_mov_b32_e32 v9, 0
	s_and_saveexec_b64 s[38:39], vcc
	s_cbranch_execz .LBB80_38
; %bb.29:                               ;   in Loop: Header=BB80_10 Depth=1
	v_bfe_u32 v8, v8, 23, 8
	v_sub_u32_e32 v12, 0x79, v8
	v_cmp_gt_u32_e32 vcc, s56, v8
	v_cndmask_b32_e32 v12, 0, v12, vcc
	v_cmp_eq_u32_e32 vcc, 0, v8
	v_cndmask_b32_e32 v12, v12, v5, vcc
	v_add_u32_e32 v9, 0xffffff81, v8
	v_or_b32_e32 v13, 0x800000, v2
	v_add_u32_e32 v8, 20, v12
	v_cndmask_b32_e32 v18, v9, v1, vcc
	v_cndmask_b32_e32 v2, v13, v2, vcc
	v_lshlrev_b64 v[8:9], v8, -1
	v_not_b32_e32 v8, v8
	v_lshrrev_b64 v[16:17], v12, v[2:3]
	v_not_b32_e32 v9, v9
	v_and_b32_e32 v8, v2, v8
	v_add_u32_e32 v13, 19, v12
	v_lshrrev_b32_e32 v2, 23, v16
	v_and_b32_e32 v9, 0, v9
	v_lshlrev_b64 v[14:15], v13, 1
	v_add3_u32 v13, v12, v18, v2
	v_bfe_u32 v2, v16, 20, 1
	v_add_u32_e32 v2, -1, v2
	v_cmp_eq_u64_e32 vcc, v[8:9], v[14:15]
	v_cndmask_b32_e32 v2, 0, v2, vcc
	v_add_u32_e32 v2, v2, v16
	v_and_b32_e32 v2, 0xfffff, v2
	v_add_co_u32_e32 v8, vcc, v2, v16
	v_add_u32_e32 v12, 6, v13
	v_addc_co_u32_e32 v9, vcc, 0, v17, vcc
	v_cmp_ne_u32_e32 vcc, 0, v12
                                        ; implicit-def: $vgpr2
	s_and_saveexec_b64 s[0:1], vcc
	s_xor_b64 s[0:1], exec, s[0:1]
; %bb.30:                               ;   in Loop: Header=BB80_10 Depth=1
	v_add_u32_e32 v2, 7, v13
	v_cmp_lt_u64_e32 vcc, s[30:31], v[8:9]
	v_cndmask_b32_e32 v2, v12, v2, vcc
	v_cndmask_b32_e64 v12, 0, 1, vcc
	v_lshrrev_b64 v[8:9], v12, v[8:9]
; %bb.31:                               ;   in Loop: Header=BB80_10 Depth=1
	s_andn2_saveexec_b64 s[0:1], s[0:1]
; %bb.32:                               ;   in Loop: Header=BB80_10 Depth=1
	v_bfe_u32 v2, v8, 23, 1
; %bb.33:                               ;   in Loop: Header=BB80_10 Depth=1
	s_or_b64 exec, exec, s[0:1]
	v_lshrrev_b64 v[8:9], 20, v[8:9]
	v_cmp_gt_i32_e32 vcc, 16, v2
	v_cndmask_b32_e32 v9, 0, v9, vcc
	v_cndmask_b32_e32 v8, 7, v8, vcc
	v_cmp_ne_u32_e32 vcc, 0, v2
	v_cmp_ne_u64_e64 s[0:1], 0, v[8:9]
	s_or_b64 s[0:1], vcc, s[0:1]
                                        ; implicit-def: $vgpr9
	s_and_saveexec_b64 s[58:59], s[0:1]
	s_xor_b64 s[0:1], exec, s[58:59]
; %bb.34:                               ;   in Loop: Header=BB80_10 Depth=1
	v_min_i32_e32 v2, 15, v2
	v_lshl_or_b32 v2, v2, 3, v11
	v_and_or_b32 v9, v8, 7, v2
                                        ; implicit-def: $vgpr11
; %bb.35:                               ;   in Loop: Header=BB80_10 Depth=1
	s_andn2_saveexec_b64 s[0:1], s[0:1]
; %bb.36:                               ;   in Loop: Header=BB80_10 Depth=1
	v_mov_b32_e32 v9, v11
; %bb.37:                               ;   in Loop: Header=BB80_10 Depth=1
	s_or_b64 exec, exec, s[0:1]
.LBB80_38:                              ;   in Loop: Header=BB80_10 Depth=1
	s_or_b64 exec, exec, s[38:39]
.LBB80_39:                              ;   in Loop: Header=BB80_10 Depth=1
	s_andn2_saveexec_b64 s[0:1], s[36:37]
	s_or_b64 exec, exec, s[0:1]
                                        ; implicit-def: $vgpr8
.LBB80_40:                              ;   in Loop: Header=BB80_10 Depth=1
	s_andn2_saveexec_b64 s[0:1], s[34:35]
	s_cbranch_execz .LBB80_9
; %bb.41:                               ;   in Loop: Header=BB80_10 Depth=1
	v_or_b32_sdwa v8, v8, s57 dst_sel:DWORD dst_unused:UNUSED_PAD src0_sel:BYTE_3 src1_sel:DWORD
	v_cmp_eq_u64_e32 vcc, 0, v[2:3]
	v_cndmask_b32_e32 v9, v8, v9, vcc
	s_branch .LBB80_9
.LBB80_42:
	s_or_b64 exec, exec, s[26:27]
	v_cmp_gt_i32_e32 vcc, s10, v0
	s_and_saveexec_b64 s[0:1], vcc
	s_cbranch_execz .LBB80_61
; %bb.43:
	s_mul_i32 s0, s6, s15
	s_mul_hi_u32 s1, s6, s14
	s_add_i32 s1, s1, s0
	s_mul_i32 s0, s6, s14
	s_lshl_b64 s[0:1], s[0:1], 1
	s_add_u32 s18, s18, s0
	s_addc_u32 s0, s19, s1
	s_ashr_i32 s1, s8, 31
	s_mul_i32 s1, s22, s1
	s_add_i32 s1, s42, s1
	s_add_i32 s1, s1, s43
	s_add_u32 s2, s2, s44
	s_addc_u32 s1, s3, s1
	s_ashr_i32 s3, s9, 31
	s_load_dword s4, s[4:5], 0x8c
	s_mul_i32 s11, s11, s3
	s_waitcnt lgkmcnt(0)
	s_load_dword s20, s[24:25], 0x0
	s_add_i32 s3, s41, s11
	s_add_i32 s3, s3, s23
	s_add_u32 s11, s2, s40
	s_addc_u32 s19, s1, s3
	s_and_b32 s21, s4, 0xffff
	s_mov_b64 s[2:3], 0
	v_mov_b32_e32 v6, s0
	v_mov_b32_e32 v3, 0
	s_movk_i32 s22, 0x80
	s_mov_b64 s[4:5], 0x7f800000
	s_mov_b64 s[6:7], 0x43e00001
	s_movk_i32 s23, 0x7a
	s_mov_b64 s[8:9], 0xffffff
	s_movk_i32 s24, 0x7f
	v_mov_b32_e32 v7, 0xffffff82
	v_mov_b32_e32 v8, 0x78
	s_branch .LBB80_45
.LBB80_44:                              ;   in Loop: Header=BB80_45 Depth=1
	s_or_b64 exec, exec, s[0:1]
	v_mov_b32_e32 v2, s19
	v_add_co_u32_e32 v10, vcc, s11, v0
	v_addc_co_u32_e32 v11, vcc, v2, v1, vcc
	v_add_u32_e32 v0, s21, v0
	v_cmp_le_i32_e32 vcc, s10, v0
	s_or_b64 s[2:3], vcc, s[2:3]
	global_store_byte v[10:11], v5, off
	s_andn2_b64 exec, exec, s[2:3]
	s_cbranch_execz .LBB80_61
.LBB80_45:                              ; =>This Inner Loop Header: Depth=1
	v_ashrrev_i32_e32 v1, 31, v0
	v_lshlrev_b64 v[4:5], 1, v[0:1]
	v_add_co_u32_e32 v4, vcc, s18, v4
	v_addc_co_u32_e32 v5, vcc, v6, v5, vcc
	global_load_ushort v2, v[4:5], off
	s_waitcnt vmcnt(0)
	v_cvt_f32_f16_e32 v2, v2
	s_waitcnt lgkmcnt(0)
	v_div_scale_f32 v4, s[0:1], s20, s20, v2
	v_rcp_f32_e32 v5, v4
	v_div_scale_f32 v9, vcc, v2, s20, v2
	v_fma_f32 v10, -v4, v5, 1.0
	v_fmac_f32_e32 v5, v10, v5
	v_mul_f32_e32 v10, v9, v5
	v_fma_f32 v11, -v4, v10, v9
	v_fmac_f32_e32 v10, v11, v5
	v_fma_f32 v4, -v4, v10, v9
	v_div_fmas_f32 v4, v4, v5, v10
	v_div_fixup_f32 v2, v4, s20, v2
	v_cvt_f16_f32_e32 v2, v2
	v_mov_b32_e32 v11, v3
	v_cvt_f32_f16_e32 v4, v2
	v_and_b32_sdwa v9, v4, s22 dst_sel:DWORD dst_unused:UNUSED_PAD src0_sel:BYTE_3 src1_sel:DWORD
	v_and_b32_e32 v10, 0x7f800000, v4
	v_and_b32_e32 v2, 0x7fffff, v4
	v_or_b32_e32 v5, 0x7e, v9
	v_cmp_ne_u64_e32 vcc, s[4:5], v[10:11]
	s_and_saveexec_b64 s[0:1], vcc
	s_xor_b64 s[12:13], exec, s[0:1]
	s_cbranch_execz .LBB80_59
; %bb.46:                               ;   in Loop: Header=BB80_45 Depth=1
	v_and_b32_e32 v10, 0x7fffffff, v4
	v_mov_b32_e32 v11, v3
	v_cmp_gt_u64_e32 vcc, s[6:7], v[10:11]
	s_and_saveexec_b64 s[0:1], vcc
	s_xor_b64 s[14:15], exec, s[0:1]
	s_cbranch_execz .LBB80_58
; %bb.47:                               ;   in Loop: Header=BB80_45 Depth=1
	v_cmp_ne_u32_e32 vcc, 0, v4
	v_mov_b32_e32 v5, 0
	s_and_saveexec_b64 s[16:17], vcc
	s_cbranch_execz .LBB80_57
; %bb.48:                               ;   in Loop: Header=BB80_45 Depth=1
	v_bfe_u32 v4, v4, 23, 8
	v_sub_u32_e32 v10, 0x79, v4
	v_cmp_gt_u32_e32 vcc, s23, v4
	v_cndmask_b32_e32 v10, 0, v10, vcc
	v_cmp_eq_u32_e32 vcc, 0, v4
	v_cndmask_b32_e32 v10, v10, v8, vcc
	v_add_u32_e32 v5, 0xffffff81, v4
	v_or_b32_e32 v11, 0x800000, v2
	v_add_u32_e32 v4, 20, v10
	v_cndmask_b32_e32 v16, v5, v7, vcc
	v_cndmask_b32_e32 v2, v11, v2, vcc
	v_lshlrev_b64 v[4:5], v4, -1
	v_not_b32_e32 v4, v4
	v_lshrrev_b64 v[14:15], v10, v[2:3]
	v_not_b32_e32 v5, v5
	v_and_b32_e32 v4, v2, v4
	v_add_u32_e32 v11, 19, v10
	v_lshrrev_b32_e32 v2, 23, v14
	v_and_b32_e32 v5, 0, v5
	v_lshlrev_b64 v[12:13], v11, 1
	v_add3_u32 v11, v10, v16, v2
	v_bfe_u32 v2, v14, 20, 1
	v_add_u32_e32 v2, -1, v2
	v_cmp_eq_u64_e32 vcc, v[4:5], v[12:13]
	v_cndmask_b32_e32 v2, 0, v2, vcc
	v_add_u32_e32 v2, v2, v14
	v_and_b32_e32 v2, 0xfffff, v2
	v_add_co_u32_e32 v4, vcc, v2, v14
	v_add_u32_e32 v10, 6, v11
	v_addc_co_u32_e32 v5, vcc, 0, v15, vcc
	v_cmp_ne_u32_e32 vcc, 0, v10
                                        ; implicit-def: $vgpr2
	s_and_saveexec_b64 s[0:1], vcc
	s_xor_b64 s[0:1], exec, s[0:1]
; %bb.49:                               ;   in Loop: Header=BB80_45 Depth=1
	v_add_u32_e32 v2, 7, v11
	v_cmp_lt_u64_e32 vcc, s[8:9], v[4:5]
	v_cndmask_b32_e32 v2, v10, v2, vcc
	v_cndmask_b32_e64 v10, 0, 1, vcc
	v_lshrrev_b64 v[4:5], v10, v[4:5]
; %bb.50:                               ;   in Loop: Header=BB80_45 Depth=1
	s_andn2_saveexec_b64 s[0:1], s[0:1]
; %bb.51:                               ;   in Loop: Header=BB80_45 Depth=1
	v_bfe_u32 v2, v4, 23, 1
; %bb.52:                               ;   in Loop: Header=BB80_45 Depth=1
	s_or_b64 exec, exec, s[0:1]
	v_lshrrev_b64 v[4:5], 20, v[4:5]
	v_cmp_gt_i32_e32 vcc, 16, v2
	v_cndmask_b32_e32 v5, 0, v5, vcc
	v_cndmask_b32_e32 v4, 7, v4, vcc
	v_cmp_ne_u32_e32 vcc, 0, v2
	v_cmp_ne_u64_e64 s[0:1], 0, v[4:5]
	s_or_b64 s[0:1], vcc, s[0:1]
                                        ; implicit-def: $vgpr5
	s_and_saveexec_b64 s[26:27], s[0:1]
	s_xor_b64 s[0:1], exec, s[26:27]
; %bb.53:                               ;   in Loop: Header=BB80_45 Depth=1
	v_min_i32_e32 v2, 15, v2
	v_lshl_or_b32 v2, v2, 3, v9
	v_and_or_b32 v5, v4, 7, v2
                                        ; implicit-def: $vgpr9
; %bb.54:                               ;   in Loop: Header=BB80_45 Depth=1
	s_andn2_saveexec_b64 s[0:1], s[0:1]
; %bb.55:                               ;   in Loop: Header=BB80_45 Depth=1
	v_mov_b32_e32 v5, v9
; %bb.56:                               ;   in Loop: Header=BB80_45 Depth=1
	s_or_b64 exec, exec, s[0:1]
.LBB80_57:                              ;   in Loop: Header=BB80_45 Depth=1
	s_or_b64 exec, exec, s[16:17]
.LBB80_58:                              ;   in Loop: Header=BB80_45 Depth=1
	s_andn2_saveexec_b64 s[0:1], s[14:15]
	s_or_b64 exec, exec, s[0:1]
                                        ; implicit-def: $vgpr4
.LBB80_59:                              ;   in Loop: Header=BB80_45 Depth=1
	s_andn2_saveexec_b64 s[0:1], s[12:13]
	s_cbranch_execz .LBB80_44
; %bb.60:                               ;   in Loop: Header=BB80_45 Depth=1
	v_or_b32_sdwa v4, v4, s24 dst_sel:DWORD dst_unused:UNUSED_PAD src0_sel:BYTE_3 src1_sel:DWORD
	v_cmp_eq_u64_e32 vcc, 0, v[2:3]
	v_cndmask_b32_e32 v5, v4, v5, vcc
	s_branch .LBB80_44
.LBB80_61:
	s_endpgm
.LBB80_62:
                                        ; implicit-def: $sgpr22_sgpr23
	s_branch .LBB80_6
	.section	.rodata,"a",@progbits
	.p2align	6, 0x0
	.amdhsa_kernel _ZN4vllm38concat_and_cache_mla_rope_fused_kernelIN3c104HalfES2_Lb1EthLNS_18Fp8KVCacheDataTypeE1EEEvPKlPT_S7_PKS6_PKT0_illlliPT3_S5_iiiiPKf
		.amdhsa_group_segment_fixed_size 0
		.amdhsa_private_segment_fixed_size 0
		.amdhsa_kernarg_size 384
		.amdhsa_user_sgpr_count 6
		.amdhsa_user_sgpr_private_segment_buffer 1
		.amdhsa_user_sgpr_dispatch_ptr 0
		.amdhsa_user_sgpr_queue_ptr 0
		.amdhsa_user_sgpr_kernarg_segment_ptr 1
		.amdhsa_user_sgpr_dispatch_id 0
		.amdhsa_user_sgpr_flat_scratch_init 0
		.amdhsa_user_sgpr_kernarg_preload_length 0
		.amdhsa_user_sgpr_kernarg_preload_offset 0
		.amdhsa_user_sgpr_private_segment_size 0
		.amdhsa_uses_dynamic_stack 0
		.amdhsa_system_sgpr_private_segment_wavefront_offset 0
		.amdhsa_system_sgpr_workgroup_id_x 1
		.amdhsa_system_sgpr_workgroup_id_y 0
		.amdhsa_system_sgpr_workgroup_id_z 0
		.amdhsa_system_sgpr_workgroup_info 0
		.amdhsa_system_vgpr_workitem_id 0
		.amdhsa_next_free_vgpr 23
		.amdhsa_next_free_sgpr 60
		.amdhsa_accum_offset 24
		.amdhsa_reserve_vcc 1
		.amdhsa_reserve_flat_scratch 0
		.amdhsa_float_round_mode_32 0
		.amdhsa_float_round_mode_16_64 0
		.amdhsa_float_denorm_mode_32 3
		.amdhsa_float_denorm_mode_16_64 3
		.amdhsa_dx10_clamp 1
		.amdhsa_ieee_mode 1
		.amdhsa_fp16_overflow 0
		.amdhsa_tg_split 0
		.amdhsa_exception_fp_ieee_invalid_op 0
		.amdhsa_exception_fp_denorm_src 0
		.amdhsa_exception_fp_ieee_div_zero 0
		.amdhsa_exception_fp_ieee_overflow 0
		.amdhsa_exception_fp_ieee_underflow 0
		.amdhsa_exception_fp_ieee_inexact 0
		.amdhsa_exception_int_div_zero 0
	.end_amdhsa_kernel
	.section	.text._ZN4vllm38concat_and_cache_mla_rope_fused_kernelIN3c104HalfES2_Lb1EthLNS_18Fp8KVCacheDataTypeE1EEEvPKlPT_S7_PKS6_PKT0_illlliPT3_S5_iiiiPKf,"axG",@progbits,_ZN4vllm38concat_and_cache_mla_rope_fused_kernelIN3c104HalfES2_Lb1EthLNS_18Fp8KVCacheDataTypeE1EEEvPKlPT_S7_PKS6_PKT0_illlliPT3_S5_iiiiPKf,comdat
.Lfunc_end80:
	.size	_ZN4vllm38concat_and_cache_mla_rope_fused_kernelIN3c104HalfES2_Lb1EthLNS_18Fp8KVCacheDataTypeE1EEEvPKlPT_S7_PKS6_PKT0_illlliPT3_S5_iiiiPKf, .Lfunc_end80-_ZN4vllm38concat_and_cache_mla_rope_fused_kernelIN3c104HalfES2_Lb1EthLNS_18Fp8KVCacheDataTypeE1EEEvPKlPT_S7_PKS6_PKT0_illlliPT3_S5_iiiiPKf
                                        ; -- End function
	.section	.AMDGPU.csdata,"",@progbits
; Kernel info:
; codeLenInByte = 3656
; NumSgprs: 64
; NumVgprs: 23
; NumAgprs: 0
; TotalNumVgprs: 23
; ScratchSize: 0
; MemoryBound: 0
; FloatMode: 240
; IeeeMode: 1
; LDSByteSize: 0 bytes/workgroup (compile time only)
; SGPRBlocks: 7
; VGPRBlocks: 2
; NumSGPRsForWavesPerEU: 64
; NumVGPRsForWavesPerEU: 23
; AccumOffset: 24
; Occupancy: 8
; WaveLimiterHint : 1
; COMPUTE_PGM_RSRC2:SCRATCH_EN: 0
; COMPUTE_PGM_RSRC2:USER_SGPR: 6
; COMPUTE_PGM_RSRC2:TRAP_HANDLER: 0
; COMPUTE_PGM_RSRC2:TGID_X_EN: 1
; COMPUTE_PGM_RSRC2:TGID_Y_EN: 0
; COMPUTE_PGM_RSRC2:TGID_Z_EN: 0
; COMPUTE_PGM_RSRC2:TIDIG_COMP_CNT: 0
; COMPUTE_PGM_RSRC3_GFX90A:ACCUM_OFFSET: 5
; COMPUTE_PGM_RSRC3_GFX90A:TG_SPLIT: 0
	.section	.text._ZN4vllm38concat_and_cache_mla_rope_fused_kernelIN3c104HalfES2_Lb0EthLNS_18Fp8KVCacheDataTypeE1EEEvPKlPT_S7_PKS6_PKT0_illlliPT3_S5_iiiiPKf,"axG",@progbits,_ZN4vllm38concat_and_cache_mla_rope_fused_kernelIN3c104HalfES2_Lb0EthLNS_18Fp8KVCacheDataTypeE1EEEvPKlPT_S7_PKS6_PKT0_illlliPT3_S5_iiiiPKf,comdat
	.protected	_ZN4vllm38concat_and_cache_mla_rope_fused_kernelIN3c104HalfES2_Lb0EthLNS_18Fp8KVCacheDataTypeE1EEEvPKlPT_S7_PKS6_PKT0_illlliPT3_S5_iiiiPKf ; -- Begin function _ZN4vllm38concat_and_cache_mla_rope_fused_kernelIN3c104HalfES2_Lb0EthLNS_18Fp8KVCacheDataTypeE1EEEvPKlPT_S7_PKS6_PKT0_illlliPT3_S5_iiiiPKf
	.globl	_ZN4vllm38concat_and_cache_mla_rope_fused_kernelIN3c104HalfES2_Lb0EthLNS_18Fp8KVCacheDataTypeE1EEEvPKlPT_S7_PKS6_PKT0_illlliPT3_S5_iiiiPKf
	.p2align	8
	.type	_ZN4vllm38concat_and_cache_mla_rope_fused_kernelIN3c104HalfES2_Lb0EthLNS_18Fp8KVCacheDataTypeE1EEEvPKlPT_S7_PKS6_PKT0_illlliPT3_S5_iiiiPKf,@function
_ZN4vllm38concat_and_cache_mla_rope_fused_kernelIN3c104HalfES2_Lb0EthLNS_18Fp8KVCacheDataTypeE1EEEvPKlPT_S7_PKS6_PKT0_illlliPT3_S5_iiiiPKf: ; @_ZN4vllm38concat_and_cache_mla_rope_fused_kernelIN3c104HalfES2_Lb0EthLNS_18Fp8KVCacheDataTypeE1EEEvPKlPT_S7_PKS6_PKT0_illlliPT3_S5_iiiiPKf
; %bb.0:
	s_load_dwordx2 s[2:3], s[4:5], 0x60
	s_mov_b32 s7, 0
	s_lshl_b64 s[0:1], s[6:7], 3
	s_waitcnt lgkmcnt(0)
	s_add_u32 s2, s2, s0
	s_addc_u32 s3, s3, s1
	s_load_dwordx2 s[26:27], s[2:3], 0x0
	s_waitcnt lgkmcnt(0)
	v_cmp_lt_i64_e64 s[2:3], s[26:27], 0
	s_and_b64 vcc, exec, s[2:3]
	s_cbranch_vccnz .LBB81_61
; %bb.1:
	s_load_dword s7, s[4:5], 0x28
	s_load_dwordx2 s[2:3], s[4:5], 0x0
	s_load_dwordx4 s[16:19], s[4:5], 0x10
	v_lshlrev_b32_e32 v3, 1, v0
	s_waitcnt lgkmcnt(0)
	s_ashr_i32 s22, s7, 31
	s_add_u32 s0, s2, s0
	s_addc_u32 s1, s3, s1
	s_load_dwordx2 s[20:21], s[0:1], 0x0
	s_load_dwordx2 s[28:29], s[4:5], 0x20
	s_load_dwordx8 s[8:15], s[4:5], 0x30
	s_load_dwordx2 s[2:3], s[4:5], 0x58
	s_load_dword s23, s[4:5], 0x50
	s_waitcnt lgkmcnt(0)
	s_mul_i32 s0, s20, s22
	s_mul_hi_u32 s1, s20, s7
	s_mul_i32 s21, s21, s7
	s_add_i32 s0, s1, s0
	s_add_i32 s31, s0, s21
	s_lshr_b32 s0, s7, 31
	s_mul_i32 s30, s20, s7
	s_add_i32 s7, s7, s0
	s_ashr_i32 s20, s7, 1
	s_mul_i32 s7, s20, s23
	v_cmp_gt_i32_e32 vcc, s7, v0
	s_and_saveexec_b64 s[0:1], vcc
	s_cbranch_execz .LBB81_4
; %bb.2:
	s_lshl_b64 s[22:23], s[30:31], 1
	s_add_u32 s24, s28, s22
	s_addc_u32 s38, s29, s23
	s_load_dwordx2 s[22:23], s[4:5], 0x8
	s_load_dword s34, s[4:5], 0x8c
	s_mul_i32 s9, s6, s9
	s_mul_hi_u32 s25, s6, s8
	s_add_i32 s9, s25, s9
	s_mul_i32 s8, s6, s8
	s_ashr_i32 s21, s20, 31
	s_lshl_b64 s[8:9], s[8:9], 1
	s_waitcnt lgkmcnt(0)
	s_add_u32 s25, s22, s8
	s_addc_u32 s39, s23, s9
	s_abs_i32 s33, s20
	v_cvt_f32_u32_e32 v1, s33
	s_sub_i32 s8, 0, s33
	s_and_b32 s34, s34, 0xffff
	s_lshl_b64 s[22:23], s[20:21], 1
	v_rcp_iflag_f32_e32 v1, v1
	s_sub_i32 s35, 0, s20
	s_lshl_b32 s37, s34, 1
	v_mov_b32_e32 v5, s38
	v_mul_f32_e32 v1, 0x4f7ffffe, v1
	v_cvt_u32_f32_e32 v1, v1
	v_mov_b32_e32 v6, s23
	v_mov_b32_e32 v7, s39
	;; [unrolled: 1-line block ×3, first 2 shown]
	v_mul_lo_u32 v2, s8, v1
	v_mul_hi_u32 v2, v1, v2
	s_lshl_b32 s8, s20, 1
	v_add_u32_e32 v1, v1, v2
	s_sub_i32 s36, 0, s8
	s_mov_b64 s[8:9], 0
	v_mov_b32_e32 v2, v3
.LBB81_3:                               ; =>This Inner Loop Header: Depth=1
	v_sub_u32_e32 v9, 0, v4
	v_max_i32_e32 v9, v4, v9
	v_mul_hi_u32 v10, v9, v1
	v_mul_lo_u32 v11, v10, s33
	v_sub_u32_e32 v9, v9, v11
	v_add_u32_e32 v12, 1, v10
	v_cmp_le_u32_e32 vcc, s33, v9
	v_subrev_u32_e32 v11, s33, v9
	v_cndmask_b32_e32 v10, v10, v12, vcc
	v_cndmask_b32_e32 v9, v9, v11, vcc
	v_ashrrev_i32_e32 v8, 31, v4
	v_add_u32_e32 v11, 1, v10
	v_cmp_le_u32_e32 vcc, s33, v9
	v_xor_b32_e32 v8, s21, v8
	v_cndmask_b32_e32 v9, v10, v11, vcc
	v_xor_b32_e32 v9, v9, v8
	v_sub_u32_e32 v12, v9, v8
	v_mad_u64_u32 v[8:9], s[38:39], s35, v12, v[4:5]
	v_ashrrev_i32_e32 v9, 31, v8
	v_lshlrev_b64 v[8:9], 1, v[8:9]
	v_ashrrev_i32_e32 v14, 31, v12
	v_add_co_u32_e32 v8, vcc, s24, v8
	v_mul_lo_u32 v15, v12, s11
	v_mad_u64_u32 v[10:11], s[38:39], v12, s10, 0
	v_mul_lo_u32 v14, v14, s10
	v_addc_co_u32_e32 v9, vcc, v5, v9, vcc
	v_add3_u32 v11, v11, v15, v14
	v_add_co_u32_e32 v14, vcc, s22, v8
	v_mad_u64_u32 v[12:13], s[38:39], s36, v12, v[2:3]
	v_lshlrev_b64 v[10:11], 1, v[10:11]
	v_addc_co_u32_e32 v15, vcc, v9, v6, vcc
	v_ashrrev_i32_e32 v13, 31, v12
	v_add_co_u32_e32 v10, vcc, s25, v10
	v_lshlrev_b64 v[12:13], 1, v[12:13]
	v_addc_co_u32_e32 v11, vcc, v7, v11, vcc
	global_load_ushort v16, v[8:9], off
	global_load_ushort v17, v[14:15], off
	v_add_co_u32_e32 v8, vcc, v10, v12
	v_addc_co_u32_e32 v9, vcc, v11, v13, vcc
	global_load_dword v10, v[8:9], off
	v_add_u32_e32 v4, s34, v4
	v_cmp_le_i32_e32 vcc, s7, v4
	v_add_u32_e32 v2, s37, v2
	s_or_b64 s[8:9], vcc, s[8:9]
	s_waitcnt vmcnt(0)
	v_mul_f16_sdwa v11, v17, v10 dst_sel:DWORD dst_unused:UNUSED_PAD src0_sel:DWORD src1_sel:WORD_1
	v_mul_f16_sdwa v12, v16, v10 dst_sel:DWORD dst_unused:UNUSED_PAD src0_sel:DWORD src1_sel:WORD_1
	v_fma_f16 v11, v16, v10, -v11
	v_fma_f16 v10, v17, v10, v12
	v_pack_b32_f16 v10, v11, v10
	global_store_dword v[8:9], v10, off
	s_andn2_b64 exec, exec, s[8:9]
	s_cbranch_execnz .LBB81_3
.LBB81_4:
	s_or_b64 exec, exec, s[0:1]
	s_load_dwordx4 s[8:11], s[4:5], 0x68
	s_waitcnt lgkmcnt(0)
	s_ashr_i32 s35, s11, 31
	s_mov_b32 s34, s11
	s_or_b64 s[0:1], s[26:27], s[34:35]
	s_mov_b32 s0, 0
	s_cmp_lg_u64 s[0:1], 0
	s_cbranch_scc0 .LBB81_62
; %bb.5:
	s_add_u32 s0, s34, s35
	s_mov_b32 s22, s35
	s_mov_b32 s23, s35
	s_addc_u32 s1, s35, s35
	s_xor_b64 s[36:37], s[0:1], s[22:23]
	v_cvt_f32_u32_e32 v1, s36
	v_cvt_f32_u32_e32 v2, s37
	s_sub_u32 s0, 0, s36
	s_subb_u32 s1, 0, s37
	v_madmk_f32 v1, v2, 0x4f800000, v1
	v_rcp_f32_e32 v1, v1
	v_mul_f32_e32 v1, 0x5f7ffffc, v1
	v_mul_f32_e32 v2, 0x2f800000, v1
	v_trunc_f32_e32 v2, v2
	v_madmk_f32 v1, v2, 0xcf800000, v1
	v_cvt_u32_f32_e32 v2, v2
	v_cvt_u32_f32_e32 v1, v1
	v_readfirstlane_b32 s7, v2
	v_readfirstlane_b32 s11, v1
	s_mul_i32 s21, s0, s7
	s_mul_hi_u32 s38, s0, s11
	s_mul_i32 s33, s1, s11
	s_add_i32 s21, s38, s21
	s_add_i32 s21, s21, s33
	s_mul_i32 s39, s0, s11
	s_mul_hi_u32 s33, s11, s21
	s_mul_i32 s38, s11, s21
	s_mul_hi_u32 s11, s11, s39
	s_add_u32 s11, s11, s38
	s_addc_u32 s33, 0, s33
	s_mul_hi_u32 s40, s7, s39
	s_mul_i32 s39, s7, s39
	s_add_u32 s11, s11, s39
	s_mul_hi_u32 s38, s7, s21
	s_addc_u32 s11, s33, s40
	s_addc_u32 s33, s38, 0
	s_mul_i32 s21, s7, s21
	s_add_u32 s11, s11, s21
	s_addc_u32 s21, 0, s33
	v_add_co_u32_e32 v1, vcc, s11, v1
	s_cmp_lg_u64 vcc, 0
	s_addc_u32 s7, s7, s21
	v_readfirstlane_b32 s21, v1
	s_mul_i32 s11, s0, s7
	s_mul_hi_u32 s33, s0, s21
	s_add_i32 s11, s33, s11
	s_mul_i32 s1, s1, s21
	s_add_i32 s11, s11, s1
	s_mul_i32 s0, s0, s21
	s_mul_hi_u32 s33, s7, s0
	s_mul_i32 s38, s7, s0
	s_mul_i32 s40, s21, s11
	s_mul_hi_u32 s0, s21, s0
	s_mul_hi_u32 s39, s21, s11
	s_add_u32 s0, s0, s40
	s_addc_u32 s21, 0, s39
	s_add_u32 s0, s0, s38
	s_mul_hi_u32 s1, s7, s11
	s_addc_u32 s0, s21, s33
	s_addc_u32 s1, s1, 0
	s_mul_i32 s11, s7, s11
	s_add_u32 s0, s0, s11
	s_addc_u32 s1, 0, s1
	v_add_co_u32_e32 v1, vcc, s0, v1
	s_cmp_lg_u64 vcc, 0
	s_addc_u32 s7, s7, s1
	s_ashr_i32 s38, s27, 31
	s_add_u32 s0, s26, s38
	s_mov_b32 s39, s38
	s_addc_u32 s1, s27, s38
	s_xor_b64 s[40:41], s[0:1], s[38:39]
	v_readfirstlane_b32 s11, v1
	s_mul_i32 s1, s40, s7
	s_mul_hi_u32 s21, s40, s11
	s_mul_hi_u32 s0, s40, s7
	s_add_u32 s1, s21, s1
	s_addc_u32 s0, 0, s0
	s_mul_hi_u32 s33, s41, s11
	s_mul_i32 s11, s41, s11
	s_add_u32 s1, s1, s11
	s_mul_hi_u32 s21, s41, s7
	s_addc_u32 s0, s0, s33
	s_addc_u32 s1, s21, 0
	s_mul_i32 s7, s41, s7
	s_add_u32 s7, s0, s7
	s_addc_u32 s11, 0, s1
	s_mul_i32 s0, s36, s11
	s_mul_hi_u32 s1, s36, s7
	s_add_i32 s0, s1, s0
	s_mul_i32 s1, s37, s7
	s_add_i32 s21, s0, s1
	s_mul_i32 s1, s36, s7
	v_mov_b32_e32 v1, s1
	s_sub_i32 s0, s41, s21
	v_sub_co_u32_e32 v1, vcc, s40, v1
	s_cmp_lg_u64 vcc, 0
	s_subb_u32 s33, s0, s37
	v_subrev_co_u32_e64 v2, s[0:1], s36, v1
	s_cmp_lg_u64 s[0:1], 0
	s_subb_u32 s0, s33, 0
	s_cmp_ge_u32 s0, s37
	v_readfirstlane_b32 s33, v2
	s_cselect_b32 s1, -1, 0
	s_cmp_ge_u32 s33, s36
	s_cselect_b32 s33, -1, 0
	s_cmp_eq_u32 s0, s37
	s_cselect_b32 s0, s33, s1
	s_add_u32 s1, s7, 1
	s_addc_u32 s33, s11, 0
	s_add_u32 s40, s7, 2
	s_addc_u32 s42, s11, 0
	s_cmp_lg_u32 s0, 0
	s_cselect_b32 s0, s40, s1
	s_cselect_b32 s1, s42, s33
	s_cmp_lg_u64 vcc, 0
	s_subb_u32 s21, s41, s21
	s_cmp_ge_u32 s21, s37
	v_readfirstlane_b32 s40, v1
	s_cselect_b32 s33, -1, 0
	s_cmp_ge_u32 s40, s36
	s_cselect_b32 s36, -1, 0
	s_cmp_eq_u32 s21, s37
	s_cselect_b32 s21, s36, s33
	s_cmp_lg_u32 s21, 0
	s_cselect_b32 s1, s1, s11
	s_cselect_b32 s0, s0, s7
	s_xor_b64 s[22:23], s[38:39], s[22:23]
	s_xor_b64 s[0:1], s[0:1], s[22:23]
	s_sub_u32 s22, s0, s22
	s_subb_u32 s23, s1, s23
	s_cbranch_execnz .LBB81_7
.LBB81_6:
	v_cvt_f32_u32_e32 v1, s34
	s_sub_i32 s0, 0, s34
	s_mov_b32 s23, 0
	v_rcp_iflag_f32_e32 v1, v1
	v_mul_f32_e32 v1, 0x4f7ffffe, v1
	v_cvt_u32_f32_e32 v1, v1
	v_readfirstlane_b32 s1, v1
	s_mul_i32 s0, s0, s1
	s_mul_hi_u32 s0, s1, s0
	s_add_i32 s1, s1, s0
	s_mul_hi_u32 s0, s26, s1
	s_mul_i32 s7, s0, s34
	s_sub_i32 s7, s26, s7
	s_add_i32 s1, s0, 1
	s_sub_i32 s11, s7, s34
	s_cmp_ge_u32 s7, s34
	s_cselect_b32 s0, s1, s0
	s_cselect_b32 s7, s11, s7
	s_add_i32 s1, s0, 1
	s_cmp_ge_u32 s7, s34
	s_cselect_b32 s22, s1, s0
.LBB81_7:
	s_mul_i32 s0, s22, s35
	s_mul_hi_u32 s1, s22, s34
	s_load_dwordx2 s[24:25], s[4:5], 0x78
	s_add_i32 s0, s1, s0
	s_mul_i32 s1, s23, s34
	s_add_i32 s0, s0, s1
	s_mul_i32 s1, s22, s34
	s_sub_u32 s7, s26, s1
	s_subb_u32 s11, s27, s0
	v_cmp_gt_i32_e32 vcc, s20, v0
	s_mul_hi_u32 s42, s22, s8
	s_mul_i32 s43, s23, s8
	s_mul_i32 s44, s22, s8
	s_mul_hi_u32 s33, s7, s9
	s_mul_i32 s11, s11, s9
	s_mul_i32 s23, s7, s9
	s_and_saveexec_b64 s[26:27], vcc
	s_cbranch_execz .LBB81_42
; %bb.8:
	s_ashr_i32 s0, s8, 31
	s_mul_i32 s0, s22, s0
	s_load_dword s1, s[4:5], 0x8c
	s_add_i32 s0, s42, s0
	s_add_i32 s34, s0, s43
	s_ashr_i32 s0, s9, 31
	s_mul_i32 s0, s7, s0
	s_add_i32 s0, s33, s0
	s_ashr_i32 s21, s20, 31
	s_add_i32 s35, s0, s11
	s_ashr_i32 s36, s10, 31
	s_waitcnt lgkmcnt(0)
	s_and_b32 s46, s1, 0xffff
	s_lshl_b64 s[0:1], s[30:31], 1
	s_add_u32 s0, s28, s0
	s_addc_u32 s1, s29, s1
	v_mov_b32_e32 v2, s1
	v_add_co_u32_e32 v1, vcc, s0, v3
	v_addc_co_u32_e32 v10, vcc, 0, v2, vcc
	s_lshl_b32 s48, s46, 1
	s_lshl_b64 s[0:1], s[20:21], 1
	v_add_co_u32_e32 v11, vcc, s0, v1
	s_add_u32 s0, s44, s23
	v_mov_b32_e32 v2, s1
	s_addc_u32 s1, s34, s35
	s_add_u32 s21, s2, s10
	s_addc_u32 s28, s3, s36
	s_add_u32 s0, s21, s0
	v_addc_co_u32_e32 v12, vcc, v10, v2, vcc
	s_addc_u32 s1, s28, s1
	v_mov_b32_e32 v2, s1
	v_add_co_u32_e32 v3, vcc, s0, v3
	s_mul_i32 s0, s13, s6
	s_mul_hi_u32 s1, s12, s6
	s_add_i32 s1, s1, s0
	s_mul_i32 s0, s12, s6
	v_addc_co_u32_e32 v2, vcc, 0, v2, vcc
	s_lshl_b64 s[0:1], s[0:1], 1
	v_add_co_u32_e32 v13, vcc, 1, v3
	s_add_u32 s0, s16, s0
	s_load_dword s45, s[24:25], 0x0
	v_addc_co_u32_e32 v14, vcc, 0, v2, vcc
	v_lshlrev_b32_e32 v2, 2, v0
	s_addc_u32 s1, s17, s1
	v_mov_b32_e32 v3, s1
	v_add_co_u32_e32 v2, vcc, s0, v2
	v_addc_co_u32_e32 v3, vcc, 0, v3, vcc
	v_add_co_u32_e32 v2, vcc, 2, v2
	s_mov_b32 s47, 0
	v_addc_co_u32_e32 v3, vcc, 0, v3, vcc
	s_lshl_b32 s21, s46, 2
	s_mov_b64 s[12:13], 0
	v_mov_b32_e32 v5, 0
	s_movk_i32 s49, 0x80
	s_mov_b64 s[16:17], 0x7f800000
	s_mov_b64 s[28:29], 0x43e00001
	s_movk_i32 s50, 0x7a
	s_mov_b64 s[30:31], 0xffffff
	s_movk_i32 s51, 0x7f
	v_mov_b32_e32 v15, 0xffffff82
	v_mov_b32_e32 v16, 0x78
	s_mov_b64 s[34:35], 0
	v_mov_b32_e32 v17, v0
	s_branch .LBB81_10
.LBB81_9:                               ;   in Loop: Header=BB81_10 Depth=1
	s_or_b64 exec, exec, s[0:1]
	v_add_u32_e32 v17, s46, v17
	s_add_u32 s34, s34, s48
	s_addc_u32 s35, s35, 0
	v_cmp_le_i32_e32 vcc, s20, v17
	v_mov_b32_e32 v4, s47
	s_or_b64 s[12:13], vcc, s[12:13]
	v_add_co_u32_e32 v2, vcc, s21, v2
	v_addc_co_u32_e32 v3, vcc, v3, v4, vcc
	global_store_byte v[6:7], v9, off
	s_andn2_b64 exec, exec, s[12:13]
	s_cbranch_execz .LBB81_42
.LBB81_10:                              ; =>This Inner Loop Header: Depth=1
	v_mov_b32_e32 v4, s35
	v_add_co_u32_e32 v6, vcc, s34, v1
	v_addc_co_u32_e32 v7, vcc, v10, v4, vcc
	v_add_co_u32_e32 v8, vcc, s34, v11
	v_addc_co_u32_e32 v9, vcc, v12, v4, vcc
	global_load_ushort v4, v[8:9], off
	global_load_dword v18, v[2:3], off offset:-2
	global_load_ushort v19, v[6:7], off
	s_waitcnt vmcnt(1)
	v_mul_f16_sdwa v6, v4, v18 dst_sel:DWORD dst_unused:UNUSED_PAD src0_sel:DWORD src1_sel:WORD_1
	s_waitcnt vmcnt(0)
	v_fma_f16 v7, v19, v18, -v6
	v_cvt_f32_f16_e32 v6, v7
	s_waitcnt lgkmcnt(0)
	v_div_scale_f32 v8, s[0:1], s45, s45, v6
	v_rcp_f32_e32 v9, v8
	v_div_scale_f32 v20, vcc, v6, s45, v6
	v_fma_f32 v21, -v8, v9, 1.0
	v_fmac_f32_e32 v9, v21, v9
	v_mul_f32_e32 v21, v20, v9
	v_fma_f32 v22, -v8, v21, v20
	v_fmac_f32_e32 v21, v22, v9
	v_fma_f32 v8, -v8, v21, v20
	v_div_fmas_f32 v8, v8, v9, v21
	v_div_fixup_f32 v6, v8, s45, v6
	v_cvt_f16_f32_e32 v6, v6
	v_mul_f16_sdwa v8, v19, v18 dst_sel:DWORD dst_unused:UNUSED_PAD src0_sel:DWORD src1_sel:WORD_1
	v_fma_f16 v8, v4, v18, v8
	v_mov_b32_e32 v21, v5
	v_cvt_f32_f16_e32 v6, v6
	v_pack_b32_f16 v4, v7, v8
	global_store_dword v[2:3], v4, off offset:-2
	v_and_b32_sdwa v9, v6, s49 dst_sel:DWORD dst_unused:UNUSED_PAD src0_sel:BYTE_3 src1_sel:DWORD
	v_and_b32_e32 v20, 0x7f800000, v6
	v_and_b32_e32 v4, 0x7fffff, v6
	v_or_b32_e32 v18, 0x7e, v9
	v_cmp_ne_u64_e32 vcc, s[16:17], v[20:21]
	s_and_saveexec_b64 s[0:1], vcc
	s_xor_b64 s[36:37], exec, s[0:1]
	s_cbranch_execz .LBB81_24
; %bb.11:                               ;   in Loop: Header=BB81_10 Depth=1
	v_and_b32_e32 v20, 0x7fffffff, v6
	v_mov_b32_e32 v21, v5
	v_cmp_gt_u64_e32 vcc, s[28:29], v[20:21]
	s_and_saveexec_b64 s[0:1], vcc
	s_xor_b64 s[38:39], exec, s[0:1]
	s_cbranch_execz .LBB81_23
; %bb.12:                               ;   in Loop: Header=BB81_10 Depth=1
	v_cmp_ne_u32_e32 vcc, 0, v6
	v_mov_b32_e32 v18, 0
	s_and_saveexec_b64 s[40:41], vcc
	s_cbranch_execz .LBB81_22
; %bb.13:                               ;   in Loop: Header=BB81_10 Depth=1
	v_bfe_u32 v6, v6, 23, 8
	v_sub_u32_e32 v18, 0x79, v6
	v_cmp_gt_u32_e32 vcc, s50, v6
	v_cndmask_b32_e32 v18, 0, v18, vcc
	v_cmp_eq_u32_e32 vcc, 0, v6
	v_cndmask_b32_e32 v18, v18, v16, vcc
	v_add_u32_e32 v7, 0xffffff81, v6
	v_or_b32_e32 v19, 0x800000, v4
	v_add_u32_e32 v6, 20, v18
	v_cndmask_b32_e32 v24, v7, v15, vcc
	v_cndmask_b32_e32 v4, v19, v4, vcc
	v_lshlrev_b64 v[6:7], v6, -1
	v_not_b32_e32 v6, v6
	v_lshrrev_b64 v[22:23], v18, v[4:5]
	v_not_b32_e32 v7, v7
	v_and_b32_e32 v6, v4, v6
	v_add_u32_e32 v19, 19, v18
	v_lshrrev_b32_e32 v4, 23, v22
	v_and_b32_e32 v7, 0, v7
	v_lshlrev_b64 v[20:21], v19, 1
	v_add3_u32 v19, v18, v24, v4
	v_bfe_u32 v4, v22, 20, 1
	v_add_u32_e32 v4, -1, v4
	v_cmp_eq_u64_e32 vcc, v[6:7], v[20:21]
	v_cndmask_b32_e32 v4, 0, v4, vcc
	v_add_u32_e32 v4, v4, v22
	v_and_b32_e32 v4, 0xfffff, v4
	v_add_co_u32_e32 v6, vcc, v4, v22
	v_add_u32_e32 v18, 6, v19
	v_addc_co_u32_e32 v7, vcc, 0, v23, vcc
	v_cmp_ne_u32_e32 vcc, 0, v18
                                        ; implicit-def: $vgpr4
	s_and_saveexec_b64 s[0:1], vcc
	s_xor_b64 s[0:1], exec, s[0:1]
; %bb.14:                               ;   in Loop: Header=BB81_10 Depth=1
	v_add_u32_e32 v4, 7, v19
	v_cmp_lt_u64_e32 vcc, s[30:31], v[6:7]
	v_cndmask_b32_e32 v4, v18, v4, vcc
	v_cndmask_b32_e64 v18, 0, 1, vcc
	v_lshrrev_b64 v[6:7], v18, v[6:7]
; %bb.15:                               ;   in Loop: Header=BB81_10 Depth=1
	s_andn2_saveexec_b64 s[0:1], s[0:1]
; %bb.16:                               ;   in Loop: Header=BB81_10 Depth=1
	v_bfe_u32 v4, v6, 23, 1
; %bb.17:                               ;   in Loop: Header=BB81_10 Depth=1
	s_or_b64 exec, exec, s[0:1]
	v_lshrrev_b64 v[6:7], 20, v[6:7]
	v_cmp_gt_i32_e32 vcc, 16, v4
	v_cndmask_b32_e32 v7, 0, v7, vcc
	v_cndmask_b32_e32 v6, 7, v6, vcc
	v_cmp_ne_u32_e32 vcc, 0, v4
	v_cmp_ne_u64_e64 s[0:1], 0, v[6:7]
	s_or_b64 s[0:1], vcc, s[0:1]
                                        ; implicit-def: $vgpr18
	s_and_saveexec_b64 s[52:53], s[0:1]
	s_xor_b64 s[0:1], exec, s[52:53]
; %bb.18:                               ;   in Loop: Header=BB81_10 Depth=1
	v_min_i32_e32 v4, 15, v4
	v_lshl_or_b32 v4, v4, 3, v9
	v_and_or_b32 v18, v6, 7, v4
                                        ; implicit-def: $vgpr9
; %bb.19:                               ;   in Loop: Header=BB81_10 Depth=1
	s_andn2_saveexec_b64 s[0:1], s[0:1]
; %bb.20:                               ;   in Loop: Header=BB81_10 Depth=1
	v_mov_b32_e32 v18, v9
; %bb.21:                               ;   in Loop: Header=BB81_10 Depth=1
	s_or_b64 exec, exec, s[0:1]
.LBB81_22:                              ;   in Loop: Header=BB81_10 Depth=1
	s_or_b64 exec, exec, s[40:41]
.LBB81_23:                              ;   in Loop: Header=BB81_10 Depth=1
	s_andn2_saveexec_b64 s[0:1], s[38:39]
	s_or_b64 exec, exec, s[0:1]
                                        ; implicit-def: $vgpr6
.LBB81_24:                              ;   in Loop: Header=BB81_10 Depth=1
	s_andn2_saveexec_b64 s[0:1], s[36:37]
; %bb.25:                               ;   in Loop: Header=BB81_10 Depth=1
	v_or_b32_sdwa v6, v6, s51 dst_sel:DWORD dst_unused:UNUSED_PAD src0_sel:BYTE_3 src1_sel:DWORD
	v_cmp_eq_u64_e32 vcc, 0, v[4:5]
	v_cndmask_b32_e32 v18, v6, v18, vcc
; %bb.26:                               ;   in Loop: Header=BB81_10 Depth=1
	s_or_b64 exec, exec, s[0:1]
	v_cvt_f32_f16_e32 v4, v8
	v_mov_b32_e32 v21, v5
	v_div_scale_f32 v6, s[0:1], s45, s45, v4
	v_rcp_f32_e32 v7, v6
	v_div_scale_f32 v8, vcc, v4, s45, v4
	v_fma_f32 v9, -v6, v7, 1.0
	v_fmac_f32_e32 v7, v9, v7
	v_mul_f32_e32 v9, v8, v7
	v_fma_f32 v19, -v6, v9, v8
	v_fmac_f32_e32 v9, v19, v7
	v_fma_f32 v6, -v6, v9, v8
	v_div_fmas_f32 v6, v6, v7, v9
	v_div_fixup_f32 v4, v6, s45, v4
	v_cvt_f16_f32_e32 v4, v4
	v_mov_b32_e32 v7, s35
	v_add_co_u32_e32 v6, vcc, s34, v13
	v_cvt_f32_f16_e32 v8, v4
	v_addc_co_u32_e32 v7, vcc, v14, v7, vcc
	global_store_byte v[6:7], v18, off offset:-1
	v_and_b32_sdwa v18, v8, s49 dst_sel:DWORD dst_unused:UNUSED_PAD src0_sel:BYTE_3 src1_sel:DWORD
	v_and_b32_e32 v20, 0x7f800000, v8
	v_and_b32_e32 v4, 0x7fffff, v8
	v_or_b32_e32 v9, 0x7e, v18
	v_cmp_ne_u64_e32 vcc, s[16:17], v[20:21]
	s_and_saveexec_b64 s[0:1], vcc
	s_xor_b64 s[36:37], exec, s[0:1]
	s_cbranch_execz .LBB81_40
; %bb.27:                               ;   in Loop: Header=BB81_10 Depth=1
	v_and_b32_e32 v20, 0x7fffffff, v8
	v_mov_b32_e32 v21, v5
	v_cmp_gt_u64_e32 vcc, s[28:29], v[20:21]
	s_and_saveexec_b64 s[0:1], vcc
	s_xor_b64 s[38:39], exec, s[0:1]
	s_cbranch_execz .LBB81_39
; %bb.28:                               ;   in Loop: Header=BB81_10 Depth=1
	v_cmp_ne_u32_e32 vcc, 0, v8
	v_mov_b32_e32 v9, 0
	s_and_saveexec_b64 s[40:41], vcc
	s_cbranch_execz .LBB81_38
; %bb.29:                               ;   in Loop: Header=BB81_10 Depth=1
	v_bfe_u32 v8, v8, 23, 8
	v_sub_u32_e32 v19, 0x79, v8
	v_cmp_gt_u32_e32 vcc, s50, v8
	v_cndmask_b32_e32 v19, 0, v19, vcc
	v_cmp_eq_u32_e32 vcc, 0, v8
	v_cndmask_b32_e32 v19, v19, v16, vcc
	v_add_u32_e32 v9, 0xffffff81, v8
	v_or_b32_e32 v20, 0x800000, v4
	v_add_u32_e32 v8, 20, v19
	v_cndmask_b32_e32 v21, v9, v15, vcc
	v_cndmask_b32_e32 v4, v20, v4, vcc
	v_lshlrev_b64 v[8:9], v8, -1
	v_not_b32_e32 v8, v8
	v_lshrrev_b64 v[24:25], v19, v[4:5]
	v_not_b32_e32 v9, v9
	v_and_b32_e32 v8, v4, v8
	v_add_u32_e32 v20, 19, v19
	v_lshrrev_b32_e32 v4, 23, v24
	v_and_b32_e32 v9, 0, v9
	v_lshlrev_b64 v[22:23], v20, 1
	v_add3_u32 v20, v19, v21, v4
	v_bfe_u32 v4, v24, 20, 1
	v_add_u32_e32 v4, -1, v4
	v_cmp_eq_u64_e32 vcc, v[8:9], v[22:23]
	v_cndmask_b32_e32 v4, 0, v4, vcc
	v_add_u32_e32 v4, v4, v24
	v_and_b32_e32 v4, 0xfffff, v4
	v_add_co_u32_e32 v8, vcc, v4, v24
	v_add_u32_e32 v19, 6, v20
	v_addc_co_u32_e32 v9, vcc, 0, v25, vcc
	v_cmp_ne_u32_e32 vcc, 0, v19
                                        ; implicit-def: $vgpr4
	s_and_saveexec_b64 s[0:1], vcc
	s_xor_b64 s[0:1], exec, s[0:1]
; %bb.30:                               ;   in Loop: Header=BB81_10 Depth=1
	v_add_u32_e32 v4, 7, v20
	v_cmp_lt_u64_e32 vcc, s[30:31], v[8:9]
	v_cndmask_b32_e32 v4, v19, v4, vcc
	v_cndmask_b32_e64 v19, 0, 1, vcc
	v_lshrrev_b64 v[8:9], v19, v[8:9]
; %bb.31:                               ;   in Loop: Header=BB81_10 Depth=1
	s_andn2_saveexec_b64 s[0:1], s[0:1]
; %bb.32:                               ;   in Loop: Header=BB81_10 Depth=1
	v_bfe_u32 v4, v8, 23, 1
; %bb.33:                               ;   in Loop: Header=BB81_10 Depth=1
	s_or_b64 exec, exec, s[0:1]
	v_lshrrev_b64 v[8:9], 20, v[8:9]
	v_cmp_gt_i32_e32 vcc, 16, v4
	v_cndmask_b32_e32 v9, 0, v9, vcc
	v_cndmask_b32_e32 v8, 7, v8, vcc
	v_cmp_ne_u32_e32 vcc, 0, v4
	v_cmp_ne_u64_e64 s[0:1], 0, v[8:9]
	s_or_b64 s[0:1], vcc, s[0:1]
                                        ; implicit-def: $vgpr9
	s_and_saveexec_b64 s[52:53], s[0:1]
	s_xor_b64 s[0:1], exec, s[52:53]
; %bb.34:                               ;   in Loop: Header=BB81_10 Depth=1
	v_min_i32_e32 v4, 15, v4
	v_lshl_or_b32 v4, v4, 3, v18
	v_and_or_b32 v9, v8, 7, v4
                                        ; implicit-def: $vgpr18
; %bb.35:                               ;   in Loop: Header=BB81_10 Depth=1
	s_andn2_saveexec_b64 s[0:1], s[0:1]
; %bb.36:                               ;   in Loop: Header=BB81_10 Depth=1
	v_mov_b32_e32 v9, v18
; %bb.37:                               ;   in Loop: Header=BB81_10 Depth=1
	s_or_b64 exec, exec, s[0:1]
.LBB81_38:                              ;   in Loop: Header=BB81_10 Depth=1
	s_or_b64 exec, exec, s[40:41]
.LBB81_39:                              ;   in Loop: Header=BB81_10 Depth=1
	s_andn2_saveexec_b64 s[0:1], s[38:39]
	s_or_b64 exec, exec, s[0:1]
                                        ; implicit-def: $vgpr8
.LBB81_40:                              ;   in Loop: Header=BB81_10 Depth=1
	s_andn2_saveexec_b64 s[0:1], s[36:37]
	s_cbranch_execz .LBB81_9
; %bb.41:                               ;   in Loop: Header=BB81_10 Depth=1
	v_or_b32_sdwa v8, v8, s51 dst_sel:DWORD dst_unused:UNUSED_PAD src0_sel:BYTE_3 src1_sel:DWORD
	v_cmp_eq_u64_e32 vcc, 0, v[4:5]
	v_cndmask_b32_e32 v9, v8, v9, vcc
	s_branch .LBB81_9
.LBB81_42:
	s_or_b64 exec, exec, s[26:27]
	v_cmp_gt_i32_e32 vcc, s10, v0
	s_and_saveexec_b64 s[0:1], vcc
	s_cbranch_execz .LBB81_61
; %bb.43:
	s_mul_i32 s0, s6, s15
	s_mul_hi_u32 s1, s6, s14
	s_add_i32 s1, s1, s0
	s_mul_i32 s0, s6, s14
	s_lshl_b64 s[0:1], s[0:1], 1
	s_add_u32 s18, s18, s0
	s_addc_u32 s0, s19, s1
	s_ashr_i32 s1, s8, 31
	s_mul_i32 s1, s22, s1
	s_add_i32 s1, s42, s1
	s_add_i32 s1, s1, s43
	s_add_u32 s2, s2, s44
	s_addc_u32 s1, s3, s1
	s_ashr_i32 s3, s9, 31
	s_load_dword s4, s[4:5], 0x8c
	s_mul_i32 s7, s7, s3
	s_waitcnt lgkmcnt(0)
	s_load_dword s20, s[24:25], 0x0
	s_add_i32 s3, s33, s7
	s_add_i32 s3, s3, s11
	s_add_u32 s11, s2, s23
	s_addc_u32 s19, s1, s3
	s_and_b32 s21, s4, 0xffff
	s_mov_b64 s[2:3], 0
	v_mov_b32_e32 v6, s0
	v_mov_b32_e32 v3, 0
	s_movk_i32 s22, 0x80
	s_mov_b64 s[4:5], 0x7f800000
	s_mov_b64 s[6:7], 0x43e00001
	s_movk_i32 s23, 0x7a
	s_mov_b64 s[8:9], 0xffffff
	s_movk_i32 s24, 0x7f
	v_mov_b32_e32 v7, 0xffffff82
	v_mov_b32_e32 v8, 0x78
	s_branch .LBB81_45
.LBB81_44:                              ;   in Loop: Header=BB81_45 Depth=1
	s_or_b64 exec, exec, s[0:1]
	v_mov_b32_e32 v2, s19
	v_add_co_u32_e32 v10, vcc, s11, v0
	v_addc_co_u32_e32 v11, vcc, v2, v1, vcc
	v_add_u32_e32 v0, s21, v0
	v_cmp_le_i32_e32 vcc, s10, v0
	s_or_b64 s[2:3], vcc, s[2:3]
	global_store_byte v[10:11], v5, off
	s_andn2_b64 exec, exec, s[2:3]
	s_cbranch_execz .LBB81_61
.LBB81_45:                              ; =>This Inner Loop Header: Depth=1
	v_ashrrev_i32_e32 v1, 31, v0
	v_lshlrev_b64 v[4:5], 1, v[0:1]
	v_add_co_u32_e32 v4, vcc, s18, v4
	v_addc_co_u32_e32 v5, vcc, v6, v5, vcc
	global_load_ushort v2, v[4:5], off
	s_waitcnt vmcnt(0)
	v_cvt_f32_f16_e32 v2, v2
	s_waitcnt lgkmcnt(0)
	v_div_scale_f32 v4, s[0:1], s20, s20, v2
	v_rcp_f32_e32 v5, v4
	v_div_scale_f32 v9, vcc, v2, s20, v2
	v_fma_f32 v10, -v4, v5, 1.0
	v_fmac_f32_e32 v5, v10, v5
	v_mul_f32_e32 v10, v9, v5
	v_fma_f32 v11, -v4, v10, v9
	v_fmac_f32_e32 v10, v11, v5
	v_fma_f32 v4, -v4, v10, v9
	v_div_fmas_f32 v4, v4, v5, v10
	v_div_fixup_f32 v2, v4, s20, v2
	v_cvt_f16_f32_e32 v2, v2
	v_mov_b32_e32 v11, v3
	v_cvt_f32_f16_e32 v4, v2
	v_and_b32_sdwa v9, v4, s22 dst_sel:DWORD dst_unused:UNUSED_PAD src0_sel:BYTE_3 src1_sel:DWORD
	v_and_b32_e32 v10, 0x7f800000, v4
	v_and_b32_e32 v2, 0x7fffff, v4
	v_or_b32_e32 v5, 0x7e, v9
	v_cmp_ne_u64_e32 vcc, s[4:5], v[10:11]
	s_and_saveexec_b64 s[0:1], vcc
	s_xor_b64 s[12:13], exec, s[0:1]
	s_cbranch_execz .LBB81_59
; %bb.46:                               ;   in Loop: Header=BB81_45 Depth=1
	v_and_b32_e32 v10, 0x7fffffff, v4
	v_mov_b32_e32 v11, v3
	v_cmp_gt_u64_e32 vcc, s[6:7], v[10:11]
	s_and_saveexec_b64 s[0:1], vcc
	s_xor_b64 s[14:15], exec, s[0:1]
	s_cbranch_execz .LBB81_58
; %bb.47:                               ;   in Loop: Header=BB81_45 Depth=1
	v_cmp_ne_u32_e32 vcc, 0, v4
	v_mov_b32_e32 v5, 0
	s_and_saveexec_b64 s[16:17], vcc
	s_cbranch_execz .LBB81_57
; %bb.48:                               ;   in Loop: Header=BB81_45 Depth=1
	v_bfe_u32 v4, v4, 23, 8
	v_sub_u32_e32 v10, 0x79, v4
	v_cmp_gt_u32_e32 vcc, s23, v4
	v_cndmask_b32_e32 v10, 0, v10, vcc
	v_cmp_eq_u32_e32 vcc, 0, v4
	v_cndmask_b32_e32 v10, v10, v8, vcc
	v_add_u32_e32 v5, 0xffffff81, v4
	v_or_b32_e32 v11, 0x800000, v2
	v_add_u32_e32 v4, 20, v10
	v_cndmask_b32_e32 v16, v5, v7, vcc
	v_cndmask_b32_e32 v2, v11, v2, vcc
	v_lshlrev_b64 v[4:5], v4, -1
	v_not_b32_e32 v4, v4
	v_lshrrev_b64 v[14:15], v10, v[2:3]
	v_not_b32_e32 v5, v5
	v_and_b32_e32 v4, v2, v4
	v_add_u32_e32 v11, 19, v10
	v_lshrrev_b32_e32 v2, 23, v14
	v_and_b32_e32 v5, 0, v5
	v_lshlrev_b64 v[12:13], v11, 1
	v_add3_u32 v11, v10, v16, v2
	v_bfe_u32 v2, v14, 20, 1
	v_add_u32_e32 v2, -1, v2
	v_cmp_eq_u64_e32 vcc, v[4:5], v[12:13]
	v_cndmask_b32_e32 v2, 0, v2, vcc
	v_add_u32_e32 v2, v2, v14
	v_and_b32_e32 v2, 0xfffff, v2
	v_add_co_u32_e32 v4, vcc, v2, v14
	v_add_u32_e32 v10, 6, v11
	v_addc_co_u32_e32 v5, vcc, 0, v15, vcc
	v_cmp_ne_u32_e32 vcc, 0, v10
                                        ; implicit-def: $vgpr2
	s_and_saveexec_b64 s[0:1], vcc
	s_xor_b64 s[0:1], exec, s[0:1]
; %bb.49:                               ;   in Loop: Header=BB81_45 Depth=1
	v_add_u32_e32 v2, 7, v11
	v_cmp_lt_u64_e32 vcc, s[8:9], v[4:5]
	v_cndmask_b32_e32 v2, v10, v2, vcc
	v_cndmask_b32_e64 v10, 0, 1, vcc
	v_lshrrev_b64 v[4:5], v10, v[4:5]
; %bb.50:                               ;   in Loop: Header=BB81_45 Depth=1
	s_andn2_saveexec_b64 s[0:1], s[0:1]
; %bb.51:                               ;   in Loop: Header=BB81_45 Depth=1
	v_bfe_u32 v2, v4, 23, 1
; %bb.52:                               ;   in Loop: Header=BB81_45 Depth=1
	s_or_b64 exec, exec, s[0:1]
	v_lshrrev_b64 v[4:5], 20, v[4:5]
	v_cmp_gt_i32_e32 vcc, 16, v2
	v_cndmask_b32_e32 v5, 0, v5, vcc
	v_cndmask_b32_e32 v4, 7, v4, vcc
	v_cmp_ne_u32_e32 vcc, 0, v2
	v_cmp_ne_u64_e64 s[0:1], 0, v[4:5]
	s_or_b64 s[0:1], vcc, s[0:1]
                                        ; implicit-def: $vgpr5
	s_and_saveexec_b64 s[26:27], s[0:1]
	s_xor_b64 s[0:1], exec, s[26:27]
; %bb.53:                               ;   in Loop: Header=BB81_45 Depth=1
	v_min_i32_e32 v2, 15, v2
	v_lshl_or_b32 v2, v2, 3, v9
	v_and_or_b32 v5, v4, 7, v2
                                        ; implicit-def: $vgpr9
; %bb.54:                               ;   in Loop: Header=BB81_45 Depth=1
	s_andn2_saveexec_b64 s[0:1], s[0:1]
; %bb.55:                               ;   in Loop: Header=BB81_45 Depth=1
	v_mov_b32_e32 v5, v9
; %bb.56:                               ;   in Loop: Header=BB81_45 Depth=1
	s_or_b64 exec, exec, s[0:1]
.LBB81_57:                              ;   in Loop: Header=BB81_45 Depth=1
	s_or_b64 exec, exec, s[16:17]
.LBB81_58:                              ;   in Loop: Header=BB81_45 Depth=1
	s_andn2_saveexec_b64 s[0:1], s[14:15]
	s_or_b64 exec, exec, s[0:1]
                                        ; implicit-def: $vgpr4
.LBB81_59:                              ;   in Loop: Header=BB81_45 Depth=1
	s_andn2_saveexec_b64 s[0:1], s[12:13]
	s_cbranch_execz .LBB81_44
; %bb.60:                               ;   in Loop: Header=BB81_45 Depth=1
	v_or_b32_sdwa v4, v4, s24 dst_sel:DWORD dst_unused:UNUSED_PAD src0_sel:BYTE_3 src1_sel:DWORD
	v_cmp_eq_u64_e32 vcc, 0, v[2:3]
	v_cndmask_b32_e32 v5, v4, v5, vcc
	s_branch .LBB81_44
.LBB81_61:
	s_endpgm
.LBB81_62:
                                        ; implicit-def: $sgpr22_sgpr23
	s_branch .LBB81_6
	.section	.rodata,"a",@progbits
	.p2align	6, 0x0
	.amdhsa_kernel _ZN4vllm38concat_and_cache_mla_rope_fused_kernelIN3c104HalfES2_Lb0EthLNS_18Fp8KVCacheDataTypeE1EEEvPKlPT_S7_PKS6_PKT0_illlliPT3_S5_iiiiPKf
		.amdhsa_group_segment_fixed_size 0
		.amdhsa_private_segment_fixed_size 0
		.amdhsa_kernarg_size 384
		.amdhsa_user_sgpr_count 6
		.amdhsa_user_sgpr_private_segment_buffer 1
		.amdhsa_user_sgpr_dispatch_ptr 0
		.amdhsa_user_sgpr_queue_ptr 0
		.amdhsa_user_sgpr_kernarg_segment_ptr 1
		.amdhsa_user_sgpr_dispatch_id 0
		.amdhsa_user_sgpr_flat_scratch_init 0
		.amdhsa_user_sgpr_kernarg_preload_length 0
		.amdhsa_user_sgpr_kernarg_preload_offset 0
		.amdhsa_user_sgpr_private_segment_size 0
		.amdhsa_uses_dynamic_stack 0
		.amdhsa_system_sgpr_private_segment_wavefront_offset 0
		.amdhsa_system_sgpr_workgroup_id_x 1
		.amdhsa_system_sgpr_workgroup_id_y 0
		.amdhsa_system_sgpr_workgroup_id_z 0
		.amdhsa_system_sgpr_workgroup_info 0
		.amdhsa_system_vgpr_workitem_id 0
		.amdhsa_next_free_vgpr 26
		.amdhsa_next_free_sgpr 54
		.amdhsa_accum_offset 28
		.amdhsa_reserve_vcc 1
		.amdhsa_reserve_flat_scratch 0
		.amdhsa_float_round_mode_32 0
		.amdhsa_float_round_mode_16_64 0
		.amdhsa_float_denorm_mode_32 3
		.amdhsa_float_denorm_mode_16_64 3
		.amdhsa_dx10_clamp 1
		.amdhsa_ieee_mode 1
		.amdhsa_fp16_overflow 0
		.amdhsa_tg_split 0
		.amdhsa_exception_fp_ieee_invalid_op 0
		.amdhsa_exception_fp_denorm_src 0
		.amdhsa_exception_fp_ieee_div_zero 0
		.amdhsa_exception_fp_ieee_overflow 0
		.amdhsa_exception_fp_ieee_underflow 0
		.amdhsa_exception_fp_ieee_inexact 0
		.amdhsa_exception_int_div_zero 0
	.end_amdhsa_kernel
	.section	.text._ZN4vllm38concat_and_cache_mla_rope_fused_kernelIN3c104HalfES2_Lb0EthLNS_18Fp8KVCacheDataTypeE1EEEvPKlPT_S7_PKS6_PKT0_illlliPT3_S5_iiiiPKf,"axG",@progbits,_ZN4vllm38concat_and_cache_mla_rope_fused_kernelIN3c104HalfES2_Lb0EthLNS_18Fp8KVCacheDataTypeE1EEEvPKlPT_S7_PKS6_PKT0_illlliPT3_S5_iiiiPKf,comdat
.Lfunc_end81:
	.size	_ZN4vllm38concat_and_cache_mla_rope_fused_kernelIN3c104HalfES2_Lb0EthLNS_18Fp8KVCacheDataTypeE1EEEvPKlPT_S7_PKS6_PKT0_illlliPT3_S5_iiiiPKf, .Lfunc_end81-_ZN4vllm38concat_and_cache_mla_rope_fused_kernelIN3c104HalfES2_Lb0EthLNS_18Fp8KVCacheDataTypeE1EEEvPKlPT_S7_PKS6_PKT0_illlliPT3_S5_iiiiPKf
                                        ; -- End function
	.section	.AMDGPU.csdata,"",@progbits
; Kernel info:
; codeLenInByte = 3680
; NumSgprs: 58
; NumVgprs: 26
; NumAgprs: 0
; TotalNumVgprs: 26
; ScratchSize: 0
; MemoryBound: 0
; FloatMode: 240
; IeeeMode: 1
; LDSByteSize: 0 bytes/workgroup (compile time only)
; SGPRBlocks: 7
; VGPRBlocks: 3
; NumSGPRsForWavesPerEU: 58
; NumVGPRsForWavesPerEU: 26
; AccumOffset: 28
; Occupancy: 8
; WaveLimiterHint : 1
; COMPUTE_PGM_RSRC2:SCRATCH_EN: 0
; COMPUTE_PGM_RSRC2:USER_SGPR: 6
; COMPUTE_PGM_RSRC2:TRAP_HANDLER: 0
; COMPUTE_PGM_RSRC2:TGID_X_EN: 1
; COMPUTE_PGM_RSRC2:TGID_Y_EN: 0
; COMPUTE_PGM_RSRC2:TGID_Z_EN: 0
; COMPUTE_PGM_RSRC2:TIDIG_COMP_CNT: 0
; COMPUTE_PGM_RSRC3_GFX90A:ACCUM_OFFSET: 6
; COMPUTE_PGM_RSRC3_GFX90A:TG_SPLIT: 0
	.section	.text._ZN4vllm38concat_and_cache_mla_rope_fused_kernelIN3c104HalfENS1_8BFloat16ELb1EthLNS_18Fp8KVCacheDataTypeE1EEEvPKlPT_S8_PKS7_PKT0_illlliPT3_S6_iiiiPKf,"axG",@progbits,_ZN4vllm38concat_and_cache_mla_rope_fused_kernelIN3c104HalfENS1_8BFloat16ELb1EthLNS_18Fp8KVCacheDataTypeE1EEEvPKlPT_S8_PKS7_PKT0_illlliPT3_S6_iiiiPKf,comdat
	.protected	_ZN4vllm38concat_and_cache_mla_rope_fused_kernelIN3c104HalfENS1_8BFloat16ELb1EthLNS_18Fp8KVCacheDataTypeE1EEEvPKlPT_S8_PKS7_PKT0_illlliPT3_S6_iiiiPKf ; -- Begin function _ZN4vllm38concat_and_cache_mla_rope_fused_kernelIN3c104HalfENS1_8BFloat16ELb1EthLNS_18Fp8KVCacheDataTypeE1EEEvPKlPT_S8_PKS7_PKT0_illlliPT3_S6_iiiiPKf
	.globl	_ZN4vllm38concat_and_cache_mla_rope_fused_kernelIN3c104HalfENS1_8BFloat16ELb1EthLNS_18Fp8KVCacheDataTypeE1EEEvPKlPT_S8_PKS7_PKT0_illlliPT3_S6_iiiiPKf
	.p2align	8
	.type	_ZN4vllm38concat_and_cache_mla_rope_fused_kernelIN3c104HalfENS1_8BFloat16ELb1EthLNS_18Fp8KVCacheDataTypeE1EEEvPKlPT_S8_PKS7_PKT0_illlliPT3_S6_iiiiPKf,@function
_ZN4vllm38concat_and_cache_mla_rope_fused_kernelIN3c104HalfENS1_8BFloat16ELb1EthLNS_18Fp8KVCacheDataTypeE1EEEvPKlPT_S8_PKS7_PKT0_illlliPT3_S6_iiiiPKf: ; @_ZN4vllm38concat_and_cache_mla_rope_fused_kernelIN3c104HalfENS1_8BFloat16ELb1EthLNS_18Fp8KVCacheDataTypeE1EEEvPKlPT_S8_PKS7_PKT0_illlliPT3_S6_iiiiPKf
; %bb.0:
	s_load_dwordx2 s[2:3], s[4:5], 0x60
	s_mov_b32 s7, 0
	s_lshl_b64 s[0:1], s[6:7], 3
	s_waitcnt lgkmcnt(0)
	s_add_u32 s2, s2, s0
	s_addc_u32 s3, s3, s1
	s_load_dwordx2 s[26:27], s[2:3], 0x0
	s_waitcnt lgkmcnt(0)
	v_cmp_lt_i64_e64 s[2:3], s[26:27], 0
	s_and_b64 vcc, exec, s[2:3]
	s_cbranch_vccnz .LBB82_61
; %bb.1:
	s_load_dword s22, s[4:5], 0x28
	s_load_dwordx2 s[2:3], s[4:5], 0x0
	s_load_dwordx4 s[16:19], s[4:5], 0x10
	s_waitcnt lgkmcnt(0)
	s_ashr_i32 s7, s22, 31
	s_add_u32 s0, s2, s0
	s_addc_u32 s1, s3, s1
	s_load_dwordx2 s[20:21], s[0:1], 0x0
	s_load_dwordx2 s[28:29], s[4:5], 0x20
	s_load_dwordx8 s[8:15], s[4:5], 0x30
	s_load_dwordx2 s[2:3], s[4:5], 0x58
	s_load_dword s23, s[4:5], 0x50
	s_waitcnt lgkmcnt(0)
	s_mul_i32 s0, s20, s7
	s_mul_hi_u32 s1, s20, s22
	s_mul_i32 s7, s21, s22
	s_add_i32 s0, s1, s0
	s_add_i32 s1, s0, s7
	s_mul_i32 s0, s20, s22
	s_lshl_b64 s[30:31], s[0:1], 1
	s_add_u32 s7, s28, s30
	s_addc_u32 s33, s29, s31
	s_lshr_b32 s0, s22, 31
	s_add_i32 s22, s22, s0
	s_ashr_i32 s20, s22, 1
	s_mul_i32 s24, s20, s23
	v_cmp_gt_i32_e32 vcc, s24, v0
	s_and_saveexec_b64 s[0:1], vcc
	s_cbranch_execz .LBB82_4
; %bb.2:
	s_load_dwordx2 s[22:23], s[4:5], 0x8
	s_load_dword s35, s[4:5], 0x8c
	s_mul_i32 s9, s6, s9
	s_mul_hi_u32 s25, s6, s8
	s_add_i32 s9, s25, s9
	s_mul_i32 s8, s6, s8
	s_ashr_i32 s21, s20, 31
	s_lshl_b64 s[8:9], s[8:9], 1
	s_waitcnt lgkmcnt(0)
	s_add_u32 s25, s22, s8
	s_addc_u32 s37, s23, s9
	s_abs_i32 s34, s20
	v_cvt_f32_u32_e32 v1, s34
	s_sub_i32 s22, 0, s34
	s_mov_b64 s[8:9], 0
	s_and_b32 s35, s35, 0xffff
	v_rcp_iflag_f32_e32 v2, v1
	v_mov_b32_e32 v1, s33
	s_sub_i32 s36, 0, s20
	v_mov_b32_e32 v5, s37
	v_mul_f32_e32 v2, 0x4f7ffffe, v2
	v_cvt_u32_f32_e32 v2, v2
	v_mul_lo_u32 v3, s22, v2
	v_mul_hi_u32 v3, v2, v3
	s_lshl_b64 s[22:23], s[20:21], 1
	v_add_u32_e32 v3, v2, v3
	v_mov_b32_e32 v4, s23
	v_mov_b32_e32 v2, v0
.LBB82_3:                               ; =>This Inner Loop Header: Depth=1
	v_sub_u32_e32 v7, 0, v2
	v_max_i32_e32 v7, v2, v7
	v_mul_hi_u32 v8, v7, v3
	v_mul_lo_u32 v9, v8, s34
	v_sub_u32_e32 v7, v7, v9
	v_add_u32_e32 v10, 1, v8
	v_cmp_le_u32_e32 vcc, s34, v7
	v_subrev_u32_e32 v9, s34, v7
	v_cndmask_b32_e32 v8, v8, v10, vcc
	v_cndmask_b32_e32 v7, v7, v9, vcc
	v_ashrrev_i32_e32 v6, 31, v2
	v_add_u32_e32 v9, 1, v8
	v_cmp_le_u32_e32 vcc, s34, v7
	v_xor_b32_e32 v6, s21, v6
	v_cndmask_b32_e32 v7, v8, v9, vcc
	v_xor_b32_e32 v7, v7, v6
	v_sub_u32_e32 v8, v7, v6
	v_mad_u64_u32 v[6:7], s[38:39], s36, v8, v[2:3]
	v_ashrrev_i32_e32 v10, 31, v8
	v_ashrrev_i32_e32 v7, 31, v6
	v_mul_lo_u32 v11, v8, s11
	v_mad_u64_u32 v[8:9], s[38:39], v8, s10, 0
	v_mul_lo_u32 v10, v10, s10
	v_lshlrev_b64 v[6:7], 1, v[6:7]
	v_add3_u32 v9, v9, v11, v10
	v_add_co_u32_e32 v10, vcc, s7, v6
	v_addc_co_u32_e32 v11, vcc, v1, v7, vcc
	v_add_co_u32_e32 v12, vcc, s22, v10
	v_lshlrev_b64 v[8:9], 1, v[8:9]
	v_addc_co_u32_e32 v13, vcc, v11, v4, vcc
	v_add_co_u32_e32 v8, vcc, s25, v8
	global_load_ushort v14, v[10:11], off
	global_load_ushort v15, v[12:13], off
	v_addc_co_u32_e32 v9, vcc, v5, v9, vcc
	v_add_co_u32_e32 v6, vcc, v8, v6
	v_addc_co_u32_e32 v7, vcc, v9, v7, vcc
	v_add_co_u32_e32 v8, vcc, s22, v6
	v_addc_co_u32_e32 v9, vcc, v7, v4, vcc
	global_load_ushort v10, v[6:7], off
	global_load_ushort v11, v[8:9], off
	v_add_u32_e32 v2, s35, v2
	v_cmp_le_i32_e32 vcc, s24, v2
	s_or_b64 s[8:9], vcc, s[8:9]
	s_waitcnt vmcnt(3)
	v_lshlrev_b32_e32 v12, 16, v14
	s_waitcnt vmcnt(2)
	v_lshlrev_b32_e32 v13, 16, v15
	v_cvt_f16_f32_e32 v13, v13
	v_cvt_f16_f32_e32 v12, v12
	s_waitcnt vmcnt(0)
	v_mul_f16_e32 v14, v11, v13
	v_mul_f16_e32 v13, v10, v13
	v_fma_f16 v10, v10, v12, -v14
	v_fma_f16 v11, v11, v12, v13
	global_store_short v[6:7], v10, off
	global_store_short v[8:9], v11, off
	s_andn2_b64 exec, exec, s[8:9]
	s_cbranch_execnz .LBB82_3
.LBB82_4:
	s_or_b64 exec, exec, s[0:1]
	s_load_dwordx4 s[8:11], s[4:5], 0x68
	s_waitcnt lgkmcnt(0)
	s_ashr_i32 s35, s11, 31
	s_mov_b32 s34, s11
	s_or_b64 s[0:1], s[26:27], s[34:35]
	s_mov_b32 s0, 0
	s_cmp_lg_u64 s[0:1], 0
	s_cbranch_scc0 .LBB82_62
; %bb.5:
	s_add_u32 s0, s34, s35
	s_mov_b32 s22, s35
	s_mov_b32 s23, s35
	s_addc_u32 s1, s35, s35
	s_xor_b64 s[36:37], s[0:1], s[22:23]
	v_cvt_f32_u32_e32 v1, s36
	v_cvt_f32_u32_e32 v2, s37
	s_sub_u32 s0, 0, s36
	s_subb_u32 s1, 0, s37
	v_madmk_f32 v1, v2, 0x4f800000, v1
	v_rcp_f32_e32 v1, v1
	v_mul_f32_e32 v1, 0x5f7ffffc, v1
	v_mul_f32_e32 v2, 0x2f800000, v1
	v_trunc_f32_e32 v2, v2
	v_madmk_f32 v1, v2, 0xcf800000, v1
	v_cvt_u32_f32_e32 v2, v2
	v_cvt_u32_f32_e32 v1, v1
	v_readfirstlane_b32 s11, v2
	v_readfirstlane_b32 s21, v1
	s_mul_i32 s38, s0, s11
	s_mul_hi_u32 s40, s0, s21
	s_mul_i32 s39, s1, s21
	s_add_i32 s38, s40, s38
	s_add_i32 s38, s38, s39
	s_mul_i32 s41, s0, s21
	s_mul_hi_u32 s39, s21, s38
	s_mul_i32 s40, s21, s38
	s_mul_hi_u32 s21, s21, s41
	s_add_u32 s21, s21, s40
	s_addc_u32 s39, 0, s39
	s_mul_hi_u32 s42, s11, s41
	s_mul_i32 s41, s11, s41
	s_add_u32 s21, s21, s41
	s_mul_hi_u32 s40, s11, s38
	s_addc_u32 s21, s39, s42
	s_addc_u32 s39, s40, 0
	s_mul_i32 s38, s11, s38
	s_add_u32 s21, s21, s38
	s_addc_u32 s38, 0, s39
	v_add_co_u32_e32 v1, vcc, s21, v1
	s_cmp_lg_u64 vcc, 0
	s_addc_u32 s11, s11, s38
	v_readfirstlane_b32 s38, v1
	s_mul_i32 s21, s0, s11
	s_mul_hi_u32 s39, s0, s38
	s_add_i32 s21, s39, s21
	s_mul_i32 s1, s1, s38
	s_add_i32 s21, s21, s1
	s_mul_i32 s0, s0, s38
	s_mul_hi_u32 s39, s11, s0
	s_mul_i32 s40, s11, s0
	s_mul_i32 s42, s38, s21
	s_mul_hi_u32 s0, s38, s0
	s_mul_hi_u32 s41, s38, s21
	s_add_u32 s0, s0, s42
	s_addc_u32 s38, 0, s41
	s_add_u32 s0, s0, s40
	s_mul_hi_u32 s1, s11, s21
	s_addc_u32 s0, s38, s39
	s_addc_u32 s1, s1, 0
	s_mul_i32 s21, s11, s21
	s_add_u32 s0, s0, s21
	s_addc_u32 s1, 0, s1
	v_add_co_u32_e32 v1, vcc, s0, v1
	s_cmp_lg_u64 vcc, 0
	s_addc_u32 s11, s11, s1
	s_ashr_i32 s38, s27, 31
	s_add_u32 s0, s26, s38
	s_mov_b32 s39, s38
	s_addc_u32 s1, s27, s38
	s_xor_b64 s[40:41], s[0:1], s[38:39]
	v_readfirstlane_b32 s21, v1
	s_mul_i32 s1, s40, s11
	s_mul_hi_u32 s42, s40, s21
	s_mul_hi_u32 s0, s40, s11
	s_add_u32 s1, s42, s1
	s_addc_u32 s0, 0, s0
	s_mul_hi_u32 s43, s41, s21
	s_mul_i32 s21, s41, s21
	s_add_u32 s1, s1, s21
	s_mul_hi_u32 s42, s41, s11
	s_addc_u32 s0, s0, s43
	s_addc_u32 s1, s42, 0
	s_mul_i32 s11, s41, s11
	s_add_u32 s11, s0, s11
	s_addc_u32 s21, 0, s1
	s_mul_i32 s0, s36, s21
	s_mul_hi_u32 s1, s36, s11
	s_add_i32 s0, s1, s0
	s_mul_i32 s1, s37, s11
	s_add_i32 s42, s0, s1
	s_mul_i32 s1, s36, s11
	v_mov_b32_e32 v1, s1
	s_sub_i32 s0, s41, s42
	v_sub_co_u32_e32 v1, vcc, s40, v1
	s_cmp_lg_u64 vcc, 0
	s_subb_u32 s40, s0, s37
	v_subrev_co_u32_e64 v2, s[0:1], s36, v1
	s_cmp_lg_u64 s[0:1], 0
	s_subb_u32 s0, s40, 0
	s_cmp_ge_u32 s0, s37
	v_readfirstlane_b32 s40, v2
	s_cselect_b32 s1, -1, 0
	s_cmp_ge_u32 s40, s36
	s_cselect_b32 s40, -1, 0
	s_cmp_eq_u32 s0, s37
	s_cselect_b32 s0, s40, s1
	s_add_u32 s1, s11, 1
	s_addc_u32 s40, s21, 0
	s_add_u32 s43, s11, 2
	s_addc_u32 s44, s21, 0
	s_cmp_lg_u32 s0, 0
	s_cselect_b32 s0, s43, s1
	s_cselect_b32 s1, s44, s40
	s_cmp_lg_u64 vcc, 0
	s_subb_u32 s40, s41, s42
	s_cmp_ge_u32 s40, s37
	v_readfirstlane_b32 s42, v1
	s_cselect_b32 s41, -1, 0
	s_cmp_ge_u32 s42, s36
	s_cselect_b32 s36, -1, 0
	s_cmp_eq_u32 s40, s37
	s_cselect_b32 s36, s36, s41
	s_cmp_lg_u32 s36, 0
	s_cselect_b32 s1, s1, s21
	s_cselect_b32 s0, s0, s11
	s_xor_b64 s[22:23], s[38:39], s[22:23]
	s_xor_b64 s[0:1], s[0:1], s[22:23]
	s_sub_u32 s22, s0, s22
	s_subb_u32 s23, s1, s23
	s_cbranch_execnz .LBB82_7
.LBB82_6:
	v_cvt_f32_u32_e32 v1, s34
	s_sub_i32 s0, 0, s34
	s_mov_b32 s23, 0
	v_rcp_iflag_f32_e32 v1, v1
	v_mul_f32_e32 v1, 0x4f7ffffe, v1
	v_cvt_u32_f32_e32 v1, v1
	v_readfirstlane_b32 s1, v1
	s_mul_i32 s0, s0, s1
	s_mul_hi_u32 s0, s1, s0
	s_add_i32 s1, s1, s0
	s_mul_hi_u32 s0, s26, s1
	s_mul_i32 s11, s0, s34
	s_sub_i32 s11, s26, s11
	s_add_i32 s1, s0, 1
	s_sub_i32 s21, s11, s34
	s_cmp_ge_u32 s11, s34
	s_cselect_b32 s0, s1, s0
	s_cselect_b32 s11, s21, s11
	s_add_i32 s1, s0, 1
	s_cmp_ge_u32 s11, s34
	s_cselect_b32 s22, s1, s0
.LBB82_7:
	s_mul_i32 s0, s22, s35
	s_mul_hi_u32 s1, s22, s34
	s_load_dwordx2 s[24:25], s[4:5], 0x78
	s_add_i32 s0, s1, s0
	s_mul_i32 s1, s23, s34
	s_add_i32 s0, s0, s1
	s_mul_i32 s1, s22, s34
	s_sub_u32 s11, s26, s1
	s_subb_u32 s0, s27, s0
	v_cmp_gt_i32_e32 vcc, s20, v0
	s_mul_hi_u32 s42, s22, s8
	s_mul_i32 s43, s23, s8
	s_mul_i32 s44, s22, s8
	s_mul_hi_u32 s41, s11, s9
	s_mul_i32 s23, s0, s9
	s_mul_i32 s40, s11, s9
	s_and_saveexec_b64 s[26:27], vcc
	s_cbranch_execz .LBB82_42
; %bb.8:
	s_mul_i32 s0, s6, s13
	s_mul_hi_u32 s1, s6, s12
	s_add_i32 s1, s1, s0
	s_mul_i32 s0, s6, s12
	s_ashr_i32 s21, s20, 31
	s_lshl_b64 s[0:1], s[0:1], 1
	s_add_u32 s45, s16, s0
	s_addc_u32 s46, s17, s1
	s_ashr_i32 s12, s8, 31
	s_load_dword s13, s[4:5], 0x8c
	s_mul_i32 s12, s22, s12
	s_add_i32 s12, s42, s12
	s_add_i32 s34, s12, s43
	s_ashr_i32 s12, s9, 31
	s_mul_i32 s12, s11, s12
	s_add_i32 s12, s41, s12
	s_waitcnt lgkmcnt(0)
	s_and_b32 s48, s13, 0xffff
	s_add_i32 s35, s12, s23
	s_ashr_i32 s36, s10, 31
	s_lshl_b32 s50, s48, 1
	s_lshl_b64 s[12:13], s[20:21], 1
	s_add_u32 s30, s30, s12
	s_addc_u32 s31, s31, s13
	s_add_u32 s51, s28, s30
	s_addc_u32 s52, s29, s31
	;; [unrolled: 2-line block ×5, first 2 shown]
	s_add_u32 s0, s0, s10
	s_load_dword s47, s[24:25], 0x0
	s_addc_u32 s1, s1, s36
	s_add_u32 s0, s2, s0
	s_addc_u32 s1, s3, s1
	v_mov_b32_e32 v1, s1
	v_add_co_u32_e32 v6, vcc, s0, v0
	s_mov_b32 s49, 0
	v_mov_b32_e32 v3, 0
	v_lshlrev_b32_e32 v4, 1, v0
	v_addc_co_u32_e32 v7, vcc, 0, v1, vcc
	s_mov_b64 s[12:13], 0
	s_movk_i32 s55, 0x80
	s_mov_b64 s[16:17], 0x7f800000
	s_mov_b64 s[28:29], 0x43e00001
	s_movk_i32 s56, 0x7a
	s_mov_b64 s[30:31], 0xffffff
	s_movk_i32 s57, 0x7f
	v_mov_b32_e32 v1, 0xffffff82
	v_mov_b32_e32 v5, 0x78
	;; [unrolled: 1-line block ×3, first 2 shown]
	s_branch .LBB82_10
.LBB82_9:                               ;   in Loop: Header=BB82_10 Depth=1
	s_or_b64 exec, exec, s[0:1]
	s_add_u32 s7, s7, s50
	s_addc_u32 s33, s33, 0
	s_add_u32 s51, s51, s50
	s_addc_u32 s52, s52, 0
	s_add_u32 s53, s53, s50
	v_mov_b32_e32 v2, s21
	v_add_co_u32_e32 v12, vcc, s20, v6
	s_addc_u32 s54, s54, 0
	v_addc_co_u32_e32 v13, vcc, v7, v2, vcc
	v_add_u32_e32 v10, s48, v10
	s_add_u32 s45, s45, s50
	s_addc_u32 s46, s46, 0
	v_cmp_le_i32_e32 vcc, s20, v10
	v_mov_b32_e32 v2, s49
	s_or_b64 s[12:13], vcc, s[12:13]
	v_add_co_u32_e32 v6, vcc, s48, v6
	v_addc_co_u32_e32 v7, vcc, v7, v2, vcc
	global_store_byte v[12:13], v9, off
	s_andn2_b64 exec, exec, s[12:13]
	s_cbranch_execz .LBB82_42
.LBB82_10:                              ; =>This Inner Loop Header: Depth=1
	v_mov_b32_e32 v2, s33
	v_add_co_u32_e32 v8, vcc, s7, v4
	v_addc_co_u32_e32 v9, vcc, 0, v2, vcc
	global_load_ushort v2, v[8:9], off
	v_mov_b32_e32 v9, s52
	v_add_co_u32_e32 v8, vcc, s51, v4
	v_addc_co_u32_e32 v9, vcc, 0, v9, vcc
	global_load_ushort v8, v[8:9], off
	v_mov_b32_e32 v9, s46
	v_add_co_u32_e32 v12, vcc, s45, v4
	v_addc_co_u32_e32 v13, vcc, 0, v9, vcc
	v_mov_b32_e32 v9, s54
	v_add_co_u32_e32 v14, vcc, s53, v4
	v_addc_co_u32_e32 v15, vcc, 0, v9, vcc
	global_load_ushort v9, v[14:15], off
	global_load_ushort v11, v[12:13], off
	s_waitcnt vmcnt(3)
	v_lshlrev_b32_e32 v2, 16, v2
	v_cvt_f16_f32_e32 v2, v2
	s_waitcnt vmcnt(2)
	v_lshlrev_b32_e32 v8, 16, v8
	v_cvt_f16_f32_e32 v8, v8
	s_waitcnt vmcnt(1)
	v_mul_f16_e32 v16, v9, v8
	s_waitcnt vmcnt(0)
	v_fma_f16 v16, v11, v2, -v16
	v_cvt_f32_f16_e32 v17, v16
	v_mul_f16_e32 v11, v11, v8
	v_fma_f16 v11, v9, v2, v11
	global_store_short v[12:13], v16, off
	global_store_short v[14:15], v11, off
	s_waitcnt lgkmcnt(0)
	v_div_scale_f32 v18, s[0:1], s47, s47, v17
	v_rcp_f32_e32 v19, v18
	v_div_scale_f32 v20, vcc, v17, s47, v17
	v_fma_f32 v21, -v18, v19, 1.0
	v_fmac_f32_e32 v19, v21, v19
	v_mul_f32_e32 v21, v20, v19
	v_fma_f32 v22, -v18, v21, v20
	v_fmac_f32_e32 v21, v22, v19
	v_fma_f32 v18, -v18, v21, v20
	v_div_fmas_f32 v18, v18, v19, v21
	v_div_fixup_f32 v17, v18, s47, v17
	v_cvt_f16_f32_e32 v18, v17
	v_mov_b32_e32 v17, v3
	v_cvt_f32_f16_e32 v8, v18
	v_and_b32_sdwa v12, v8, s55 dst_sel:DWORD dst_unused:UNUSED_PAD src0_sel:BYTE_3 src1_sel:DWORD
	v_and_b32_e32 v16, 0x7f800000, v8
	v_and_b32_e32 v2, 0x7fffff, v8
	v_or_b32_e32 v9, 0x7e, v12
	v_cmp_ne_u64_e32 vcc, s[16:17], v[16:17]
	s_and_saveexec_b64 s[0:1], vcc
	s_xor_b64 s[34:35], exec, s[0:1]
	s_cbranch_execz .LBB82_24
; %bb.11:                               ;   in Loop: Header=BB82_10 Depth=1
	v_and_b32_e32 v14, 0x7fffffff, v8
	v_mov_b32_e32 v15, v3
	v_cmp_gt_u64_e32 vcc, s[28:29], v[14:15]
	s_and_saveexec_b64 s[0:1], vcc
	s_xor_b64 s[36:37], exec, s[0:1]
	s_cbranch_execz .LBB82_23
; %bb.12:                               ;   in Loop: Header=BB82_10 Depth=1
	v_cmp_ne_u32_e32 vcc, 0, v8
	v_mov_b32_e32 v9, 0
	s_and_saveexec_b64 s[38:39], vcc
	s_cbranch_execz .LBB82_22
; %bb.13:                               ;   in Loop: Header=BB82_10 Depth=1
	v_bfe_u32 v8, v8, 23, 8
	v_sub_u32_e32 v13, 0x79, v8
	v_cmp_gt_u32_e32 vcc, s56, v8
	v_cndmask_b32_e32 v13, 0, v13, vcc
	v_cmp_eq_u32_e32 vcc, 0, v8
	v_cndmask_b32_e32 v13, v13, v5, vcc
	v_add_u32_e32 v9, 0xffffff81, v8
	v_or_b32_e32 v14, 0x800000, v2
	v_add_u32_e32 v8, 20, v13
	v_cndmask_b32_e32 v15, v9, v1, vcc
	v_cndmask_b32_e32 v2, v14, v2, vcc
	v_lshlrev_b64 v[8:9], v8, -1
	v_not_b32_e32 v8, v8
	v_lshrrev_b64 v[18:19], v13, v[2:3]
	v_not_b32_e32 v9, v9
	v_and_b32_e32 v8, v2, v8
	v_add_u32_e32 v14, 19, v13
	v_lshrrev_b32_e32 v2, 23, v18
	v_and_b32_e32 v9, 0, v9
	v_lshlrev_b64 v[16:17], v14, 1
	v_add3_u32 v14, v13, v15, v2
	v_bfe_u32 v2, v18, 20, 1
	v_add_u32_e32 v2, -1, v2
	v_cmp_eq_u64_e32 vcc, v[8:9], v[16:17]
	v_cndmask_b32_e32 v2, 0, v2, vcc
	v_add_u32_e32 v2, v2, v18
	v_and_b32_e32 v2, 0xfffff, v2
	v_add_co_u32_e32 v8, vcc, v2, v18
	v_add_u32_e32 v13, 6, v14
	v_addc_co_u32_e32 v9, vcc, 0, v19, vcc
	v_cmp_ne_u32_e32 vcc, 0, v13
                                        ; implicit-def: $vgpr2
	s_and_saveexec_b64 s[0:1], vcc
	s_xor_b64 s[0:1], exec, s[0:1]
; %bb.14:                               ;   in Loop: Header=BB82_10 Depth=1
	v_add_u32_e32 v2, 7, v14
	v_cmp_lt_u64_e32 vcc, s[30:31], v[8:9]
	v_cndmask_b32_e32 v2, v13, v2, vcc
	v_cndmask_b32_e64 v13, 0, 1, vcc
	v_lshrrev_b64 v[8:9], v13, v[8:9]
; %bb.15:                               ;   in Loop: Header=BB82_10 Depth=1
	s_andn2_saveexec_b64 s[0:1], s[0:1]
; %bb.16:                               ;   in Loop: Header=BB82_10 Depth=1
	v_bfe_u32 v2, v8, 23, 1
; %bb.17:                               ;   in Loop: Header=BB82_10 Depth=1
	s_or_b64 exec, exec, s[0:1]
	v_lshrrev_b64 v[8:9], 20, v[8:9]
	v_cmp_gt_i32_e32 vcc, 16, v2
	v_cndmask_b32_e32 v9, 0, v9, vcc
	v_cndmask_b32_e32 v8, 7, v8, vcc
	v_cmp_ne_u32_e32 vcc, 0, v2
	v_cmp_ne_u64_e64 s[0:1], 0, v[8:9]
	s_or_b64 s[0:1], vcc, s[0:1]
                                        ; implicit-def: $vgpr9
	s_and_saveexec_b64 s[58:59], s[0:1]
	s_xor_b64 s[0:1], exec, s[58:59]
; %bb.18:                               ;   in Loop: Header=BB82_10 Depth=1
	v_min_i32_e32 v2, 15, v2
	v_lshl_or_b32 v2, v2, 3, v12
	v_and_or_b32 v9, v8, 7, v2
                                        ; implicit-def: $vgpr12
; %bb.19:                               ;   in Loop: Header=BB82_10 Depth=1
	s_andn2_saveexec_b64 s[0:1], s[0:1]
; %bb.20:                               ;   in Loop: Header=BB82_10 Depth=1
	v_mov_b32_e32 v9, v12
; %bb.21:                               ;   in Loop: Header=BB82_10 Depth=1
	s_or_b64 exec, exec, s[0:1]
.LBB82_22:                              ;   in Loop: Header=BB82_10 Depth=1
	s_or_b64 exec, exec, s[38:39]
.LBB82_23:                              ;   in Loop: Header=BB82_10 Depth=1
	s_andn2_saveexec_b64 s[0:1], s[36:37]
	s_or_b64 exec, exec, s[0:1]
                                        ; implicit-def: $vgpr8
.LBB82_24:                              ;   in Loop: Header=BB82_10 Depth=1
	s_andn2_saveexec_b64 s[0:1], s[34:35]
; %bb.25:                               ;   in Loop: Header=BB82_10 Depth=1
	v_or_b32_sdwa v8, v8, s57 dst_sel:DWORD dst_unused:UNUSED_PAD src0_sel:BYTE_3 src1_sel:DWORD
	v_cmp_eq_u64_e32 vcc, 0, v[2:3]
	v_cndmask_b32_e32 v9, v8, v9, vcc
; %bb.26:                               ;   in Loop: Header=BB82_10 Depth=1
	s_or_b64 exec, exec, s[0:1]
	v_cvt_f32_f16_e32 v2, v11
	global_store_byte v[6:7], v9, off
	v_div_scale_f32 v8, s[0:1], s47, s47, v2
	v_rcp_f32_e32 v11, v8
	v_div_scale_f32 v12, vcc, v2, s47, v2
	v_fma_f32 v13, -v8, v11, 1.0
	v_fmac_f32_e32 v11, v13, v11
	v_mul_f32_e32 v13, v12, v11
	v_fma_f32 v14, -v8, v13, v12
	v_fmac_f32_e32 v13, v14, v11
	v_fma_f32 v8, -v8, v13, v12
	v_div_fmas_f32 v8, v8, v11, v13
	v_div_fixup_f32 v2, v8, s47, v2
	v_cvt_f16_f32_e32 v2, v2
	v_mov_b32_e32 v13, v3
	v_cvt_f32_f16_e32 v8, v2
	v_and_b32_sdwa v11, v8, s55 dst_sel:DWORD dst_unused:UNUSED_PAD src0_sel:BYTE_3 src1_sel:DWORD
	v_and_b32_e32 v12, 0x7f800000, v8
	v_and_b32_e32 v2, 0x7fffff, v8
	v_or_b32_e32 v9, 0x7e, v11
	v_cmp_ne_u64_e32 vcc, s[16:17], v[12:13]
	s_and_saveexec_b64 s[0:1], vcc
	s_xor_b64 s[34:35], exec, s[0:1]
	s_cbranch_execz .LBB82_40
; %bb.27:                               ;   in Loop: Header=BB82_10 Depth=1
	v_and_b32_e32 v12, 0x7fffffff, v8
	v_mov_b32_e32 v13, v3
	v_cmp_gt_u64_e32 vcc, s[28:29], v[12:13]
	s_and_saveexec_b64 s[0:1], vcc
	s_xor_b64 s[36:37], exec, s[0:1]
	s_cbranch_execz .LBB82_39
; %bb.28:                               ;   in Loop: Header=BB82_10 Depth=1
	v_cmp_ne_u32_e32 vcc, 0, v8
	v_mov_b32_e32 v9, 0
	s_and_saveexec_b64 s[38:39], vcc
	s_cbranch_execz .LBB82_38
; %bb.29:                               ;   in Loop: Header=BB82_10 Depth=1
	v_bfe_u32 v8, v8, 23, 8
	v_sub_u32_e32 v12, 0x79, v8
	v_cmp_gt_u32_e32 vcc, s56, v8
	v_cndmask_b32_e32 v12, 0, v12, vcc
	v_cmp_eq_u32_e32 vcc, 0, v8
	v_cndmask_b32_e32 v12, v12, v5, vcc
	v_add_u32_e32 v9, 0xffffff81, v8
	v_or_b32_e32 v13, 0x800000, v2
	v_add_u32_e32 v8, 20, v12
	v_cndmask_b32_e32 v18, v9, v1, vcc
	v_cndmask_b32_e32 v2, v13, v2, vcc
	v_lshlrev_b64 v[8:9], v8, -1
	v_not_b32_e32 v8, v8
	v_lshrrev_b64 v[16:17], v12, v[2:3]
	v_not_b32_e32 v9, v9
	v_and_b32_e32 v8, v2, v8
	v_add_u32_e32 v13, 19, v12
	v_lshrrev_b32_e32 v2, 23, v16
	v_and_b32_e32 v9, 0, v9
	v_lshlrev_b64 v[14:15], v13, 1
	v_add3_u32 v13, v12, v18, v2
	v_bfe_u32 v2, v16, 20, 1
	v_add_u32_e32 v2, -1, v2
	v_cmp_eq_u64_e32 vcc, v[8:9], v[14:15]
	v_cndmask_b32_e32 v2, 0, v2, vcc
	v_add_u32_e32 v2, v2, v16
	v_and_b32_e32 v2, 0xfffff, v2
	v_add_co_u32_e32 v8, vcc, v2, v16
	v_add_u32_e32 v12, 6, v13
	v_addc_co_u32_e32 v9, vcc, 0, v17, vcc
	v_cmp_ne_u32_e32 vcc, 0, v12
                                        ; implicit-def: $vgpr2
	s_and_saveexec_b64 s[0:1], vcc
	s_xor_b64 s[0:1], exec, s[0:1]
; %bb.30:                               ;   in Loop: Header=BB82_10 Depth=1
	v_add_u32_e32 v2, 7, v13
	v_cmp_lt_u64_e32 vcc, s[30:31], v[8:9]
	v_cndmask_b32_e32 v2, v12, v2, vcc
	v_cndmask_b32_e64 v12, 0, 1, vcc
	v_lshrrev_b64 v[8:9], v12, v[8:9]
; %bb.31:                               ;   in Loop: Header=BB82_10 Depth=1
	s_andn2_saveexec_b64 s[0:1], s[0:1]
; %bb.32:                               ;   in Loop: Header=BB82_10 Depth=1
	v_bfe_u32 v2, v8, 23, 1
; %bb.33:                               ;   in Loop: Header=BB82_10 Depth=1
	s_or_b64 exec, exec, s[0:1]
	v_lshrrev_b64 v[8:9], 20, v[8:9]
	v_cmp_gt_i32_e32 vcc, 16, v2
	v_cndmask_b32_e32 v9, 0, v9, vcc
	v_cndmask_b32_e32 v8, 7, v8, vcc
	v_cmp_ne_u32_e32 vcc, 0, v2
	v_cmp_ne_u64_e64 s[0:1], 0, v[8:9]
	s_or_b64 s[0:1], vcc, s[0:1]
                                        ; implicit-def: $vgpr9
	s_and_saveexec_b64 s[58:59], s[0:1]
	s_xor_b64 s[0:1], exec, s[58:59]
; %bb.34:                               ;   in Loop: Header=BB82_10 Depth=1
	v_min_i32_e32 v2, 15, v2
	v_lshl_or_b32 v2, v2, 3, v11
	v_and_or_b32 v9, v8, 7, v2
                                        ; implicit-def: $vgpr11
; %bb.35:                               ;   in Loop: Header=BB82_10 Depth=1
	s_andn2_saveexec_b64 s[0:1], s[0:1]
; %bb.36:                               ;   in Loop: Header=BB82_10 Depth=1
	v_mov_b32_e32 v9, v11
; %bb.37:                               ;   in Loop: Header=BB82_10 Depth=1
	s_or_b64 exec, exec, s[0:1]
.LBB82_38:                              ;   in Loop: Header=BB82_10 Depth=1
	s_or_b64 exec, exec, s[38:39]
.LBB82_39:                              ;   in Loop: Header=BB82_10 Depth=1
	s_andn2_saveexec_b64 s[0:1], s[36:37]
	s_or_b64 exec, exec, s[0:1]
                                        ; implicit-def: $vgpr8
.LBB82_40:                              ;   in Loop: Header=BB82_10 Depth=1
	s_andn2_saveexec_b64 s[0:1], s[34:35]
	s_cbranch_execz .LBB82_9
; %bb.41:                               ;   in Loop: Header=BB82_10 Depth=1
	v_or_b32_sdwa v8, v8, s57 dst_sel:DWORD dst_unused:UNUSED_PAD src0_sel:BYTE_3 src1_sel:DWORD
	v_cmp_eq_u64_e32 vcc, 0, v[2:3]
	v_cndmask_b32_e32 v9, v8, v9, vcc
	s_branch .LBB82_9
.LBB82_42:
	s_or_b64 exec, exec, s[26:27]
	v_cmp_gt_i32_e32 vcc, s10, v0
	s_and_saveexec_b64 s[0:1], vcc
	s_cbranch_execz .LBB82_61
; %bb.43:
	s_mul_i32 s0, s6, s15
	s_mul_hi_u32 s1, s6, s14
	s_add_i32 s1, s1, s0
	s_mul_i32 s0, s6, s14
	s_lshl_b64 s[0:1], s[0:1], 1
	s_add_u32 s18, s18, s0
	s_addc_u32 s0, s19, s1
	s_ashr_i32 s1, s8, 31
	s_mul_i32 s1, s22, s1
	s_add_i32 s1, s42, s1
	s_add_i32 s1, s1, s43
	s_add_u32 s2, s2, s44
	s_addc_u32 s1, s3, s1
	s_ashr_i32 s3, s9, 31
	s_load_dword s4, s[4:5], 0x8c
	s_mul_i32 s11, s11, s3
	s_waitcnt lgkmcnt(0)
	s_load_dword s20, s[24:25], 0x0
	s_add_i32 s3, s41, s11
	s_add_i32 s3, s3, s23
	s_add_u32 s11, s2, s40
	s_addc_u32 s19, s1, s3
	s_and_b32 s21, s4, 0xffff
	s_mov_b64 s[2:3], 0
	v_mov_b32_e32 v6, s0
	v_mov_b32_e32 v3, 0
	s_movk_i32 s22, 0x80
	s_mov_b64 s[4:5], 0x7f800000
	s_mov_b64 s[6:7], 0x43e00001
	s_movk_i32 s23, 0x7a
	s_mov_b64 s[8:9], 0xffffff
	s_movk_i32 s24, 0x7f
	v_mov_b32_e32 v7, 0xffffff82
	v_mov_b32_e32 v8, 0x78
	s_branch .LBB82_45
.LBB82_44:                              ;   in Loop: Header=BB82_45 Depth=1
	s_or_b64 exec, exec, s[0:1]
	v_mov_b32_e32 v2, s19
	v_add_co_u32_e32 v10, vcc, s11, v0
	v_addc_co_u32_e32 v11, vcc, v2, v1, vcc
	v_add_u32_e32 v0, s21, v0
	v_cmp_le_i32_e32 vcc, s10, v0
	s_or_b64 s[2:3], vcc, s[2:3]
	global_store_byte v[10:11], v5, off
	s_andn2_b64 exec, exec, s[2:3]
	s_cbranch_execz .LBB82_61
.LBB82_45:                              ; =>This Inner Loop Header: Depth=1
	v_ashrrev_i32_e32 v1, 31, v0
	v_lshlrev_b64 v[4:5], 1, v[0:1]
	v_add_co_u32_e32 v4, vcc, s18, v4
	v_addc_co_u32_e32 v5, vcc, v6, v5, vcc
	global_load_ushort v2, v[4:5], off
	s_waitcnt vmcnt(0)
	v_cvt_f32_f16_e32 v2, v2
	s_waitcnt lgkmcnt(0)
	v_div_scale_f32 v4, s[0:1], s20, s20, v2
	v_rcp_f32_e32 v5, v4
	v_div_scale_f32 v9, vcc, v2, s20, v2
	v_fma_f32 v10, -v4, v5, 1.0
	v_fmac_f32_e32 v5, v10, v5
	v_mul_f32_e32 v10, v9, v5
	v_fma_f32 v11, -v4, v10, v9
	v_fmac_f32_e32 v10, v11, v5
	v_fma_f32 v4, -v4, v10, v9
	v_div_fmas_f32 v4, v4, v5, v10
	v_div_fixup_f32 v2, v4, s20, v2
	v_cvt_f16_f32_e32 v2, v2
	v_mov_b32_e32 v11, v3
	v_cvt_f32_f16_e32 v4, v2
	v_and_b32_sdwa v9, v4, s22 dst_sel:DWORD dst_unused:UNUSED_PAD src0_sel:BYTE_3 src1_sel:DWORD
	v_and_b32_e32 v10, 0x7f800000, v4
	v_and_b32_e32 v2, 0x7fffff, v4
	v_or_b32_e32 v5, 0x7e, v9
	v_cmp_ne_u64_e32 vcc, s[4:5], v[10:11]
	s_and_saveexec_b64 s[0:1], vcc
	s_xor_b64 s[12:13], exec, s[0:1]
	s_cbranch_execz .LBB82_59
; %bb.46:                               ;   in Loop: Header=BB82_45 Depth=1
	v_and_b32_e32 v10, 0x7fffffff, v4
	v_mov_b32_e32 v11, v3
	v_cmp_gt_u64_e32 vcc, s[6:7], v[10:11]
	s_and_saveexec_b64 s[0:1], vcc
	s_xor_b64 s[14:15], exec, s[0:1]
	s_cbranch_execz .LBB82_58
; %bb.47:                               ;   in Loop: Header=BB82_45 Depth=1
	v_cmp_ne_u32_e32 vcc, 0, v4
	v_mov_b32_e32 v5, 0
	s_and_saveexec_b64 s[16:17], vcc
	s_cbranch_execz .LBB82_57
; %bb.48:                               ;   in Loop: Header=BB82_45 Depth=1
	v_bfe_u32 v4, v4, 23, 8
	v_sub_u32_e32 v10, 0x79, v4
	v_cmp_gt_u32_e32 vcc, s23, v4
	v_cndmask_b32_e32 v10, 0, v10, vcc
	v_cmp_eq_u32_e32 vcc, 0, v4
	v_cndmask_b32_e32 v10, v10, v8, vcc
	v_add_u32_e32 v5, 0xffffff81, v4
	v_or_b32_e32 v11, 0x800000, v2
	v_add_u32_e32 v4, 20, v10
	v_cndmask_b32_e32 v16, v5, v7, vcc
	v_cndmask_b32_e32 v2, v11, v2, vcc
	v_lshlrev_b64 v[4:5], v4, -1
	v_not_b32_e32 v4, v4
	v_lshrrev_b64 v[14:15], v10, v[2:3]
	v_not_b32_e32 v5, v5
	v_and_b32_e32 v4, v2, v4
	v_add_u32_e32 v11, 19, v10
	v_lshrrev_b32_e32 v2, 23, v14
	v_and_b32_e32 v5, 0, v5
	v_lshlrev_b64 v[12:13], v11, 1
	v_add3_u32 v11, v10, v16, v2
	v_bfe_u32 v2, v14, 20, 1
	v_add_u32_e32 v2, -1, v2
	v_cmp_eq_u64_e32 vcc, v[4:5], v[12:13]
	v_cndmask_b32_e32 v2, 0, v2, vcc
	v_add_u32_e32 v2, v2, v14
	v_and_b32_e32 v2, 0xfffff, v2
	v_add_co_u32_e32 v4, vcc, v2, v14
	v_add_u32_e32 v10, 6, v11
	v_addc_co_u32_e32 v5, vcc, 0, v15, vcc
	v_cmp_ne_u32_e32 vcc, 0, v10
                                        ; implicit-def: $vgpr2
	s_and_saveexec_b64 s[0:1], vcc
	s_xor_b64 s[0:1], exec, s[0:1]
; %bb.49:                               ;   in Loop: Header=BB82_45 Depth=1
	v_add_u32_e32 v2, 7, v11
	v_cmp_lt_u64_e32 vcc, s[8:9], v[4:5]
	v_cndmask_b32_e32 v2, v10, v2, vcc
	v_cndmask_b32_e64 v10, 0, 1, vcc
	v_lshrrev_b64 v[4:5], v10, v[4:5]
; %bb.50:                               ;   in Loop: Header=BB82_45 Depth=1
	s_andn2_saveexec_b64 s[0:1], s[0:1]
; %bb.51:                               ;   in Loop: Header=BB82_45 Depth=1
	v_bfe_u32 v2, v4, 23, 1
; %bb.52:                               ;   in Loop: Header=BB82_45 Depth=1
	s_or_b64 exec, exec, s[0:1]
	v_lshrrev_b64 v[4:5], 20, v[4:5]
	v_cmp_gt_i32_e32 vcc, 16, v2
	v_cndmask_b32_e32 v5, 0, v5, vcc
	v_cndmask_b32_e32 v4, 7, v4, vcc
	v_cmp_ne_u32_e32 vcc, 0, v2
	v_cmp_ne_u64_e64 s[0:1], 0, v[4:5]
	s_or_b64 s[0:1], vcc, s[0:1]
                                        ; implicit-def: $vgpr5
	s_and_saveexec_b64 s[26:27], s[0:1]
	s_xor_b64 s[0:1], exec, s[26:27]
; %bb.53:                               ;   in Loop: Header=BB82_45 Depth=1
	v_min_i32_e32 v2, 15, v2
	v_lshl_or_b32 v2, v2, 3, v9
	v_and_or_b32 v5, v4, 7, v2
                                        ; implicit-def: $vgpr9
; %bb.54:                               ;   in Loop: Header=BB82_45 Depth=1
	s_andn2_saveexec_b64 s[0:1], s[0:1]
; %bb.55:                               ;   in Loop: Header=BB82_45 Depth=1
	v_mov_b32_e32 v5, v9
; %bb.56:                               ;   in Loop: Header=BB82_45 Depth=1
	s_or_b64 exec, exec, s[0:1]
.LBB82_57:                              ;   in Loop: Header=BB82_45 Depth=1
	s_or_b64 exec, exec, s[16:17]
.LBB82_58:                              ;   in Loop: Header=BB82_45 Depth=1
	s_andn2_saveexec_b64 s[0:1], s[14:15]
	s_or_b64 exec, exec, s[0:1]
                                        ; implicit-def: $vgpr4
.LBB82_59:                              ;   in Loop: Header=BB82_45 Depth=1
	s_andn2_saveexec_b64 s[0:1], s[12:13]
	s_cbranch_execz .LBB82_44
; %bb.60:                               ;   in Loop: Header=BB82_45 Depth=1
	v_or_b32_sdwa v4, v4, s24 dst_sel:DWORD dst_unused:UNUSED_PAD src0_sel:BYTE_3 src1_sel:DWORD
	v_cmp_eq_u64_e32 vcc, 0, v[2:3]
	v_cndmask_b32_e32 v5, v4, v5, vcc
	s_branch .LBB82_44
.LBB82_61:
	s_endpgm
.LBB82_62:
                                        ; implicit-def: $sgpr22_sgpr23
	s_branch .LBB82_6
	.section	.rodata,"a",@progbits
	.p2align	6, 0x0
	.amdhsa_kernel _ZN4vllm38concat_and_cache_mla_rope_fused_kernelIN3c104HalfENS1_8BFloat16ELb1EthLNS_18Fp8KVCacheDataTypeE1EEEvPKlPT_S8_PKS7_PKT0_illlliPT3_S6_iiiiPKf
		.amdhsa_group_segment_fixed_size 0
		.amdhsa_private_segment_fixed_size 0
		.amdhsa_kernarg_size 384
		.amdhsa_user_sgpr_count 6
		.amdhsa_user_sgpr_private_segment_buffer 1
		.amdhsa_user_sgpr_dispatch_ptr 0
		.amdhsa_user_sgpr_queue_ptr 0
		.amdhsa_user_sgpr_kernarg_segment_ptr 1
		.amdhsa_user_sgpr_dispatch_id 0
		.amdhsa_user_sgpr_flat_scratch_init 0
		.amdhsa_user_sgpr_kernarg_preload_length 0
		.amdhsa_user_sgpr_kernarg_preload_offset 0
		.amdhsa_user_sgpr_private_segment_size 0
		.amdhsa_uses_dynamic_stack 0
		.amdhsa_system_sgpr_private_segment_wavefront_offset 0
		.amdhsa_system_sgpr_workgroup_id_x 1
		.amdhsa_system_sgpr_workgroup_id_y 0
		.amdhsa_system_sgpr_workgroup_id_z 0
		.amdhsa_system_sgpr_workgroup_info 0
		.amdhsa_system_vgpr_workitem_id 0
		.amdhsa_next_free_vgpr 23
		.amdhsa_next_free_sgpr 60
		.amdhsa_accum_offset 24
		.amdhsa_reserve_vcc 1
		.amdhsa_reserve_flat_scratch 0
		.amdhsa_float_round_mode_32 0
		.amdhsa_float_round_mode_16_64 0
		.amdhsa_float_denorm_mode_32 3
		.amdhsa_float_denorm_mode_16_64 3
		.amdhsa_dx10_clamp 1
		.amdhsa_ieee_mode 1
		.amdhsa_fp16_overflow 0
		.amdhsa_tg_split 0
		.amdhsa_exception_fp_ieee_invalid_op 0
		.amdhsa_exception_fp_denorm_src 0
		.amdhsa_exception_fp_ieee_div_zero 0
		.amdhsa_exception_fp_ieee_overflow 0
		.amdhsa_exception_fp_ieee_underflow 0
		.amdhsa_exception_fp_ieee_inexact 0
		.amdhsa_exception_int_div_zero 0
	.end_amdhsa_kernel
	.section	.text._ZN4vllm38concat_and_cache_mla_rope_fused_kernelIN3c104HalfENS1_8BFloat16ELb1EthLNS_18Fp8KVCacheDataTypeE1EEEvPKlPT_S8_PKS7_PKT0_illlliPT3_S6_iiiiPKf,"axG",@progbits,_ZN4vllm38concat_and_cache_mla_rope_fused_kernelIN3c104HalfENS1_8BFloat16ELb1EthLNS_18Fp8KVCacheDataTypeE1EEEvPKlPT_S8_PKS7_PKT0_illlliPT3_S6_iiiiPKf,comdat
.Lfunc_end82:
	.size	_ZN4vllm38concat_and_cache_mla_rope_fused_kernelIN3c104HalfENS1_8BFloat16ELb1EthLNS_18Fp8KVCacheDataTypeE1EEEvPKlPT_S8_PKS7_PKT0_illlliPT3_S6_iiiiPKf, .Lfunc_end82-_ZN4vllm38concat_and_cache_mla_rope_fused_kernelIN3c104HalfENS1_8BFloat16ELb1EthLNS_18Fp8KVCacheDataTypeE1EEEvPKlPT_S8_PKS7_PKT0_illlliPT3_S6_iiiiPKf
                                        ; -- End function
	.section	.AMDGPU.csdata,"",@progbits
; Kernel info:
; codeLenInByte = 3704
; NumSgprs: 64
; NumVgprs: 23
; NumAgprs: 0
; TotalNumVgprs: 23
; ScratchSize: 0
; MemoryBound: 0
; FloatMode: 240
; IeeeMode: 1
; LDSByteSize: 0 bytes/workgroup (compile time only)
; SGPRBlocks: 7
; VGPRBlocks: 2
; NumSGPRsForWavesPerEU: 64
; NumVGPRsForWavesPerEU: 23
; AccumOffset: 24
; Occupancy: 8
; WaveLimiterHint : 1
; COMPUTE_PGM_RSRC2:SCRATCH_EN: 0
; COMPUTE_PGM_RSRC2:USER_SGPR: 6
; COMPUTE_PGM_RSRC2:TRAP_HANDLER: 0
; COMPUTE_PGM_RSRC2:TGID_X_EN: 1
; COMPUTE_PGM_RSRC2:TGID_Y_EN: 0
; COMPUTE_PGM_RSRC2:TGID_Z_EN: 0
; COMPUTE_PGM_RSRC2:TIDIG_COMP_CNT: 0
; COMPUTE_PGM_RSRC3_GFX90A:ACCUM_OFFSET: 5
; COMPUTE_PGM_RSRC3_GFX90A:TG_SPLIT: 0
	.section	.text._ZN4vllm38concat_and_cache_mla_rope_fused_kernelIN3c104HalfENS1_8BFloat16ELb0EthLNS_18Fp8KVCacheDataTypeE1EEEvPKlPT_S8_PKS7_PKT0_illlliPT3_S6_iiiiPKf,"axG",@progbits,_ZN4vllm38concat_and_cache_mla_rope_fused_kernelIN3c104HalfENS1_8BFloat16ELb0EthLNS_18Fp8KVCacheDataTypeE1EEEvPKlPT_S8_PKS7_PKT0_illlliPT3_S6_iiiiPKf,comdat
	.protected	_ZN4vllm38concat_and_cache_mla_rope_fused_kernelIN3c104HalfENS1_8BFloat16ELb0EthLNS_18Fp8KVCacheDataTypeE1EEEvPKlPT_S8_PKS7_PKT0_illlliPT3_S6_iiiiPKf ; -- Begin function _ZN4vllm38concat_and_cache_mla_rope_fused_kernelIN3c104HalfENS1_8BFloat16ELb0EthLNS_18Fp8KVCacheDataTypeE1EEEvPKlPT_S8_PKS7_PKT0_illlliPT3_S6_iiiiPKf
	.globl	_ZN4vllm38concat_and_cache_mla_rope_fused_kernelIN3c104HalfENS1_8BFloat16ELb0EthLNS_18Fp8KVCacheDataTypeE1EEEvPKlPT_S8_PKS7_PKT0_illlliPT3_S6_iiiiPKf
	.p2align	8
	.type	_ZN4vllm38concat_and_cache_mla_rope_fused_kernelIN3c104HalfENS1_8BFloat16ELb0EthLNS_18Fp8KVCacheDataTypeE1EEEvPKlPT_S8_PKS7_PKT0_illlliPT3_S6_iiiiPKf,@function
_ZN4vllm38concat_and_cache_mla_rope_fused_kernelIN3c104HalfENS1_8BFloat16ELb0EthLNS_18Fp8KVCacheDataTypeE1EEEvPKlPT_S8_PKS7_PKT0_illlliPT3_S6_iiiiPKf: ; @_ZN4vllm38concat_and_cache_mla_rope_fused_kernelIN3c104HalfENS1_8BFloat16ELb0EthLNS_18Fp8KVCacheDataTypeE1EEEvPKlPT_S8_PKS7_PKT0_illlliPT3_S6_iiiiPKf
; %bb.0:
	s_load_dwordx2 s[2:3], s[4:5], 0x60
	s_mov_b32 s7, 0
	s_lshl_b64 s[0:1], s[6:7], 3
	s_waitcnt lgkmcnt(0)
	s_add_u32 s2, s2, s0
	s_addc_u32 s3, s3, s1
	s_load_dwordx2 s[26:27], s[2:3], 0x0
	s_waitcnt lgkmcnt(0)
	v_cmp_lt_i64_e64 s[2:3], s[26:27], 0
	s_and_b64 vcc, exec, s[2:3]
	s_cbranch_vccnz .LBB83_61
; %bb.1:
	s_load_dword s7, s[4:5], 0x28
	s_load_dwordx2 s[2:3], s[4:5], 0x0
	s_load_dwordx4 s[16:19], s[4:5], 0x10
	v_lshlrev_b32_e32 v3, 1, v0
	s_waitcnt lgkmcnt(0)
	s_ashr_i32 s22, s7, 31
	s_add_u32 s0, s2, s0
	s_addc_u32 s1, s3, s1
	s_load_dwordx2 s[20:21], s[0:1], 0x0
	s_load_dwordx2 s[28:29], s[4:5], 0x20
	s_load_dwordx8 s[8:15], s[4:5], 0x30
	s_load_dwordx2 s[2:3], s[4:5], 0x58
	s_load_dword s23, s[4:5], 0x50
	s_waitcnt lgkmcnt(0)
	s_mul_i32 s0, s20, s22
	s_mul_hi_u32 s1, s20, s7
	s_mul_i32 s21, s21, s7
	s_add_i32 s0, s1, s0
	s_add_i32 s31, s0, s21
	s_lshr_b32 s0, s7, 31
	s_mul_i32 s30, s20, s7
	s_add_i32 s7, s7, s0
	s_ashr_i32 s20, s7, 1
	s_mul_i32 s7, s20, s23
	v_cmp_gt_i32_e32 vcc, s7, v0
	s_and_saveexec_b64 s[0:1], vcc
	s_cbranch_execz .LBB83_4
; %bb.2:
	s_lshl_b64 s[22:23], s[30:31], 1
	s_add_u32 s24, s28, s22
	s_addc_u32 s38, s29, s23
	s_load_dwordx2 s[22:23], s[4:5], 0x8
	s_load_dword s34, s[4:5], 0x8c
	s_mul_i32 s9, s6, s9
	s_mul_hi_u32 s25, s6, s8
	s_add_i32 s9, s25, s9
	s_mul_i32 s8, s6, s8
	s_ashr_i32 s21, s20, 31
	s_lshl_b64 s[8:9], s[8:9], 1
	s_waitcnt lgkmcnt(0)
	s_add_u32 s25, s22, s8
	s_addc_u32 s39, s23, s9
	s_abs_i32 s33, s20
	v_cvt_f32_u32_e32 v1, s33
	s_sub_i32 s8, 0, s33
	s_and_b32 s34, s34, 0xffff
	s_lshl_b64 s[22:23], s[20:21], 1
	v_rcp_iflag_f32_e32 v1, v1
	s_sub_i32 s35, 0, s20
	s_lshl_b32 s37, s34, 1
	v_mov_b32_e32 v5, s38
	v_mul_f32_e32 v1, 0x4f7ffffe, v1
	v_cvt_u32_f32_e32 v1, v1
	v_mov_b32_e32 v6, s23
	v_mov_b32_e32 v7, s39
	;; [unrolled: 1-line block ×3, first 2 shown]
	v_mul_lo_u32 v2, s8, v1
	v_mul_hi_u32 v2, v1, v2
	s_lshl_b32 s8, s20, 1
	v_add_u32_e32 v1, v1, v2
	s_sub_i32 s36, 0, s8
	s_mov_b64 s[8:9], 0
	v_mov_b32_e32 v2, v3
.LBB83_3:                               ; =>This Inner Loop Header: Depth=1
	v_sub_u32_e32 v9, 0, v4
	v_max_i32_e32 v9, v4, v9
	v_mul_hi_u32 v10, v9, v1
	v_mul_lo_u32 v11, v10, s33
	v_sub_u32_e32 v9, v9, v11
	v_add_u32_e32 v12, 1, v10
	v_cmp_le_u32_e32 vcc, s33, v9
	v_subrev_u32_e32 v11, s33, v9
	v_cndmask_b32_e32 v10, v10, v12, vcc
	v_cndmask_b32_e32 v9, v9, v11, vcc
	v_ashrrev_i32_e32 v8, 31, v4
	v_add_u32_e32 v11, 1, v10
	v_cmp_le_u32_e32 vcc, s33, v9
	v_xor_b32_e32 v8, s21, v8
	v_cndmask_b32_e32 v9, v10, v11, vcc
	v_xor_b32_e32 v9, v9, v8
	v_sub_u32_e32 v12, v9, v8
	v_mad_u64_u32 v[8:9], s[38:39], s35, v12, v[4:5]
	v_ashrrev_i32_e32 v9, 31, v8
	v_lshlrev_b64 v[8:9], 1, v[8:9]
	v_ashrrev_i32_e32 v14, 31, v12
	v_add_co_u32_e32 v8, vcc, s24, v8
	v_mul_lo_u32 v15, v12, s11
	v_mad_u64_u32 v[10:11], s[38:39], v12, s10, 0
	v_mul_lo_u32 v14, v14, s10
	v_addc_co_u32_e32 v9, vcc, v5, v9, vcc
	v_add3_u32 v11, v11, v15, v14
	v_add_co_u32_e32 v14, vcc, s22, v8
	v_mad_u64_u32 v[12:13], s[38:39], s36, v12, v[2:3]
	v_lshlrev_b64 v[10:11], 1, v[10:11]
	v_addc_co_u32_e32 v15, vcc, v9, v6, vcc
	v_ashrrev_i32_e32 v13, 31, v12
	v_add_co_u32_e32 v10, vcc, s25, v10
	global_load_ushort v16, v[8:9], off
	global_load_ushort v17, v[14:15], off
	v_lshlrev_b64 v[12:13], 1, v[12:13]
	v_addc_co_u32_e32 v11, vcc, v7, v11, vcc
	v_add_co_u32_e32 v8, vcc, v10, v12
	v_addc_co_u32_e32 v9, vcc, v11, v13, vcc
	global_load_dword v10, v[8:9], off
	v_add_u32_e32 v4, s34, v4
	v_cmp_le_i32_e32 vcc, s7, v4
	v_add_u32_e32 v2, s37, v2
	s_or_b64 s[8:9], vcc, s[8:9]
	s_waitcnt vmcnt(2)
	v_lshlrev_b32_e32 v11, 16, v16
	s_waitcnt vmcnt(1)
	v_lshlrev_b32_e32 v12, 16, v17
	v_cvt_f16_f32_e32 v12, v12
	v_cvt_f16_f32_e32 v11, v11
	s_waitcnt vmcnt(0)
	v_lshrrev_b32_e32 v13, 16, v10
	v_mul_f16_e32 v14, v13, v12
	v_mul_f16_e32 v12, v10, v12
	v_fma_f16 v10, v10, v11, -v14
	v_fma_f16 v11, v13, v11, v12
	v_pack_b32_f16 v10, v10, v11
	global_store_dword v[8:9], v10, off
	s_andn2_b64 exec, exec, s[8:9]
	s_cbranch_execnz .LBB83_3
.LBB83_4:
	s_or_b64 exec, exec, s[0:1]
	s_load_dwordx4 s[8:11], s[4:5], 0x68
	s_waitcnt lgkmcnt(0)
	s_ashr_i32 s35, s11, 31
	s_mov_b32 s34, s11
	s_or_b64 s[0:1], s[26:27], s[34:35]
	s_mov_b32 s0, 0
	s_cmp_lg_u64 s[0:1], 0
	s_cbranch_scc0 .LBB83_62
; %bb.5:
	s_add_u32 s0, s34, s35
	s_mov_b32 s22, s35
	s_mov_b32 s23, s35
	s_addc_u32 s1, s35, s35
	s_xor_b64 s[36:37], s[0:1], s[22:23]
	v_cvt_f32_u32_e32 v1, s36
	v_cvt_f32_u32_e32 v2, s37
	s_sub_u32 s0, 0, s36
	s_subb_u32 s1, 0, s37
	v_madmk_f32 v1, v2, 0x4f800000, v1
	v_rcp_f32_e32 v1, v1
	v_mul_f32_e32 v1, 0x5f7ffffc, v1
	v_mul_f32_e32 v2, 0x2f800000, v1
	v_trunc_f32_e32 v2, v2
	v_madmk_f32 v1, v2, 0xcf800000, v1
	v_cvt_u32_f32_e32 v2, v2
	v_cvt_u32_f32_e32 v1, v1
	v_readfirstlane_b32 s7, v2
	v_readfirstlane_b32 s11, v1
	s_mul_i32 s21, s0, s7
	s_mul_hi_u32 s38, s0, s11
	s_mul_i32 s33, s1, s11
	s_add_i32 s21, s38, s21
	s_add_i32 s21, s21, s33
	s_mul_i32 s39, s0, s11
	s_mul_hi_u32 s33, s11, s21
	s_mul_i32 s38, s11, s21
	s_mul_hi_u32 s11, s11, s39
	s_add_u32 s11, s11, s38
	s_addc_u32 s33, 0, s33
	s_mul_hi_u32 s40, s7, s39
	s_mul_i32 s39, s7, s39
	s_add_u32 s11, s11, s39
	s_mul_hi_u32 s38, s7, s21
	s_addc_u32 s11, s33, s40
	s_addc_u32 s33, s38, 0
	s_mul_i32 s21, s7, s21
	s_add_u32 s11, s11, s21
	s_addc_u32 s21, 0, s33
	v_add_co_u32_e32 v1, vcc, s11, v1
	s_cmp_lg_u64 vcc, 0
	s_addc_u32 s7, s7, s21
	v_readfirstlane_b32 s21, v1
	s_mul_i32 s11, s0, s7
	s_mul_hi_u32 s33, s0, s21
	s_add_i32 s11, s33, s11
	s_mul_i32 s1, s1, s21
	s_add_i32 s11, s11, s1
	s_mul_i32 s0, s0, s21
	s_mul_hi_u32 s33, s7, s0
	s_mul_i32 s38, s7, s0
	s_mul_i32 s40, s21, s11
	s_mul_hi_u32 s0, s21, s0
	s_mul_hi_u32 s39, s21, s11
	s_add_u32 s0, s0, s40
	s_addc_u32 s21, 0, s39
	s_add_u32 s0, s0, s38
	s_mul_hi_u32 s1, s7, s11
	s_addc_u32 s0, s21, s33
	s_addc_u32 s1, s1, 0
	s_mul_i32 s11, s7, s11
	s_add_u32 s0, s0, s11
	s_addc_u32 s1, 0, s1
	v_add_co_u32_e32 v1, vcc, s0, v1
	s_cmp_lg_u64 vcc, 0
	s_addc_u32 s7, s7, s1
	s_ashr_i32 s38, s27, 31
	s_add_u32 s0, s26, s38
	s_mov_b32 s39, s38
	s_addc_u32 s1, s27, s38
	s_xor_b64 s[40:41], s[0:1], s[38:39]
	v_readfirstlane_b32 s11, v1
	s_mul_i32 s1, s40, s7
	s_mul_hi_u32 s21, s40, s11
	s_mul_hi_u32 s0, s40, s7
	s_add_u32 s1, s21, s1
	s_addc_u32 s0, 0, s0
	s_mul_hi_u32 s33, s41, s11
	s_mul_i32 s11, s41, s11
	s_add_u32 s1, s1, s11
	s_mul_hi_u32 s21, s41, s7
	s_addc_u32 s0, s0, s33
	s_addc_u32 s1, s21, 0
	s_mul_i32 s7, s41, s7
	s_add_u32 s7, s0, s7
	s_addc_u32 s11, 0, s1
	s_mul_i32 s0, s36, s11
	s_mul_hi_u32 s1, s36, s7
	s_add_i32 s0, s1, s0
	s_mul_i32 s1, s37, s7
	s_add_i32 s21, s0, s1
	s_mul_i32 s1, s36, s7
	v_mov_b32_e32 v1, s1
	s_sub_i32 s0, s41, s21
	v_sub_co_u32_e32 v1, vcc, s40, v1
	s_cmp_lg_u64 vcc, 0
	s_subb_u32 s33, s0, s37
	v_subrev_co_u32_e64 v2, s[0:1], s36, v1
	s_cmp_lg_u64 s[0:1], 0
	s_subb_u32 s0, s33, 0
	s_cmp_ge_u32 s0, s37
	v_readfirstlane_b32 s33, v2
	s_cselect_b32 s1, -1, 0
	s_cmp_ge_u32 s33, s36
	s_cselect_b32 s33, -1, 0
	s_cmp_eq_u32 s0, s37
	s_cselect_b32 s0, s33, s1
	s_add_u32 s1, s7, 1
	s_addc_u32 s33, s11, 0
	s_add_u32 s40, s7, 2
	s_addc_u32 s42, s11, 0
	s_cmp_lg_u32 s0, 0
	s_cselect_b32 s0, s40, s1
	s_cselect_b32 s1, s42, s33
	s_cmp_lg_u64 vcc, 0
	s_subb_u32 s21, s41, s21
	s_cmp_ge_u32 s21, s37
	v_readfirstlane_b32 s40, v1
	s_cselect_b32 s33, -1, 0
	s_cmp_ge_u32 s40, s36
	s_cselect_b32 s36, -1, 0
	s_cmp_eq_u32 s21, s37
	s_cselect_b32 s21, s36, s33
	s_cmp_lg_u32 s21, 0
	s_cselect_b32 s1, s1, s11
	s_cselect_b32 s0, s0, s7
	s_xor_b64 s[22:23], s[38:39], s[22:23]
	s_xor_b64 s[0:1], s[0:1], s[22:23]
	s_sub_u32 s22, s0, s22
	s_subb_u32 s23, s1, s23
	s_cbranch_execnz .LBB83_7
.LBB83_6:
	v_cvt_f32_u32_e32 v1, s34
	s_sub_i32 s0, 0, s34
	s_mov_b32 s23, 0
	v_rcp_iflag_f32_e32 v1, v1
	v_mul_f32_e32 v1, 0x4f7ffffe, v1
	v_cvt_u32_f32_e32 v1, v1
	v_readfirstlane_b32 s1, v1
	s_mul_i32 s0, s0, s1
	s_mul_hi_u32 s0, s1, s0
	s_add_i32 s1, s1, s0
	s_mul_hi_u32 s0, s26, s1
	s_mul_i32 s7, s0, s34
	s_sub_i32 s7, s26, s7
	s_add_i32 s1, s0, 1
	s_sub_i32 s11, s7, s34
	s_cmp_ge_u32 s7, s34
	s_cselect_b32 s0, s1, s0
	s_cselect_b32 s7, s11, s7
	s_add_i32 s1, s0, 1
	s_cmp_ge_u32 s7, s34
	s_cselect_b32 s22, s1, s0
.LBB83_7:
	s_mul_i32 s0, s22, s35
	s_mul_hi_u32 s1, s22, s34
	s_load_dwordx2 s[24:25], s[4:5], 0x78
	s_add_i32 s0, s1, s0
	s_mul_i32 s1, s23, s34
	s_add_i32 s0, s0, s1
	s_mul_i32 s1, s22, s34
	s_sub_u32 s7, s26, s1
	s_subb_u32 s11, s27, s0
	v_cmp_gt_i32_e32 vcc, s20, v0
	s_mul_hi_u32 s42, s22, s8
	s_mul_i32 s43, s23, s8
	s_mul_i32 s44, s22, s8
	s_mul_hi_u32 s33, s7, s9
	s_mul_i32 s11, s11, s9
	s_mul_i32 s23, s7, s9
	s_and_saveexec_b64 s[26:27], vcc
	s_cbranch_execz .LBB83_42
; %bb.8:
	s_ashr_i32 s0, s8, 31
	s_mul_i32 s0, s22, s0
	s_load_dword s1, s[4:5], 0x8c
	s_add_i32 s0, s42, s0
	s_add_i32 s34, s0, s43
	s_ashr_i32 s0, s9, 31
	s_mul_i32 s0, s7, s0
	s_add_i32 s0, s33, s0
	s_ashr_i32 s21, s20, 31
	s_add_i32 s35, s0, s11
	s_ashr_i32 s36, s10, 31
	s_waitcnt lgkmcnt(0)
	s_and_b32 s46, s1, 0xffff
	s_lshl_b64 s[0:1], s[30:31], 1
	s_add_u32 s0, s28, s0
	s_addc_u32 s1, s29, s1
	v_mov_b32_e32 v2, s1
	v_add_co_u32_e32 v1, vcc, s0, v3
	v_addc_co_u32_e32 v10, vcc, 0, v2, vcc
	s_lshl_b32 s48, s46, 1
	s_lshl_b64 s[0:1], s[20:21], 1
	v_add_co_u32_e32 v11, vcc, s0, v1
	s_add_u32 s0, s44, s23
	v_mov_b32_e32 v2, s1
	s_addc_u32 s1, s34, s35
	s_add_u32 s21, s2, s10
	s_addc_u32 s28, s3, s36
	s_add_u32 s0, s21, s0
	v_addc_co_u32_e32 v12, vcc, v10, v2, vcc
	s_addc_u32 s1, s28, s1
	v_mov_b32_e32 v2, s1
	v_add_co_u32_e32 v3, vcc, s0, v3
	s_mul_i32 s0, s13, s6
	s_mul_hi_u32 s1, s12, s6
	s_add_i32 s1, s1, s0
	s_mul_i32 s0, s12, s6
	v_addc_co_u32_e32 v2, vcc, 0, v2, vcc
	s_lshl_b64 s[0:1], s[0:1], 1
	v_add_co_u32_e32 v13, vcc, 1, v3
	s_add_u32 s0, s16, s0
	s_load_dword s45, s[24:25], 0x0
	v_addc_co_u32_e32 v14, vcc, 0, v2, vcc
	v_lshlrev_b32_e32 v2, 2, v0
	s_addc_u32 s1, s17, s1
	v_mov_b32_e32 v3, s1
	v_add_co_u32_e32 v2, vcc, s0, v2
	v_addc_co_u32_e32 v3, vcc, 0, v3, vcc
	v_add_co_u32_e32 v2, vcc, 2, v2
	s_mov_b32 s47, 0
	v_addc_co_u32_e32 v3, vcc, 0, v3, vcc
	s_lshl_b32 s21, s46, 2
	s_mov_b64 s[12:13], 0
	v_mov_b32_e32 v5, 0
	s_movk_i32 s49, 0x80
	s_mov_b64 s[16:17], 0x7f800000
	s_mov_b64 s[28:29], 0x43e00001
	s_movk_i32 s50, 0x7a
	s_mov_b64 s[30:31], 0xffffff
	s_movk_i32 s51, 0x7f
	v_mov_b32_e32 v15, 0xffffff82
	v_mov_b32_e32 v16, 0x78
	s_mov_b64 s[34:35], 0
	v_mov_b32_e32 v17, v0
	s_branch .LBB83_10
.LBB83_9:                               ;   in Loop: Header=BB83_10 Depth=1
	s_or_b64 exec, exec, s[0:1]
	v_add_u32_e32 v17, s46, v17
	s_add_u32 s34, s34, s48
	s_addc_u32 s35, s35, 0
	v_cmp_le_i32_e32 vcc, s20, v17
	v_mov_b32_e32 v4, s47
	s_or_b64 s[12:13], vcc, s[12:13]
	v_add_co_u32_e32 v2, vcc, s21, v2
	v_addc_co_u32_e32 v3, vcc, v3, v4, vcc
	global_store_byte v[6:7], v9, off
	s_andn2_b64 exec, exec, s[12:13]
	s_cbranch_execz .LBB83_42
.LBB83_10:                              ; =>This Inner Loop Header: Depth=1
	v_mov_b32_e32 v4, s35
	v_add_co_u32_e32 v6, vcc, s34, v1
	v_addc_co_u32_e32 v7, vcc, v10, v4, vcc
	v_add_co_u32_e32 v8, vcc, s34, v11
	v_addc_co_u32_e32 v9, vcc, v12, v4, vcc
	global_load_ushort v4, v[6:7], off
	global_load_ushort v18, v[8:9], off
	global_load_dword v19, v[2:3], off offset:-2
	s_waitcnt vmcnt(2)
	v_lshlrev_b32_e32 v4, 16, v4
	s_waitcnt vmcnt(1)
	v_lshlrev_b32_e32 v6, 16, v18
	v_cvt_f16_f32_e32 v6, v6
	v_cvt_f16_f32_e32 v4, v4
	s_waitcnt vmcnt(0)
	v_lshrrev_b32_e32 v7, 16, v19
	v_mul_f16_e32 v8, v7, v6
	v_fma_f16 v9, v19, v4, -v8
	v_cvt_f32_f16_e32 v8, v9
	s_waitcnt lgkmcnt(0)
	v_div_scale_f32 v18, s[0:1], s45, s45, v8
	v_rcp_f32_e32 v20, v18
	v_div_scale_f32 v21, vcc, v8, s45, v8
	v_fma_f32 v22, -v18, v20, 1.0
	v_fmac_f32_e32 v20, v22, v20
	v_mul_f32_e32 v22, v21, v20
	v_fma_f32 v23, -v18, v22, v21
	v_fmac_f32_e32 v22, v23, v20
	v_fma_f32 v18, -v18, v22, v21
	v_div_fmas_f32 v18, v18, v20, v22
	v_div_fixup_f32 v8, v18, s45, v8
	v_cvt_f16_f32_e32 v8, v8
	v_mul_f16_e32 v18, v19, v6
	v_mov_b32_e32 v21, v5
	v_cvt_f32_f16_e32 v6, v8
	v_fma_f16 v8, v7, v4, v18
	v_pack_b32_f16 v4, v9, v8
	global_store_dword v[2:3], v4, off offset:-2
	v_and_b32_sdwa v9, v6, s49 dst_sel:DWORD dst_unused:UNUSED_PAD src0_sel:BYTE_3 src1_sel:DWORD
	v_and_b32_e32 v20, 0x7f800000, v6
	v_and_b32_e32 v4, 0x7fffff, v6
	v_or_b32_e32 v18, 0x7e, v9
	v_cmp_ne_u64_e32 vcc, s[16:17], v[20:21]
	s_and_saveexec_b64 s[0:1], vcc
	s_xor_b64 s[36:37], exec, s[0:1]
	s_cbranch_execz .LBB83_24
; %bb.11:                               ;   in Loop: Header=BB83_10 Depth=1
	v_and_b32_e32 v20, 0x7fffffff, v6
	v_mov_b32_e32 v21, v5
	v_cmp_gt_u64_e32 vcc, s[28:29], v[20:21]
	s_and_saveexec_b64 s[0:1], vcc
	s_xor_b64 s[38:39], exec, s[0:1]
	s_cbranch_execz .LBB83_23
; %bb.12:                               ;   in Loop: Header=BB83_10 Depth=1
	v_cmp_ne_u32_e32 vcc, 0, v6
	v_mov_b32_e32 v18, 0
	s_and_saveexec_b64 s[40:41], vcc
	s_cbranch_execz .LBB83_22
; %bb.13:                               ;   in Loop: Header=BB83_10 Depth=1
	v_bfe_u32 v6, v6, 23, 8
	v_sub_u32_e32 v18, 0x79, v6
	v_cmp_gt_u32_e32 vcc, s50, v6
	v_cndmask_b32_e32 v18, 0, v18, vcc
	v_cmp_eq_u32_e32 vcc, 0, v6
	v_cndmask_b32_e32 v18, v18, v16, vcc
	v_add_u32_e32 v7, 0xffffff81, v6
	v_or_b32_e32 v19, 0x800000, v4
	v_add_u32_e32 v6, 20, v18
	v_cndmask_b32_e32 v24, v7, v15, vcc
	v_cndmask_b32_e32 v4, v19, v4, vcc
	v_lshlrev_b64 v[6:7], v6, -1
	v_not_b32_e32 v6, v6
	v_lshrrev_b64 v[22:23], v18, v[4:5]
	v_not_b32_e32 v7, v7
	v_and_b32_e32 v6, v4, v6
	v_add_u32_e32 v19, 19, v18
	v_lshrrev_b32_e32 v4, 23, v22
	v_and_b32_e32 v7, 0, v7
	v_lshlrev_b64 v[20:21], v19, 1
	v_add3_u32 v19, v18, v24, v4
	v_bfe_u32 v4, v22, 20, 1
	v_add_u32_e32 v4, -1, v4
	v_cmp_eq_u64_e32 vcc, v[6:7], v[20:21]
	v_cndmask_b32_e32 v4, 0, v4, vcc
	v_add_u32_e32 v4, v4, v22
	v_and_b32_e32 v4, 0xfffff, v4
	v_add_co_u32_e32 v6, vcc, v4, v22
	v_add_u32_e32 v18, 6, v19
	v_addc_co_u32_e32 v7, vcc, 0, v23, vcc
	v_cmp_ne_u32_e32 vcc, 0, v18
                                        ; implicit-def: $vgpr4
	s_and_saveexec_b64 s[0:1], vcc
	s_xor_b64 s[0:1], exec, s[0:1]
; %bb.14:                               ;   in Loop: Header=BB83_10 Depth=1
	v_add_u32_e32 v4, 7, v19
	v_cmp_lt_u64_e32 vcc, s[30:31], v[6:7]
	v_cndmask_b32_e32 v4, v18, v4, vcc
	v_cndmask_b32_e64 v18, 0, 1, vcc
	v_lshrrev_b64 v[6:7], v18, v[6:7]
; %bb.15:                               ;   in Loop: Header=BB83_10 Depth=1
	s_andn2_saveexec_b64 s[0:1], s[0:1]
; %bb.16:                               ;   in Loop: Header=BB83_10 Depth=1
	v_bfe_u32 v4, v6, 23, 1
; %bb.17:                               ;   in Loop: Header=BB83_10 Depth=1
	s_or_b64 exec, exec, s[0:1]
	v_lshrrev_b64 v[6:7], 20, v[6:7]
	v_cmp_gt_i32_e32 vcc, 16, v4
	v_cndmask_b32_e32 v7, 0, v7, vcc
	v_cndmask_b32_e32 v6, 7, v6, vcc
	v_cmp_ne_u32_e32 vcc, 0, v4
	v_cmp_ne_u64_e64 s[0:1], 0, v[6:7]
	s_or_b64 s[0:1], vcc, s[0:1]
                                        ; implicit-def: $vgpr18
	s_and_saveexec_b64 s[52:53], s[0:1]
	s_xor_b64 s[0:1], exec, s[52:53]
; %bb.18:                               ;   in Loop: Header=BB83_10 Depth=1
	v_min_i32_e32 v4, 15, v4
	v_lshl_or_b32 v4, v4, 3, v9
	v_and_or_b32 v18, v6, 7, v4
                                        ; implicit-def: $vgpr9
; %bb.19:                               ;   in Loop: Header=BB83_10 Depth=1
	s_andn2_saveexec_b64 s[0:1], s[0:1]
; %bb.20:                               ;   in Loop: Header=BB83_10 Depth=1
	v_mov_b32_e32 v18, v9
; %bb.21:                               ;   in Loop: Header=BB83_10 Depth=1
	s_or_b64 exec, exec, s[0:1]
.LBB83_22:                              ;   in Loop: Header=BB83_10 Depth=1
	s_or_b64 exec, exec, s[40:41]
.LBB83_23:                              ;   in Loop: Header=BB83_10 Depth=1
	s_andn2_saveexec_b64 s[0:1], s[38:39]
	s_or_b64 exec, exec, s[0:1]
                                        ; implicit-def: $vgpr6
.LBB83_24:                              ;   in Loop: Header=BB83_10 Depth=1
	s_andn2_saveexec_b64 s[0:1], s[36:37]
; %bb.25:                               ;   in Loop: Header=BB83_10 Depth=1
	v_or_b32_sdwa v6, v6, s51 dst_sel:DWORD dst_unused:UNUSED_PAD src0_sel:BYTE_3 src1_sel:DWORD
	v_cmp_eq_u64_e32 vcc, 0, v[4:5]
	v_cndmask_b32_e32 v18, v6, v18, vcc
; %bb.26:                               ;   in Loop: Header=BB83_10 Depth=1
	s_or_b64 exec, exec, s[0:1]
	v_cvt_f32_f16_e32 v4, v8
	v_mov_b32_e32 v21, v5
	v_div_scale_f32 v6, s[0:1], s45, s45, v4
	v_rcp_f32_e32 v7, v6
	v_div_scale_f32 v8, vcc, v4, s45, v4
	v_fma_f32 v9, -v6, v7, 1.0
	v_fmac_f32_e32 v7, v9, v7
	v_mul_f32_e32 v9, v8, v7
	v_fma_f32 v19, -v6, v9, v8
	v_fmac_f32_e32 v9, v19, v7
	v_fma_f32 v6, -v6, v9, v8
	v_div_fmas_f32 v6, v6, v7, v9
	v_div_fixup_f32 v4, v6, s45, v4
	v_cvt_f16_f32_e32 v4, v4
	v_mov_b32_e32 v7, s35
	v_add_co_u32_e32 v6, vcc, s34, v13
	v_cvt_f32_f16_e32 v8, v4
	v_addc_co_u32_e32 v7, vcc, v14, v7, vcc
	global_store_byte v[6:7], v18, off offset:-1
	v_and_b32_sdwa v18, v8, s49 dst_sel:DWORD dst_unused:UNUSED_PAD src0_sel:BYTE_3 src1_sel:DWORD
	v_and_b32_e32 v20, 0x7f800000, v8
	v_and_b32_e32 v4, 0x7fffff, v8
	v_or_b32_e32 v9, 0x7e, v18
	v_cmp_ne_u64_e32 vcc, s[16:17], v[20:21]
	s_and_saveexec_b64 s[0:1], vcc
	s_xor_b64 s[36:37], exec, s[0:1]
	s_cbranch_execz .LBB83_40
; %bb.27:                               ;   in Loop: Header=BB83_10 Depth=1
	v_and_b32_e32 v20, 0x7fffffff, v8
	v_mov_b32_e32 v21, v5
	v_cmp_gt_u64_e32 vcc, s[28:29], v[20:21]
	s_and_saveexec_b64 s[0:1], vcc
	s_xor_b64 s[38:39], exec, s[0:1]
	s_cbranch_execz .LBB83_39
; %bb.28:                               ;   in Loop: Header=BB83_10 Depth=1
	v_cmp_ne_u32_e32 vcc, 0, v8
	v_mov_b32_e32 v9, 0
	s_and_saveexec_b64 s[40:41], vcc
	s_cbranch_execz .LBB83_38
; %bb.29:                               ;   in Loop: Header=BB83_10 Depth=1
	v_bfe_u32 v8, v8, 23, 8
	v_sub_u32_e32 v19, 0x79, v8
	v_cmp_gt_u32_e32 vcc, s50, v8
	v_cndmask_b32_e32 v19, 0, v19, vcc
	v_cmp_eq_u32_e32 vcc, 0, v8
	v_cndmask_b32_e32 v19, v19, v16, vcc
	v_add_u32_e32 v9, 0xffffff81, v8
	v_or_b32_e32 v20, 0x800000, v4
	v_add_u32_e32 v8, 20, v19
	v_cndmask_b32_e32 v21, v9, v15, vcc
	v_cndmask_b32_e32 v4, v20, v4, vcc
	v_lshlrev_b64 v[8:9], v8, -1
	v_not_b32_e32 v8, v8
	v_lshrrev_b64 v[24:25], v19, v[4:5]
	v_not_b32_e32 v9, v9
	v_and_b32_e32 v8, v4, v8
	v_add_u32_e32 v20, 19, v19
	v_lshrrev_b32_e32 v4, 23, v24
	v_and_b32_e32 v9, 0, v9
	v_lshlrev_b64 v[22:23], v20, 1
	v_add3_u32 v20, v19, v21, v4
	v_bfe_u32 v4, v24, 20, 1
	v_add_u32_e32 v4, -1, v4
	v_cmp_eq_u64_e32 vcc, v[8:9], v[22:23]
	v_cndmask_b32_e32 v4, 0, v4, vcc
	v_add_u32_e32 v4, v4, v24
	v_and_b32_e32 v4, 0xfffff, v4
	v_add_co_u32_e32 v8, vcc, v4, v24
	v_add_u32_e32 v19, 6, v20
	v_addc_co_u32_e32 v9, vcc, 0, v25, vcc
	v_cmp_ne_u32_e32 vcc, 0, v19
                                        ; implicit-def: $vgpr4
	s_and_saveexec_b64 s[0:1], vcc
	s_xor_b64 s[0:1], exec, s[0:1]
; %bb.30:                               ;   in Loop: Header=BB83_10 Depth=1
	v_add_u32_e32 v4, 7, v20
	v_cmp_lt_u64_e32 vcc, s[30:31], v[8:9]
	v_cndmask_b32_e32 v4, v19, v4, vcc
	v_cndmask_b32_e64 v19, 0, 1, vcc
	v_lshrrev_b64 v[8:9], v19, v[8:9]
; %bb.31:                               ;   in Loop: Header=BB83_10 Depth=1
	s_andn2_saveexec_b64 s[0:1], s[0:1]
; %bb.32:                               ;   in Loop: Header=BB83_10 Depth=1
	v_bfe_u32 v4, v8, 23, 1
; %bb.33:                               ;   in Loop: Header=BB83_10 Depth=1
	s_or_b64 exec, exec, s[0:1]
	v_lshrrev_b64 v[8:9], 20, v[8:9]
	v_cmp_gt_i32_e32 vcc, 16, v4
	v_cndmask_b32_e32 v9, 0, v9, vcc
	v_cndmask_b32_e32 v8, 7, v8, vcc
	v_cmp_ne_u32_e32 vcc, 0, v4
	v_cmp_ne_u64_e64 s[0:1], 0, v[8:9]
	s_or_b64 s[0:1], vcc, s[0:1]
                                        ; implicit-def: $vgpr9
	s_and_saveexec_b64 s[52:53], s[0:1]
	s_xor_b64 s[0:1], exec, s[52:53]
; %bb.34:                               ;   in Loop: Header=BB83_10 Depth=1
	v_min_i32_e32 v4, 15, v4
	v_lshl_or_b32 v4, v4, 3, v18
	v_and_or_b32 v9, v8, 7, v4
                                        ; implicit-def: $vgpr18
; %bb.35:                               ;   in Loop: Header=BB83_10 Depth=1
	s_andn2_saveexec_b64 s[0:1], s[0:1]
; %bb.36:                               ;   in Loop: Header=BB83_10 Depth=1
	v_mov_b32_e32 v9, v18
; %bb.37:                               ;   in Loop: Header=BB83_10 Depth=1
	s_or_b64 exec, exec, s[0:1]
.LBB83_38:                              ;   in Loop: Header=BB83_10 Depth=1
	s_or_b64 exec, exec, s[40:41]
.LBB83_39:                              ;   in Loop: Header=BB83_10 Depth=1
	s_andn2_saveexec_b64 s[0:1], s[38:39]
	s_or_b64 exec, exec, s[0:1]
                                        ; implicit-def: $vgpr8
.LBB83_40:                              ;   in Loop: Header=BB83_10 Depth=1
	s_andn2_saveexec_b64 s[0:1], s[36:37]
	s_cbranch_execz .LBB83_9
; %bb.41:                               ;   in Loop: Header=BB83_10 Depth=1
	v_or_b32_sdwa v8, v8, s51 dst_sel:DWORD dst_unused:UNUSED_PAD src0_sel:BYTE_3 src1_sel:DWORD
	v_cmp_eq_u64_e32 vcc, 0, v[4:5]
	v_cndmask_b32_e32 v9, v8, v9, vcc
	s_branch .LBB83_9
.LBB83_42:
	s_or_b64 exec, exec, s[26:27]
	v_cmp_gt_i32_e32 vcc, s10, v0
	s_and_saveexec_b64 s[0:1], vcc
	s_cbranch_execz .LBB83_61
; %bb.43:
	s_mul_i32 s0, s6, s15
	s_mul_hi_u32 s1, s6, s14
	s_add_i32 s1, s1, s0
	s_mul_i32 s0, s6, s14
	s_lshl_b64 s[0:1], s[0:1], 1
	s_add_u32 s18, s18, s0
	s_addc_u32 s0, s19, s1
	s_ashr_i32 s1, s8, 31
	s_mul_i32 s1, s22, s1
	s_add_i32 s1, s42, s1
	s_add_i32 s1, s1, s43
	s_add_u32 s2, s2, s44
	s_addc_u32 s1, s3, s1
	s_ashr_i32 s3, s9, 31
	s_load_dword s4, s[4:5], 0x8c
	s_mul_i32 s7, s7, s3
	s_waitcnt lgkmcnt(0)
	s_load_dword s20, s[24:25], 0x0
	s_add_i32 s3, s33, s7
	s_add_i32 s3, s3, s11
	s_add_u32 s11, s2, s23
	s_addc_u32 s19, s1, s3
	s_and_b32 s21, s4, 0xffff
	s_mov_b64 s[2:3], 0
	v_mov_b32_e32 v6, s0
	v_mov_b32_e32 v3, 0
	s_movk_i32 s22, 0x80
	s_mov_b64 s[4:5], 0x7f800000
	s_mov_b64 s[6:7], 0x43e00001
	s_movk_i32 s23, 0x7a
	s_mov_b64 s[8:9], 0xffffff
	s_movk_i32 s24, 0x7f
	v_mov_b32_e32 v7, 0xffffff82
	v_mov_b32_e32 v8, 0x78
	s_branch .LBB83_45
.LBB83_44:                              ;   in Loop: Header=BB83_45 Depth=1
	s_or_b64 exec, exec, s[0:1]
	v_mov_b32_e32 v2, s19
	v_add_co_u32_e32 v10, vcc, s11, v0
	v_addc_co_u32_e32 v11, vcc, v2, v1, vcc
	v_add_u32_e32 v0, s21, v0
	v_cmp_le_i32_e32 vcc, s10, v0
	s_or_b64 s[2:3], vcc, s[2:3]
	global_store_byte v[10:11], v5, off
	s_andn2_b64 exec, exec, s[2:3]
	s_cbranch_execz .LBB83_61
.LBB83_45:                              ; =>This Inner Loop Header: Depth=1
	v_ashrrev_i32_e32 v1, 31, v0
	v_lshlrev_b64 v[4:5], 1, v[0:1]
	v_add_co_u32_e32 v4, vcc, s18, v4
	v_addc_co_u32_e32 v5, vcc, v6, v5, vcc
	global_load_ushort v2, v[4:5], off
	s_waitcnt vmcnt(0)
	v_cvt_f32_f16_e32 v2, v2
	s_waitcnt lgkmcnt(0)
	v_div_scale_f32 v4, s[0:1], s20, s20, v2
	v_rcp_f32_e32 v5, v4
	v_div_scale_f32 v9, vcc, v2, s20, v2
	v_fma_f32 v10, -v4, v5, 1.0
	v_fmac_f32_e32 v5, v10, v5
	v_mul_f32_e32 v10, v9, v5
	v_fma_f32 v11, -v4, v10, v9
	v_fmac_f32_e32 v10, v11, v5
	v_fma_f32 v4, -v4, v10, v9
	v_div_fmas_f32 v4, v4, v5, v10
	v_div_fixup_f32 v2, v4, s20, v2
	v_cvt_f16_f32_e32 v2, v2
	v_mov_b32_e32 v11, v3
	v_cvt_f32_f16_e32 v4, v2
	v_and_b32_sdwa v9, v4, s22 dst_sel:DWORD dst_unused:UNUSED_PAD src0_sel:BYTE_3 src1_sel:DWORD
	v_and_b32_e32 v10, 0x7f800000, v4
	v_and_b32_e32 v2, 0x7fffff, v4
	v_or_b32_e32 v5, 0x7e, v9
	v_cmp_ne_u64_e32 vcc, s[4:5], v[10:11]
	s_and_saveexec_b64 s[0:1], vcc
	s_xor_b64 s[12:13], exec, s[0:1]
	s_cbranch_execz .LBB83_59
; %bb.46:                               ;   in Loop: Header=BB83_45 Depth=1
	v_and_b32_e32 v10, 0x7fffffff, v4
	v_mov_b32_e32 v11, v3
	v_cmp_gt_u64_e32 vcc, s[6:7], v[10:11]
	s_and_saveexec_b64 s[0:1], vcc
	s_xor_b64 s[14:15], exec, s[0:1]
	s_cbranch_execz .LBB83_58
; %bb.47:                               ;   in Loop: Header=BB83_45 Depth=1
	v_cmp_ne_u32_e32 vcc, 0, v4
	v_mov_b32_e32 v5, 0
	s_and_saveexec_b64 s[16:17], vcc
	s_cbranch_execz .LBB83_57
; %bb.48:                               ;   in Loop: Header=BB83_45 Depth=1
	v_bfe_u32 v4, v4, 23, 8
	v_sub_u32_e32 v10, 0x79, v4
	v_cmp_gt_u32_e32 vcc, s23, v4
	v_cndmask_b32_e32 v10, 0, v10, vcc
	v_cmp_eq_u32_e32 vcc, 0, v4
	v_cndmask_b32_e32 v10, v10, v8, vcc
	v_add_u32_e32 v5, 0xffffff81, v4
	v_or_b32_e32 v11, 0x800000, v2
	v_add_u32_e32 v4, 20, v10
	v_cndmask_b32_e32 v16, v5, v7, vcc
	v_cndmask_b32_e32 v2, v11, v2, vcc
	v_lshlrev_b64 v[4:5], v4, -1
	v_not_b32_e32 v4, v4
	v_lshrrev_b64 v[14:15], v10, v[2:3]
	v_not_b32_e32 v5, v5
	v_and_b32_e32 v4, v2, v4
	v_add_u32_e32 v11, 19, v10
	v_lshrrev_b32_e32 v2, 23, v14
	v_and_b32_e32 v5, 0, v5
	v_lshlrev_b64 v[12:13], v11, 1
	v_add3_u32 v11, v10, v16, v2
	v_bfe_u32 v2, v14, 20, 1
	v_add_u32_e32 v2, -1, v2
	v_cmp_eq_u64_e32 vcc, v[4:5], v[12:13]
	v_cndmask_b32_e32 v2, 0, v2, vcc
	v_add_u32_e32 v2, v2, v14
	v_and_b32_e32 v2, 0xfffff, v2
	v_add_co_u32_e32 v4, vcc, v2, v14
	v_add_u32_e32 v10, 6, v11
	v_addc_co_u32_e32 v5, vcc, 0, v15, vcc
	v_cmp_ne_u32_e32 vcc, 0, v10
                                        ; implicit-def: $vgpr2
	s_and_saveexec_b64 s[0:1], vcc
	s_xor_b64 s[0:1], exec, s[0:1]
; %bb.49:                               ;   in Loop: Header=BB83_45 Depth=1
	v_add_u32_e32 v2, 7, v11
	v_cmp_lt_u64_e32 vcc, s[8:9], v[4:5]
	v_cndmask_b32_e32 v2, v10, v2, vcc
	v_cndmask_b32_e64 v10, 0, 1, vcc
	v_lshrrev_b64 v[4:5], v10, v[4:5]
; %bb.50:                               ;   in Loop: Header=BB83_45 Depth=1
	s_andn2_saveexec_b64 s[0:1], s[0:1]
; %bb.51:                               ;   in Loop: Header=BB83_45 Depth=1
	v_bfe_u32 v2, v4, 23, 1
; %bb.52:                               ;   in Loop: Header=BB83_45 Depth=1
	s_or_b64 exec, exec, s[0:1]
	v_lshrrev_b64 v[4:5], 20, v[4:5]
	v_cmp_gt_i32_e32 vcc, 16, v2
	v_cndmask_b32_e32 v5, 0, v5, vcc
	v_cndmask_b32_e32 v4, 7, v4, vcc
	v_cmp_ne_u32_e32 vcc, 0, v2
	v_cmp_ne_u64_e64 s[0:1], 0, v[4:5]
	s_or_b64 s[0:1], vcc, s[0:1]
                                        ; implicit-def: $vgpr5
	s_and_saveexec_b64 s[26:27], s[0:1]
	s_xor_b64 s[0:1], exec, s[26:27]
; %bb.53:                               ;   in Loop: Header=BB83_45 Depth=1
	v_min_i32_e32 v2, 15, v2
	v_lshl_or_b32 v2, v2, 3, v9
	v_and_or_b32 v5, v4, 7, v2
                                        ; implicit-def: $vgpr9
; %bb.54:                               ;   in Loop: Header=BB83_45 Depth=1
	s_andn2_saveexec_b64 s[0:1], s[0:1]
; %bb.55:                               ;   in Loop: Header=BB83_45 Depth=1
	v_mov_b32_e32 v5, v9
; %bb.56:                               ;   in Loop: Header=BB83_45 Depth=1
	s_or_b64 exec, exec, s[0:1]
.LBB83_57:                              ;   in Loop: Header=BB83_45 Depth=1
	s_or_b64 exec, exec, s[16:17]
.LBB83_58:                              ;   in Loop: Header=BB83_45 Depth=1
	s_andn2_saveexec_b64 s[0:1], s[14:15]
	s_or_b64 exec, exec, s[0:1]
                                        ; implicit-def: $vgpr4
.LBB83_59:                              ;   in Loop: Header=BB83_45 Depth=1
	s_andn2_saveexec_b64 s[0:1], s[12:13]
	s_cbranch_execz .LBB83_44
; %bb.60:                               ;   in Loop: Header=BB83_45 Depth=1
	v_or_b32_sdwa v4, v4, s24 dst_sel:DWORD dst_unused:UNUSED_PAD src0_sel:BYTE_3 src1_sel:DWORD
	v_cmp_eq_u64_e32 vcc, 0, v[2:3]
	v_cndmask_b32_e32 v5, v4, v5, vcc
	s_branch .LBB83_44
.LBB83_61:
	s_endpgm
.LBB83_62:
                                        ; implicit-def: $sgpr22_sgpr23
	s_branch .LBB83_6
	.section	.rodata,"a",@progbits
	.p2align	6, 0x0
	.amdhsa_kernel _ZN4vllm38concat_and_cache_mla_rope_fused_kernelIN3c104HalfENS1_8BFloat16ELb0EthLNS_18Fp8KVCacheDataTypeE1EEEvPKlPT_S8_PKS7_PKT0_illlliPT3_S6_iiiiPKf
		.amdhsa_group_segment_fixed_size 0
		.amdhsa_private_segment_fixed_size 0
		.amdhsa_kernarg_size 384
		.amdhsa_user_sgpr_count 6
		.amdhsa_user_sgpr_private_segment_buffer 1
		.amdhsa_user_sgpr_dispatch_ptr 0
		.amdhsa_user_sgpr_queue_ptr 0
		.amdhsa_user_sgpr_kernarg_segment_ptr 1
		.amdhsa_user_sgpr_dispatch_id 0
		.amdhsa_user_sgpr_flat_scratch_init 0
		.amdhsa_user_sgpr_kernarg_preload_length 0
		.amdhsa_user_sgpr_kernarg_preload_offset 0
		.amdhsa_user_sgpr_private_segment_size 0
		.amdhsa_uses_dynamic_stack 0
		.amdhsa_system_sgpr_private_segment_wavefront_offset 0
		.amdhsa_system_sgpr_workgroup_id_x 1
		.amdhsa_system_sgpr_workgroup_id_y 0
		.amdhsa_system_sgpr_workgroup_id_z 0
		.amdhsa_system_sgpr_workgroup_info 0
		.amdhsa_system_vgpr_workitem_id 0
		.amdhsa_next_free_vgpr 26
		.amdhsa_next_free_sgpr 54
		.amdhsa_accum_offset 28
		.amdhsa_reserve_vcc 1
		.amdhsa_reserve_flat_scratch 0
		.amdhsa_float_round_mode_32 0
		.amdhsa_float_round_mode_16_64 0
		.amdhsa_float_denorm_mode_32 3
		.amdhsa_float_denorm_mode_16_64 3
		.amdhsa_dx10_clamp 1
		.amdhsa_ieee_mode 1
		.amdhsa_fp16_overflow 0
		.amdhsa_tg_split 0
		.amdhsa_exception_fp_ieee_invalid_op 0
		.amdhsa_exception_fp_denorm_src 0
		.amdhsa_exception_fp_ieee_div_zero 0
		.amdhsa_exception_fp_ieee_overflow 0
		.amdhsa_exception_fp_ieee_underflow 0
		.amdhsa_exception_fp_ieee_inexact 0
		.amdhsa_exception_int_div_zero 0
	.end_amdhsa_kernel
	.section	.text._ZN4vllm38concat_and_cache_mla_rope_fused_kernelIN3c104HalfENS1_8BFloat16ELb0EthLNS_18Fp8KVCacheDataTypeE1EEEvPKlPT_S8_PKS7_PKT0_illlliPT3_S6_iiiiPKf,"axG",@progbits,_ZN4vllm38concat_and_cache_mla_rope_fused_kernelIN3c104HalfENS1_8BFloat16ELb0EthLNS_18Fp8KVCacheDataTypeE1EEEvPKlPT_S8_PKS7_PKT0_illlliPT3_S6_iiiiPKf,comdat
.Lfunc_end83:
	.size	_ZN4vllm38concat_and_cache_mla_rope_fused_kernelIN3c104HalfENS1_8BFloat16ELb0EthLNS_18Fp8KVCacheDataTypeE1EEEvPKlPT_S8_PKS7_PKT0_illlliPT3_S6_iiiiPKf, .Lfunc_end83-_ZN4vllm38concat_and_cache_mla_rope_fused_kernelIN3c104HalfENS1_8BFloat16ELb0EthLNS_18Fp8KVCacheDataTypeE1EEEvPKlPT_S8_PKS7_PKT0_illlliPT3_S6_iiiiPKf
                                        ; -- End function
	.section	.AMDGPU.csdata,"",@progbits
; Kernel info:
; codeLenInByte = 3716
; NumSgprs: 58
; NumVgprs: 26
; NumAgprs: 0
; TotalNumVgprs: 26
; ScratchSize: 0
; MemoryBound: 0
; FloatMode: 240
; IeeeMode: 1
; LDSByteSize: 0 bytes/workgroup (compile time only)
; SGPRBlocks: 7
; VGPRBlocks: 3
; NumSGPRsForWavesPerEU: 58
; NumVGPRsForWavesPerEU: 26
; AccumOffset: 28
; Occupancy: 8
; WaveLimiterHint : 1
; COMPUTE_PGM_RSRC2:SCRATCH_EN: 0
; COMPUTE_PGM_RSRC2:USER_SGPR: 6
; COMPUTE_PGM_RSRC2:TRAP_HANDLER: 0
; COMPUTE_PGM_RSRC2:TGID_X_EN: 1
; COMPUTE_PGM_RSRC2:TGID_Y_EN: 0
; COMPUTE_PGM_RSRC2:TGID_Z_EN: 0
; COMPUTE_PGM_RSRC2:TIDIG_COMP_CNT: 0
; COMPUTE_PGM_RSRC3_GFX90A:ACCUM_OFFSET: 6
; COMPUTE_PGM_RSRC3_GFX90A:TG_SPLIT: 0
	.section	.text._ZN4vllm38concat_and_cache_mla_rope_fused_kernelIN3c108BFloat16EfLb1EthLNS_18Fp8KVCacheDataTypeE1EEEvPKlPT_S7_PKS6_PKT0_illlliPT3_S5_iiiiPKf,"axG",@progbits,_ZN4vllm38concat_and_cache_mla_rope_fused_kernelIN3c108BFloat16EfLb1EthLNS_18Fp8KVCacheDataTypeE1EEEvPKlPT_S7_PKS6_PKT0_illlliPT3_S5_iiiiPKf,comdat
	.protected	_ZN4vllm38concat_and_cache_mla_rope_fused_kernelIN3c108BFloat16EfLb1EthLNS_18Fp8KVCacheDataTypeE1EEEvPKlPT_S7_PKS6_PKT0_illlliPT3_S5_iiiiPKf ; -- Begin function _ZN4vllm38concat_and_cache_mla_rope_fused_kernelIN3c108BFloat16EfLb1EthLNS_18Fp8KVCacheDataTypeE1EEEvPKlPT_S7_PKS6_PKT0_illlliPT3_S5_iiiiPKf
	.globl	_ZN4vllm38concat_and_cache_mla_rope_fused_kernelIN3c108BFloat16EfLb1EthLNS_18Fp8KVCacheDataTypeE1EEEvPKlPT_S7_PKS6_PKT0_illlliPT3_S5_iiiiPKf
	.p2align	8
	.type	_ZN4vllm38concat_and_cache_mla_rope_fused_kernelIN3c108BFloat16EfLb1EthLNS_18Fp8KVCacheDataTypeE1EEEvPKlPT_S7_PKS6_PKT0_illlliPT3_S5_iiiiPKf,@function
_ZN4vllm38concat_and_cache_mla_rope_fused_kernelIN3c108BFloat16EfLb1EthLNS_18Fp8KVCacheDataTypeE1EEEvPKlPT_S7_PKS6_PKT0_illlliPT3_S5_iiiiPKf: ; @_ZN4vllm38concat_and_cache_mla_rope_fused_kernelIN3c108BFloat16EfLb1EthLNS_18Fp8KVCacheDataTypeE1EEEvPKlPT_S7_PKS6_PKT0_illlliPT3_S5_iiiiPKf
; %bb.0:
	s_load_dwordx2 s[2:3], s[4:5], 0x60
	s_mov_b32 s7, 0
	s_lshl_b64 s[0:1], s[6:7], 3
	s_waitcnt lgkmcnt(0)
	s_add_u32 s2, s2, s0
	s_addc_u32 s3, s3, s1
	s_load_dwordx2 s[26:27], s[2:3], 0x0
	s_waitcnt lgkmcnt(0)
	v_cmp_lt_i64_e64 s[2:3], s[26:27], 0
	s_and_b64 vcc, exec, s[2:3]
	s_cbranch_vccnz .LBB84_61
; %bb.1:
	s_load_dword s7, s[4:5], 0x28
	s_load_dwordx2 s[2:3], s[4:5], 0x0
	s_load_dwordx4 s[16:19], s[4:5], 0x10
	s_waitcnt lgkmcnt(0)
	s_ashr_i32 s22, s7, 31
	s_add_u32 s0, s2, s0
	s_addc_u32 s1, s3, s1
	s_load_dwordx2 s[2:3], s[0:1], 0x0
	s_load_dwordx2 s[28:29], s[4:5], 0x20
	s_load_dwordx8 s[8:15], s[4:5], 0x30
	s_load_dwordx2 s[20:21], s[4:5], 0x58
	s_load_dword s23, s[4:5], 0x50
	s_waitcnt lgkmcnt(0)
	s_mul_i32 s0, s2, s22
	s_mul_hi_u32 s1, s2, s7
	s_mul_i32 s3, s3, s7
	s_add_i32 s0, s1, s0
	s_add_i32 s31, s0, s3
	s_lshr_b32 s0, s7, 31
	s_mul_i32 s30, s2, s7
	s_add_i32 s7, s7, s0
	s_ashr_i32 s22, s7, 1
	s_mul_i32 s7, s22, s23
	v_cmp_gt_i32_e32 vcc, s7, v0
	s_and_saveexec_b64 s[24:25], vcc
	s_cbranch_execz .LBB84_4
; %bb.2:
	s_lshl_b64 s[0:1], s[30:31], 2
	s_add_u32 s33, s28, s0
	s_addc_u32 s36, s29, s1
	s_load_dwordx2 s[0:1], s[4:5], 0x8
	s_mul_i32 s2, s6, s9
	s_mul_hi_u32 s3, s6, s8
	s_add_i32 s3, s3, s2
	s_mul_i32 s2, s6, s8
	s_load_dword s8, s[4:5], 0x8c
	s_ashr_i32 s23, s22, 31
	s_lshl_b64 s[2:3], s[2:3], 1
	s_waitcnt lgkmcnt(0)
	s_add_u32 s40, s0, s2
	s_addc_u32 s0, s1, s3
	s_abs_i32 s41, s22
	v_cvt_f32_u32_e32 v1, s41
	s_sub_i32 s1, 0, s41
	v_mov_b32_e32 v3, s36
	s_lshl_b64 s[36:37], s[22:23], 2
	v_rcp_iflag_f32_e32 v1, v1
	s_lshl_b64 s[38:39], s[22:23], 1
	s_and_b32 s42, s8, 0xffff
	s_sub_i32 s43, 0, s22
	v_mul_f32_e32 v1, 0x4f7ffffe, v1
	v_cvt_u32_f32_e32 v1, v1
	s_mov_b64 s[34:35], 0
	v_mov_b32_e32 v4, s37
	v_mov_b32_e32 v5, s0
	v_mul_lo_u32 v2, s1, v1
	v_mul_hi_u32 v2, v1, v2
	v_add_u32_e32 v1, v1, v2
	v_mov_b32_e32 v6, s39
	s_movk_i32 s37, 0x7fff
	v_mov_b32_e32 v7, 0x7fc00000
	v_mov_b32_e32 v8, 0x7fc0
	;; [unrolled: 1-line block ×3, first 2 shown]
.LBB84_3:                               ; =>This Inner Loop Header: Depth=1
	v_sub_u32_e32 v10, 0, v2
	v_max_i32_e32 v10, v2, v10
	v_mul_hi_u32 v11, v10, v1
	v_mul_lo_u32 v12, v11, s41
	v_sub_u32_e32 v10, v10, v12
	v_add_u32_e32 v13, 1, v11
	v_cmp_le_u32_e32 vcc, s41, v10
	v_subrev_u32_e32 v12, s41, v10
	v_cndmask_b32_e32 v11, v11, v13, vcc
	v_cndmask_b32_e32 v10, v10, v12, vcc
	v_ashrrev_i32_e32 v9, 31, v2
	v_add_u32_e32 v12, 1, v11
	v_cmp_le_u32_e32 vcc, s41, v10
	v_xor_b32_e32 v9, s23, v9
	v_cndmask_b32_e32 v10, v11, v12, vcc
	v_xor_b32_e32 v10, v10, v9
	v_sub_u32_e32 v9, v10, v9
	v_mad_u64_u32 v[10:11], s[0:1], s43, v9, v[2:3]
	v_ashrrev_i32_e32 v14, 31, v9
	v_ashrrev_i32_e32 v11, 31, v10
	v_mul_lo_u32 v16, v9, s11
	v_mad_u64_u32 v[12:13], s[0:1], v9, s10, 0
	v_mul_lo_u32 v9, v14, s10
	v_lshlrev_b64 v[14:15], 2, v[10:11]
	v_add_co_u32_e32 v14, vcc, s33, v14
	v_addc_co_u32_e32 v15, vcc, v3, v15, vcc
	v_add3_u32 v13, v13, v16, v9
	v_add_co_u32_e32 v16, vcc, s36, v14
	v_lshlrev_b64 v[12:13], 1, v[12:13]
	v_addc_co_u32_e32 v17, vcc, v15, v4, vcc
	v_add_co_u32_e32 v9, vcc, s40, v12
	v_lshlrev_b64 v[10:11], 1, v[10:11]
	v_addc_co_u32_e32 v12, vcc, v5, v13, vcc
	v_add_co_u32_e32 v10, vcc, v9, v10
	global_load_dword v18, v[14:15], off
	global_load_dword v19, v[16:17], off
	v_addc_co_u32_e32 v11, vcc, v12, v11, vcc
	v_add_co_u32_e32 v12, vcc, s38, v10
	v_addc_co_u32_e32 v13, vcc, v11, v6, vcc
	global_load_ushort v9, v[10:11], off
	global_load_ushort v14, v[12:13], off
	v_add_u32_e32 v2, s42, v2
	v_cmp_le_i32_e32 vcc, s7, v2
	s_or_b64 s[34:35], vcc, s[34:35]
	s_waitcnt vmcnt(3)
	v_bfe_u32 v15, v18, 16, 1
	s_waitcnt vmcnt(2)
	v_bfe_u32 v16, v19, 16, 1
	v_add3_u32 v15, v18, v15, s37
	v_add3_u32 v16, v19, v16, s37
	v_and_b32_e32 v17, 0xffff0000, v15
	v_cmp_o_f32_e32 vcc, v18, v18
	v_and_b32_e32 v18, 0xffff0000, v16
	s_waitcnt vmcnt(1)
	v_lshlrev_b32_e32 v15, 16, v9
	s_waitcnt vmcnt(0)
	v_lshlrev_b32_e32 v14, 16, v14
	v_cndmask_b32_e32 v16, v7, v17, vcc
	v_cmp_o_f32_e32 vcc, v19, v19
	v_cndmask_b32_e32 v17, v7, v18, vcc
	v_mov_b32_e32 v18, v15
	v_mov_b32_e32 v19, v14
	v_pk_mul_f32 v[18:19], v[16:17], v[18:19]
	v_pk_mul_f32 v[14:15], v[16:17], v[14:15]
	v_bfe_u32 v9, v18, 16, 1
	v_bfe_u32 v16, v19, 16, 1
	;; [unrolled: 1-line block ×4, first 2 shown]
	v_add3_u32 v16, v19, v16, s37
	v_add3_u32 v9, v18, v9, s37
	;; [unrolled: 1-line block ×4, first 2 shown]
	v_and_b32_e32 v9, 0xffff0000, v9
	v_and_b32_e32 v16, 0xffff0000, v16
	v_cmp_o_f32_e32 vcc, v18, v18
	v_cmp_o_f32_e64 s[8:9], v19, v19
	v_and_b32_e32 v17, 0xffff0000, v17
	v_and_b32_e32 v18, 0xffff0000, v20
	v_cmp_o_f32_e64 s[0:1], v15, v15
	v_cmp_o_f32_e64 s[2:3], v14, v14
	v_cndmask_b32_e64 v14, v7, v16, s[8:9]
	v_cndmask_b32_e32 v9, v7, v9, vcc
	v_cndmask_b32_e64 v15, v7, v18, s[0:1]
	v_cndmask_b32_e64 v16, v7, v17, s[2:3]
	v_sub_f32_e32 v9, v9, v14
	v_add_f32_e32 v14, v16, v15
	v_bfe_u32 v15, v9, 16, 1
	v_bfe_u32 v16, v14, 16, 1
	v_add3_u32 v15, v9, v15, s37
	v_add3_u32 v16, v14, v16, s37
	v_lshrrev_b32_e32 v15, 16, v15
	v_cmp_o_f32_e64 s[0:1], v9, v9
	v_lshrrev_b32_e32 v16, 16, v16
	v_cmp_o_f32_e32 vcc, v14, v14
	v_cndmask_b32_e64 v9, v8, v15, s[0:1]
	v_cndmask_b32_e32 v14, v8, v16, vcc
	global_store_short v[10:11], v9, off
	global_store_short v[12:13], v14, off
	s_andn2_b64 exec, exec, s[34:35]
	s_cbranch_execnz .LBB84_3
.LBB84_4:
	s_or_b64 exec, exec, s[24:25]
	s_load_dwordx4 s[8:11], s[4:5], 0x68
	s_waitcnt lgkmcnt(0)
	s_ashr_i32 s35, s11, 31
	s_mov_b32 s34, s11
	s_or_b64 s[0:1], s[26:27], s[34:35]
	s_mov_b32 s0, 0
	s_cmp_lg_u64 s[0:1], 0
	s_cbranch_scc0 .LBB84_62
; %bb.5:
	s_add_u32 s0, s34, s35
	s_mov_b32 s2, s35
	s_mov_b32 s3, s35
	s_addc_u32 s1, s35, s35
	s_xor_b64 s[36:37], s[0:1], s[2:3]
	v_cvt_f32_u32_e32 v1, s36
	v_cvt_f32_u32_e32 v2, s37
	s_sub_u32 s0, 0, s36
	s_subb_u32 s1, 0, s37
	v_madmk_f32 v1, v2, 0x4f800000, v1
	v_rcp_f32_e32 v1, v1
	v_mul_f32_e32 v1, 0x5f7ffffc, v1
	v_mul_f32_e32 v2, 0x2f800000, v1
	v_trunc_f32_e32 v2, v2
	v_madmk_f32 v1, v2, 0xcf800000, v1
	v_cvt_u32_f32_e32 v2, v2
	v_cvt_u32_f32_e32 v1, v1
	v_readfirstlane_b32 s7, v2
	v_readfirstlane_b32 s11, v1
	s_mul_i32 s23, s0, s7
	s_mul_hi_u32 s38, s0, s11
	s_mul_i32 s33, s1, s11
	s_add_i32 s23, s38, s23
	s_add_i32 s23, s23, s33
	s_mul_i32 s39, s0, s11
	s_mul_hi_u32 s33, s11, s23
	s_mul_i32 s38, s11, s23
	s_mul_hi_u32 s11, s11, s39
	s_add_u32 s11, s11, s38
	s_addc_u32 s33, 0, s33
	s_mul_hi_u32 s40, s7, s39
	s_mul_i32 s39, s7, s39
	s_add_u32 s11, s11, s39
	s_mul_hi_u32 s38, s7, s23
	s_addc_u32 s11, s33, s40
	s_addc_u32 s33, s38, 0
	s_mul_i32 s23, s7, s23
	s_add_u32 s11, s11, s23
	s_addc_u32 s23, 0, s33
	v_add_co_u32_e32 v1, vcc, s11, v1
	s_cmp_lg_u64 vcc, 0
	s_addc_u32 s7, s7, s23
	v_readfirstlane_b32 s23, v1
	s_mul_i32 s11, s0, s7
	s_mul_hi_u32 s33, s0, s23
	s_add_i32 s11, s33, s11
	s_mul_i32 s1, s1, s23
	s_add_i32 s11, s11, s1
	s_mul_i32 s0, s0, s23
	s_mul_hi_u32 s33, s7, s0
	s_mul_i32 s38, s7, s0
	s_mul_i32 s40, s23, s11
	s_mul_hi_u32 s0, s23, s0
	s_mul_hi_u32 s39, s23, s11
	s_add_u32 s0, s0, s40
	s_addc_u32 s23, 0, s39
	s_add_u32 s0, s0, s38
	s_mul_hi_u32 s1, s7, s11
	s_addc_u32 s0, s23, s33
	s_addc_u32 s1, s1, 0
	s_mul_i32 s11, s7, s11
	s_add_u32 s0, s0, s11
	s_addc_u32 s1, 0, s1
	v_add_co_u32_e32 v1, vcc, s0, v1
	s_cmp_lg_u64 vcc, 0
	s_addc_u32 s7, s7, s1
	s_ashr_i32 s38, s27, 31
	s_add_u32 s0, s26, s38
	s_mov_b32 s39, s38
	s_addc_u32 s1, s27, s38
	s_xor_b64 s[40:41], s[0:1], s[38:39]
	v_readfirstlane_b32 s11, v1
	s_mul_i32 s1, s40, s7
	s_mul_hi_u32 s23, s40, s11
	s_mul_hi_u32 s0, s40, s7
	s_add_u32 s1, s23, s1
	s_addc_u32 s0, 0, s0
	s_mul_hi_u32 s33, s41, s11
	s_mul_i32 s11, s41, s11
	s_add_u32 s1, s1, s11
	s_mul_hi_u32 s23, s41, s7
	s_addc_u32 s0, s0, s33
	s_addc_u32 s1, s23, 0
	s_mul_i32 s7, s41, s7
	s_add_u32 s7, s0, s7
	s_addc_u32 s11, 0, s1
	s_mul_i32 s0, s36, s11
	s_mul_hi_u32 s1, s36, s7
	s_add_i32 s0, s1, s0
	s_mul_i32 s1, s37, s7
	s_add_i32 s23, s0, s1
	s_mul_i32 s1, s36, s7
	v_mov_b32_e32 v1, s1
	s_sub_i32 s0, s41, s23
	v_sub_co_u32_e32 v1, vcc, s40, v1
	s_cmp_lg_u64 vcc, 0
	s_subb_u32 s33, s0, s37
	v_subrev_co_u32_e64 v2, s[0:1], s36, v1
	s_cmp_lg_u64 s[0:1], 0
	s_subb_u32 s0, s33, 0
	s_cmp_ge_u32 s0, s37
	v_readfirstlane_b32 s33, v2
	s_cselect_b32 s1, -1, 0
	s_cmp_ge_u32 s33, s36
	s_cselect_b32 s33, -1, 0
	s_cmp_eq_u32 s0, s37
	s_cselect_b32 s0, s33, s1
	s_add_u32 s1, s7, 1
	s_addc_u32 s33, s11, 0
	s_add_u32 s40, s7, 2
	s_addc_u32 s42, s11, 0
	s_cmp_lg_u32 s0, 0
	s_cselect_b32 s0, s40, s1
	s_cselect_b32 s1, s42, s33
	s_cmp_lg_u64 vcc, 0
	s_subb_u32 s23, s41, s23
	s_cmp_ge_u32 s23, s37
	v_readfirstlane_b32 s40, v1
	s_cselect_b32 s33, -1, 0
	s_cmp_ge_u32 s40, s36
	s_cselect_b32 s36, -1, 0
	s_cmp_eq_u32 s23, s37
	s_cselect_b32 s23, s36, s33
	s_cmp_lg_u32 s23, 0
	s_cselect_b32 s1, s1, s11
	s_cselect_b32 s0, s0, s7
	s_xor_b64 s[2:3], s[38:39], s[2:3]
	s_xor_b64 s[0:1], s[0:1], s[2:3]
	s_sub_u32 s2, s0, s2
	s_subb_u32 s3, s1, s3
	s_cbranch_execnz .LBB84_7
.LBB84_6:
	v_cvt_f32_u32_e32 v1, s34
	s_sub_i32 s0, 0, s34
	s_mov_b32 s3, 0
	v_rcp_iflag_f32_e32 v1, v1
	v_mul_f32_e32 v1, 0x4f7ffffe, v1
	v_cvt_u32_f32_e32 v1, v1
	v_readfirstlane_b32 s1, v1
	s_mul_i32 s0, s0, s1
	s_mul_hi_u32 s0, s1, s0
	s_add_i32 s1, s1, s0
	s_mul_hi_u32 s0, s26, s1
	s_mul_i32 s2, s0, s34
	s_sub_i32 s2, s26, s2
	s_add_i32 s1, s0, 1
	s_sub_i32 s7, s2, s34
	s_cmp_ge_u32 s2, s34
	s_cselect_b32 s0, s1, s0
	s_cselect_b32 s2, s7, s2
	s_add_i32 s1, s0, 1
	s_cmp_ge_u32 s2, s34
	s_cselect_b32 s2, s1, s0
.LBB84_7:
	s_mul_i32 s0, s2, s35
	s_mul_hi_u32 s1, s2, s34
	s_load_dwordx2 s[24:25], s[4:5], 0x78
	s_add_i32 s0, s1, s0
	s_mul_i32 s1, s3, s34
	s_add_i32 s0, s0, s1
	s_mul_i32 s1, s2, s34
	s_sub_u32 s7, s26, s1
	s_subb_u32 s0, s27, s0
	v_cmp_gt_i32_e32 vcc, s22, v0
	s_mul_hi_u32 s46, s2, s8
	s_mul_i32 s47, s3, s8
	s_mul_i32 s48, s2, s8
	s_mul_hi_u32 s33, s7, s9
	s_mul_i32 s3, s0, s9
	s_mul_i32 s11, s7, s9
	s_and_saveexec_b64 s[26:27], vcc
	s_cbranch_execz .LBB84_42
; %bb.8:
	s_ashr_i32 s0, s8, 31
	s_ashr_i32 s1, s9, 31
	s_mul_i32 s0, s2, s0
	s_mul_i32 s1, s7, s1
	s_add_i32 s0, s46, s0
	s_add_i32 s1, s33, s1
	s_ashr_i32 s23, s22, 31
	s_add_i32 s0, s0, s47
	s_add_i32 s1, s1, s3
	s_add_u32 s34, s48, s11
	s_load_dword s36, s[4:5], 0x8c
	s_addc_u32 s35, s0, s1
	s_add_u32 s0, s34, s20
	s_addc_u32 s1, s35, s21
	s_ashr_i32 s37, s10, 31
	s_add_u32 s49, s0, s10
	s_addc_u32 s50, s1, s37
	s_waitcnt lgkmcnt(0)
	s_and_b32 s52, s36, 0xffff
	s_lshl_b64 s[0:1], s[30:31], 2
	s_add_u32 s0, s28, s0
	v_lshlrev_b32_e32 v1, 2, v0
	s_addc_u32 s1, s29, s1
	v_mov_b32_e32 v2, s1
	v_add_co_u32_e32 v4, vcc, s0, v1
	s_mul_i32 s0, s13, s6
	s_mul_hi_u32 s1, s12, s6
	s_add_i32 s1, s1, s0
	s_mul_i32 s0, s12, s6
	s_lshl_b32 s54, s52, 2
	s_lshl_b64 s[28:29], s[22:23], 2
	s_lshl_b64 s[30:31], s[22:23], 1
	;; [unrolled: 1-line block ×3, first 2 shown]
	s_add_u32 s0, s16, s0
	v_addc_co_u32_e32 v5, vcc, 0, v2, vcc
	v_lshlrev_b32_e32 v1, 1, v0
	s_addc_u32 s1, s17, s1
	s_lshl_b32 s55, s52, 1
	v_add_co_u32_e32 v6, vcc, s0, v1
	s_add_u32 s0, s34, s22
	s_load_dword s51, s[24:25], 0x0
	v_mov_b32_e32 v2, s1
	s_addc_u32 s1, s35, s23
	s_add_u32 s0, s0, s10
	s_addc_u32 s1, s1, s37
	s_mov_b32 s53, 0
	s_add_u32 s23, s20, s0
	v_mov_b32_e32 v3, 0
	v_addc_co_u32_e32 v7, vcc, 0, v2, vcc
	s_mov_b32 s56, s53
	s_addc_u32 s57, s21, s1
	s_mov_b64 s[12:13], 0
	v_mov_b32_e32 v1, s29
	v_mov_b32_e32 v10, s31
	s_movk_i32 s29, 0x7fff
	v_mov_b32_e32 v11, 0x7fc00000
	v_mov_b32_e32 v12, 0x7fc0
	s_movk_i32 s31, 0x80
	s_mov_b64 s[16:17], 0x7f800000
	s_mov_b64 s[34:35], 0x43e00001
	s_movk_i32 s58, 0x7a
	s_mov_b64 s[36:37], 0xffffff
	s_movk_i32 s59, 0x7f
	v_mov_b32_e32 v13, 0xffffff82
	v_mov_b32_e32 v14, 0x78
	s_mov_b64 s[38:39], 0
	s_branch .LBB84_10
.LBB84_9:                               ;   in Loop: Header=BB84_10 Depth=1
	s_or_b64 exec, exec, s[0:1]
	s_add_u32 s38, s38, s52
	v_mov_b32_e32 v2, s57
	v_add_co_u32_e32 v16, vcc, s23, v0
	s_addc_u32 s39, s39, 0
	v_addc_co_u32_e32 v17, vcc, 0, v2, vcc
	s_add_u32 s23, s23, s52
	v_mov_b32_e32 v8, s53
	v_add_co_u32_e32 v4, vcc, s54, v4
	s_addc_u32 s57, s57, 0
	v_add_u32_e32 v2, s38, v0
	v_addc_co_u32_e32 v5, vcc, v5, v8, vcc
	s_add_u32 s49, s49, s52
	s_addc_u32 s50, s50, 0
	v_cmp_le_i32_e32 vcc, s22, v2
	v_mov_b32_e32 v8, s56
	s_or_b64 s[12:13], vcc, s[12:13]
	v_add_co_u32_e32 v6, vcc, s55, v6
	v_addc_co_u32_e32 v7, vcc, v7, v8, vcc
	global_store_byte v[16:17], v9, off
	s_andn2_b64 exec, exec, s[12:13]
	s_cbranch_execz .LBB84_42
.LBB84_10:                              ; =>This Inner Loop Header: Depth=1
	v_add_co_u32_e32 v8, vcc, s28, v4
	global_load_dword v2, v[4:5], off
	v_addc_co_u32_e32 v9, vcc, v5, v1, vcc
	global_load_dword v15, v[8:9], off
	v_add_co_u32_e32 v8, vcc, s30, v6
	v_addc_co_u32_e32 v9, vcc, v7, v10, vcc
	global_load_ushort v16, v[6:7], off
	global_load_ushort v18, v[8:9], off
	v_mov_b32_e32 v19, v3
	s_waitcnt vmcnt(3)
	v_bfe_u32 v17, v2, 16, 1
	v_add3_u32 v21, v2, v17, s29
	v_and_b32_e32 v22, 0xffff0000, v21
	s_waitcnt vmcnt(2)
	v_bfe_u32 v20, v15, 16, 1
	v_cmp_o_f32_e32 vcc, v2, v2
	v_cndmask_b32_e32 v22, v11, v22, vcc
	v_cmp_o_f32_e32 vcc, v15, v15
	s_waitcnt vmcnt(1)
	v_lshlrev_b32_e32 v17, 16, v16
	s_waitcnt vmcnt(0)
	v_lshlrev_b32_e32 v16, 16, v18
	v_add3_u32 v18, v15, v20, s29
	v_and_b32_e32 v18, 0xffff0000, v18
	v_mov_b32_e32 v20, v17
	v_mov_b32_e32 v21, v16
	v_cndmask_b32_e32 v23, v11, v18, vcc
	v_pk_mul_f32 v[20:21], v[22:23], v[20:21]
	v_bfe_u32 v15, v21, 16, 1
	v_bfe_u32 v2, v20, 16, 1
	v_add3_u32 v15, v21, v15, s29
	v_add3_u32 v2, v20, v2, s29
	v_and_b32_e32 v15, 0xffff0000, v15
	v_cmp_o_f32_e32 vcc, v21, v21
	v_and_b32_e32 v2, 0xffff0000, v2
	v_cndmask_b32_e32 v15, v11, v15, vcc
	v_cmp_o_f32_e32 vcc, v20, v20
	v_pk_mul_f32 v[16:17], v[22:23], v[16:17]
	v_cndmask_b32_e32 v2, v11, v2, vcc
	v_bfe_u32 v22, v17, 16, 1
	v_sub_f32_e32 v2, v2, v15
	v_add3_u32 v22, v17, v22, s29
	v_bfe_u32 v15, v2, 16, 1
	v_and_b32_e32 v22, 0xffff0000, v22
	v_cmp_o_f32_e32 vcc, v17, v17
	v_add3_u32 v15, v2, v15, s29
	v_cndmask_b32_e32 v17, v11, v22, vcc
	v_lshrrev_b32_e32 v15, 16, v15
	v_cmp_o_f32_e32 vcc, v2, v2
	v_cndmask_b32_e32 v2, v12, v15, vcc
	v_cvt_f32_f16_e32 v15, v2
	v_bfe_u32 v18, v16, 16, 1
	v_add3_u32 v18, v16, v18, s29
	v_and_b32_e32 v18, 0xffff0000, v18
	v_cmp_o_f32_e32 vcc, v16, v16
	v_cndmask_b32_e32 v16, v11, v18, vcc
	s_waitcnt lgkmcnt(0)
	v_div_scale_f32 v18, s[0:1], s51, s51, v15
	v_rcp_f32_e32 v20, v18
	v_add_f32_e32 v16, v16, v17
	v_div_scale_f32 v17, vcc, v15, s51, v15
	v_fma_f32 v21, -v18, v20, 1.0
	v_fmac_f32_e32 v20, v21, v20
	v_mul_f32_e32 v21, v17, v20
	v_fma_f32 v22, -v18, v21, v17
	v_fmac_f32_e32 v21, v22, v20
	v_fma_f32 v17, -v18, v21, v17
	v_div_fmas_f32 v17, v17, v20, v21
	v_div_fixup_f32 v15, v17, s51, v15
	v_cvt_f16_f32_e32 v15, v15
	v_bfe_u32 v17, v16, 16, 1
	v_add3_u32 v17, v16, v17, s29
	v_lshrrev_b32_e32 v18, 16, v17
	v_cvt_f32_f16_e32 v17, v15
	v_cmp_o_f32_e32 vcc, v16, v16
	v_cndmask_b32_e32 v15, v12, v18, vcc
	global_store_short v[6:7], v2, off
	global_store_short v[8:9], v15, off
	v_and_b32_sdwa v16, v17, s31 dst_sel:DWORD dst_unused:UNUSED_PAD src0_sel:BYTE_3 src1_sel:DWORD
	v_and_b32_e32 v18, 0x7f800000, v17
	v_and_b32_e32 v2, 0x7fffff, v17
	v_or_b32_e32 v9, 0x7e, v16
	v_cmp_ne_u64_e32 vcc, s[16:17], v[18:19]
	s_and_saveexec_b64 s[0:1], vcc
	s_xor_b64 s[40:41], exec, s[0:1]
	s_cbranch_execz .LBB84_24
; %bb.11:                               ;   in Loop: Header=BB84_10 Depth=1
	v_and_b32_e32 v18, 0x7fffffff, v17
	v_mov_b32_e32 v19, v3
	v_cmp_gt_u64_e32 vcc, s[34:35], v[18:19]
	s_and_saveexec_b64 s[0:1], vcc
	s_xor_b64 s[42:43], exec, s[0:1]
	s_cbranch_execz .LBB84_23
; %bb.12:                               ;   in Loop: Header=BB84_10 Depth=1
	v_cmp_ne_u32_e32 vcc, 0, v17
	v_mov_b32_e32 v9, 0
	s_and_saveexec_b64 s[44:45], vcc
	s_cbranch_execz .LBB84_22
; %bb.13:                               ;   in Loop: Header=BB84_10 Depth=1
	v_bfe_u32 v8, v17, 23, 8
	v_sub_u32_e32 v17, 0x79, v8
	v_cmp_gt_u32_e32 vcc, s58, v8
	v_cndmask_b32_e32 v17, 0, v17, vcc
	v_cmp_eq_u32_e32 vcc, 0, v8
	v_cndmask_b32_e32 v17, v17, v14, vcc
	v_add_u32_e32 v9, 0xffffff81, v8
	v_or_b32_e32 v18, 0x800000, v2
	v_add_u32_e32 v8, 20, v17
	v_cndmask_b32_e32 v19, v9, v13, vcc
	v_cndmask_b32_e32 v2, v18, v2, vcc
	v_lshlrev_b64 v[8:9], v8, -1
	v_not_b32_e32 v8, v8
	v_lshrrev_b64 v[22:23], v17, v[2:3]
	v_not_b32_e32 v9, v9
	v_and_b32_e32 v8, v2, v8
	v_add_u32_e32 v18, 19, v17
	v_lshrrev_b32_e32 v2, 23, v22
	v_and_b32_e32 v9, 0, v9
	v_lshlrev_b64 v[20:21], v18, 1
	v_add3_u32 v18, v17, v19, v2
	v_bfe_u32 v2, v22, 20, 1
	v_add_u32_e32 v2, -1, v2
	v_cmp_eq_u64_e32 vcc, v[8:9], v[20:21]
	v_cndmask_b32_e32 v2, 0, v2, vcc
	v_add_u32_e32 v2, v2, v22
	v_and_b32_e32 v2, 0xfffff, v2
	v_add_co_u32_e32 v8, vcc, v2, v22
	v_add_u32_e32 v17, 6, v18
	v_addc_co_u32_e32 v9, vcc, 0, v23, vcc
	v_cmp_ne_u32_e32 vcc, 0, v17
                                        ; implicit-def: $vgpr2
	s_and_saveexec_b64 s[0:1], vcc
	s_xor_b64 s[0:1], exec, s[0:1]
; %bb.14:                               ;   in Loop: Header=BB84_10 Depth=1
	v_add_u32_e32 v2, 7, v18
	v_cmp_lt_u64_e32 vcc, s[36:37], v[8:9]
	v_cndmask_b32_e32 v2, v17, v2, vcc
	v_cndmask_b32_e64 v17, 0, 1, vcc
	v_lshrrev_b64 v[8:9], v17, v[8:9]
; %bb.15:                               ;   in Loop: Header=BB84_10 Depth=1
	s_andn2_saveexec_b64 s[0:1], s[0:1]
; %bb.16:                               ;   in Loop: Header=BB84_10 Depth=1
	v_bfe_u32 v2, v8, 23, 1
; %bb.17:                               ;   in Loop: Header=BB84_10 Depth=1
	s_or_b64 exec, exec, s[0:1]
	v_lshrrev_b64 v[8:9], 20, v[8:9]
	v_cmp_gt_i32_e32 vcc, 16, v2
	v_cndmask_b32_e32 v9, 0, v9, vcc
	v_cndmask_b32_e32 v8, 7, v8, vcc
	v_cmp_ne_u32_e32 vcc, 0, v2
	v_cmp_ne_u64_e64 s[0:1], 0, v[8:9]
	s_or_b64 s[0:1], vcc, s[0:1]
                                        ; implicit-def: $vgpr9
	s_and_saveexec_b64 s[60:61], s[0:1]
	s_xor_b64 s[0:1], exec, s[60:61]
; %bb.18:                               ;   in Loop: Header=BB84_10 Depth=1
	v_min_i32_e32 v2, 15, v2
	v_lshl_or_b32 v2, v2, 3, v16
	v_and_or_b32 v9, v8, 7, v2
                                        ; implicit-def: $vgpr16
; %bb.19:                               ;   in Loop: Header=BB84_10 Depth=1
	s_andn2_saveexec_b64 s[0:1], s[0:1]
; %bb.20:                               ;   in Loop: Header=BB84_10 Depth=1
	v_mov_b32_e32 v9, v16
; %bb.21:                               ;   in Loop: Header=BB84_10 Depth=1
	s_or_b64 exec, exec, s[0:1]
.LBB84_22:                              ;   in Loop: Header=BB84_10 Depth=1
	s_or_b64 exec, exec, s[44:45]
.LBB84_23:                              ;   in Loop: Header=BB84_10 Depth=1
	s_andn2_saveexec_b64 s[0:1], s[42:43]
	s_or_b64 exec, exec, s[0:1]
                                        ; implicit-def: $vgpr17
.LBB84_24:                              ;   in Loop: Header=BB84_10 Depth=1
	s_andn2_saveexec_b64 s[0:1], s[40:41]
; %bb.25:                               ;   in Loop: Header=BB84_10 Depth=1
	v_or_b32_sdwa v8, v17, s59 dst_sel:DWORD dst_unused:UNUSED_PAD src0_sel:BYTE_3 src1_sel:DWORD
	v_cmp_eq_u64_e32 vcc, 0, v[2:3]
	v_cndmask_b32_e32 v9, v8, v9, vcc
; %bb.26:                               ;   in Loop: Header=BB84_10 Depth=1
	s_or_b64 exec, exec, s[0:1]
	v_cvt_f32_f16_e32 v2, v15
	v_div_scale_f32 v8, s[0:1], s51, s51, v2
	v_rcp_f32_e32 v15, v8
	v_div_scale_f32 v16, vcc, v2, s51, v2
	v_fma_f32 v17, -v8, v15, 1.0
	v_fmac_f32_e32 v15, v17, v15
	v_mul_f32_e32 v17, v16, v15
	v_fma_f32 v18, -v8, v17, v16
	v_fmac_f32_e32 v17, v18, v15
	v_fma_f32 v8, -v8, v17, v16
	v_div_fmas_f32 v8, v8, v15, v17
	v_div_fixup_f32 v2, v8, s51, v2
	v_cvt_f16_f32_e32 v2, v2
	v_mov_b32_e32 v15, s50
	v_add_co_u32_e32 v16, vcc, s49, v0
	v_cvt_f32_f16_e32 v8, v2
	v_addc_co_u32_e32 v17, vcc, 0, v15, vcc
	global_store_byte v[16:17], v9, off
	v_and_b32_sdwa v15, v8, s31 dst_sel:DWORD dst_unused:UNUSED_PAD src0_sel:BYTE_3 src1_sel:DWORD
	v_and_b32_e32 v16, 0x7f800000, v8
	v_mov_b32_e32 v17, v3
	v_and_b32_e32 v2, 0x7fffff, v8
	v_or_b32_e32 v9, 0x7e, v15
	v_cmp_ne_u64_e32 vcc, s[16:17], v[16:17]
	s_and_saveexec_b64 s[0:1], vcc
	s_xor_b64 s[40:41], exec, s[0:1]
	s_cbranch_execz .LBB84_40
; %bb.27:                               ;   in Loop: Header=BB84_10 Depth=1
	v_and_b32_e32 v16, 0x7fffffff, v8
	v_mov_b32_e32 v17, v3
	v_cmp_gt_u64_e32 vcc, s[34:35], v[16:17]
	s_and_saveexec_b64 s[0:1], vcc
	s_xor_b64 s[42:43], exec, s[0:1]
	s_cbranch_execz .LBB84_39
; %bb.28:                               ;   in Loop: Header=BB84_10 Depth=1
	v_cmp_ne_u32_e32 vcc, 0, v8
	v_mov_b32_e32 v9, 0
	s_and_saveexec_b64 s[44:45], vcc
	s_cbranch_execz .LBB84_38
; %bb.29:                               ;   in Loop: Header=BB84_10 Depth=1
	v_bfe_u32 v8, v8, 23, 8
	v_sub_u32_e32 v16, 0x79, v8
	v_cmp_gt_u32_e32 vcc, s58, v8
	v_cndmask_b32_e32 v16, 0, v16, vcc
	v_cmp_eq_u32_e32 vcc, 0, v8
	v_cndmask_b32_e32 v16, v16, v14, vcc
	v_add_u32_e32 v9, 0xffffff81, v8
	v_or_b32_e32 v17, 0x800000, v2
	v_add_u32_e32 v8, 20, v16
	v_cndmask_b32_e32 v22, v9, v13, vcc
	v_cndmask_b32_e32 v2, v17, v2, vcc
	v_lshlrev_b64 v[8:9], v8, -1
	v_not_b32_e32 v8, v8
	v_lshrrev_b64 v[20:21], v16, v[2:3]
	v_not_b32_e32 v9, v9
	v_and_b32_e32 v8, v2, v8
	v_add_u32_e32 v17, 19, v16
	v_lshrrev_b32_e32 v2, 23, v20
	v_and_b32_e32 v9, 0, v9
	v_lshlrev_b64 v[18:19], v17, 1
	v_add3_u32 v17, v16, v22, v2
	v_bfe_u32 v2, v20, 20, 1
	v_add_u32_e32 v2, -1, v2
	v_cmp_eq_u64_e32 vcc, v[8:9], v[18:19]
	v_cndmask_b32_e32 v2, 0, v2, vcc
	v_add_u32_e32 v2, v2, v20
	v_and_b32_e32 v2, 0xfffff, v2
	v_add_co_u32_e32 v8, vcc, v2, v20
	v_add_u32_e32 v16, 6, v17
	v_addc_co_u32_e32 v9, vcc, 0, v21, vcc
	v_cmp_ne_u32_e32 vcc, 0, v16
                                        ; implicit-def: $vgpr2
	s_and_saveexec_b64 s[0:1], vcc
	s_xor_b64 s[0:1], exec, s[0:1]
; %bb.30:                               ;   in Loop: Header=BB84_10 Depth=1
	v_add_u32_e32 v2, 7, v17
	v_cmp_lt_u64_e32 vcc, s[36:37], v[8:9]
	v_cndmask_b32_e32 v2, v16, v2, vcc
	v_cndmask_b32_e64 v16, 0, 1, vcc
	v_lshrrev_b64 v[8:9], v16, v[8:9]
; %bb.31:                               ;   in Loop: Header=BB84_10 Depth=1
	s_andn2_saveexec_b64 s[0:1], s[0:1]
; %bb.32:                               ;   in Loop: Header=BB84_10 Depth=1
	v_bfe_u32 v2, v8, 23, 1
; %bb.33:                               ;   in Loop: Header=BB84_10 Depth=1
	s_or_b64 exec, exec, s[0:1]
	v_lshrrev_b64 v[8:9], 20, v[8:9]
	v_cmp_gt_i32_e32 vcc, 16, v2
	v_cndmask_b32_e32 v9, 0, v9, vcc
	v_cndmask_b32_e32 v8, 7, v8, vcc
	v_cmp_ne_u32_e32 vcc, 0, v2
	v_cmp_ne_u64_e64 s[0:1], 0, v[8:9]
	s_or_b64 s[0:1], vcc, s[0:1]
                                        ; implicit-def: $vgpr9
	s_and_saveexec_b64 s[60:61], s[0:1]
	s_xor_b64 s[0:1], exec, s[60:61]
; %bb.34:                               ;   in Loop: Header=BB84_10 Depth=1
	v_min_i32_e32 v2, 15, v2
	v_lshl_or_b32 v2, v2, 3, v15
	v_and_or_b32 v9, v8, 7, v2
                                        ; implicit-def: $vgpr15
; %bb.35:                               ;   in Loop: Header=BB84_10 Depth=1
	s_andn2_saveexec_b64 s[0:1], s[0:1]
; %bb.36:                               ;   in Loop: Header=BB84_10 Depth=1
	v_mov_b32_e32 v9, v15
; %bb.37:                               ;   in Loop: Header=BB84_10 Depth=1
	s_or_b64 exec, exec, s[0:1]
.LBB84_38:                              ;   in Loop: Header=BB84_10 Depth=1
	s_or_b64 exec, exec, s[44:45]
.LBB84_39:                              ;   in Loop: Header=BB84_10 Depth=1
	s_andn2_saveexec_b64 s[0:1], s[42:43]
	s_or_b64 exec, exec, s[0:1]
                                        ; implicit-def: $vgpr8
.LBB84_40:                              ;   in Loop: Header=BB84_10 Depth=1
	s_andn2_saveexec_b64 s[0:1], s[40:41]
	s_cbranch_execz .LBB84_9
; %bb.41:                               ;   in Loop: Header=BB84_10 Depth=1
	v_or_b32_sdwa v8, v8, s59 dst_sel:DWORD dst_unused:UNUSED_PAD src0_sel:BYTE_3 src1_sel:DWORD
	v_cmp_eq_u64_e32 vcc, 0, v[2:3]
	v_cndmask_b32_e32 v9, v8, v9, vcc
	s_branch .LBB84_9
.LBB84_42:
	s_or_b64 exec, exec, s[26:27]
	v_cmp_gt_i32_e32 vcc, s10, v0
	s_and_saveexec_b64 s[0:1], vcc
	s_cbranch_execz .LBB84_61
; %bb.43:
	s_mul_i32 s0, s6, s15
	s_mul_hi_u32 s1, s6, s14
	s_add_i32 s1, s1, s0
	s_mul_i32 s0, s6, s14
	s_lshl_b64 s[0:1], s[0:1], 1
	s_add_u32 s18, s18, s0
	s_addc_u32 s0, s19, s1
	s_ashr_i32 s1, s8, 31
	s_mul_i32 s1, s2, s1
	s_add_i32 s1, s46, s1
	s_add_i32 s1, s1, s47
	s_add_u32 s2, s20, s48
	s_addc_u32 s1, s21, s1
	s_ashr_i32 s6, s9, 31
	s_load_dword s4, s[4:5], 0x8c
	s_mul_i32 s7, s7, s6
	s_waitcnt lgkmcnt(0)
	s_load_dword s20, s[24:25], 0x0
	s_add_i32 s6, s33, s7
	s_add_i32 s6, s6, s3
	s_add_u32 s11, s2, s11
	s_addc_u32 s19, s1, s6
	s_and_b32 s21, s4, 0xffff
	s_mov_b64 s[2:3], 0
	v_mov_b32_e32 v6, s0
	v_mov_b32_e32 v3, 0
	s_movk_i32 s22, 0x80
	s_mov_b64 s[4:5], 0x7f800000
	s_mov_b64 s[6:7], 0x43e00001
	s_movk_i32 s23, 0x7a
	s_mov_b64 s[8:9], 0xffffff
	s_movk_i32 s24, 0x7f
	v_mov_b32_e32 v7, 0xffffff82
	v_mov_b32_e32 v8, 0x78
	s_branch .LBB84_45
.LBB84_44:                              ;   in Loop: Header=BB84_45 Depth=1
	s_or_b64 exec, exec, s[0:1]
	v_mov_b32_e32 v2, s19
	v_add_co_u32_e32 v10, vcc, s11, v0
	v_addc_co_u32_e32 v11, vcc, v2, v1, vcc
	v_add_u32_e32 v0, s21, v0
	v_cmp_le_i32_e32 vcc, s10, v0
	s_or_b64 s[2:3], vcc, s[2:3]
	global_store_byte v[10:11], v5, off
	s_andn2_b64 exec, exec, s[2:3]
	s_cbranch_execz .LBB84_61
.LBB84_45:                              ; =>This Inner Loop Header: Depth=1
	v_ashrrev_i32_e32 v1, 31, v0
	v_lshlrev_b64 v[4:5], 1, v[0:1]
	v_add_co_u32_e32 v4, vcc, s18, v4
	v_addc_co_u32_e32 v5, vcc, v6, v5, vcc
	global_load_ushort v2, v[4:5], off
	s_waitcnt vmcnt(0)
	v_cvt_f32_f16_e32 v2, v2
	s_waitcnt lgkmcnt(0)
	v_div_scale_f32 v4, s[0:1], s20, s20, v2
	v_rcp_f32_e32 v5, v4
	v_div_scale_f32 v9, vcc, v2, s20, v2
	v_fma_f32 v10, -v4, v5, 1.0
	v_fmac_f32_e32 v5, v10, v5
	v_mul_f32_e32 v10, v9, v5
	v_fma_f32 v11, -v4, v10, v9
	v_fmac_f32_e32 v10, v11, v5
	v_fma_f32 v4, -v4, v10, v9
	v_div_fmas_f32 v4, v4, v5, v10
	v_div_fixup_f32 v2, v4, s20, v2
	v_cvt_f16_f32_e32 v2, v2
	v_mov_b32_e32 v11, v3
	v_cvt_f32_f16_e32 v4, v2
	v_and_b32_sdwa v9, v4, s22 dst_sel:DWORD dst_unused:UNUSED_PAD src0_sel:BYTE_3 src1_sel:DWORD
	v_and_b32_e32 v10, 0x7f800000, v4
	v_and_b32_e32 v2, 0x7fffff, v4
	v_or_b32_e32 v5, 0x7e, v9
	v_cmp_ne_u64_e32 vcc, s[4:5], v[10:11]
	s_and_saveexec_b64 s[0:1], vcc
	s_xor_b64 s[12:13], exec, s[0:1]
	s_cbranch_execz .LBB84_59
; %bb.46:                               ;   in Loop: Header=BB84_45 Depth=1
	v_and_b32_e32 v10, 0x7fffffff, v4
	v_mov_b32_e32 v11, v3
	v_cmp_gt_u64_e32 vcc, s[6:7], v[10:11]
	s_and_saveexec_b64 s[0:1], vcc
	s_xor_b64 s[14:15], exec, s[0:1]
	s_cbranch_execz .LBB84_58
; %bb.47:                               ;   in Loop: Header=BB84_45 Depth=1
	v_cmp_ne_u32_e32 vcc, 0, v4
	v_mov_b32_e32 v5, 0
	s_and_saveexec_b64 s[16:17], vcc
	s_cbranch_execz .LBB84_57
; %bb.48:                               ;   in Loop: Header=BB84_45 Depth=1
	v_bfe_u32 v4, v4, 23, 8
	v_sub_u32_e32 v10, 0x79, v4
	v_cmp_gt_u32_e32 vcc, s23, v4
	v_cndmask_b32_e32 v10, 0, v10, vcc
	v_cmp_eq_u32_e32 vcc, 0, v4
	v_cndmask_b32_e32 v10, v10, v8, vcc
	v_add_u32_e32 v5, 0xffffff81, v4
	v_or_b32_e32 v11, 0x800000, v2
	v_add_u32_e32 v4, 20, v10
	v_cndmask_b32_e32 v16, v5, v7, vcc
	v_cndmask_b32_e32 v2, v11, v2, vcc
	v_lshlrev_b64 v[4:5], v4, -1
	v_not_b32_e32 v4, v4
	v_lshrrev_b64 v[14:15], v10, v[2:3]
	v_not_b32_e32 v5, v5
	v_and_b32_e32 v4, v2, v4
	v_add_u32_e32 v11, 19, v10
	v_lshrrev_b32_e32 v2, 23, v14
	v_and_b32_e32 v5, 0, v5
	v_lshlrev_b64 v[12:13], v11, 1
	v_add3_u32 v11, v10, v16, v2
	v_bfe_u32 v2, v14, 20, 1
	v_add_u32_e32 v2, -1, v2
	v_cmp_eq_u64_e32 vcc, v[4:5], v[12:13]
	v_cndmask_b32_e32 v2, 0, v2, vcc
	v_add_u32_e32 v2, v2, v14
	v_and_b32_e32 v2, 0xfffff, v2
	v_add_co_u32_e32 v4, vcc, v2, v14
	v_add_u32_e32 v10, 6, v11
	v_addc_co_u32_e32 v5, vcc, 0, v15, vcc
	v_cmp_ne_u32_e32 vcc, 0, v10
                                        ; implicit-def: $vgpr2
	s_and_saveexec_b64 s[0:1], vcc
	s_xor_b64 s[0:1], exec, s[0:1]
; %bb.49:                               ;   in Loop: Header=BB84_45 Depth=1
	v_add_u32_e32 v2, 7, v11
	v_cmp_lt_u64_e32 vcc, s[8:9], v[4:5]
	v_cndmask_b32_e32 v2, v10, v2, vcc
	v_cndmask_b32_e64 v10, 0, 1, vcc
	v_lshrrev_b64 v[4:5], v10, v[4:5]
; %bb.50:                               ;   in Loop: Header=BB84_45 Depth=1
	s_andn2_saveexec_b64 s[0:1], s[0:1]
; %bb.51:                               ;   in Loop: Header=BB84_45 Depth=1
	v_bfe_u32 v2, v4, 23, 1
; %bb.52:                               ;   in Loop: Header=BB84_45 Depth=1
	s_or_b64 exec, exec, s[0:1]
	v_lshrrev_b64 v[4:5], 20, v[4:5]
	v_cmp_gt_i32_e32 vcc, 16, v2
	v_cndmask_b32_e32 v5, 0, v5, vcc
	v_cndmask_b32_e32 v4, 7, v4, vcc
	v_cmp_ne_u32_e32 vcc, 0, v2
	v_cmp_ne_u64_e64 s[0:1], 0, v[4:5]
	s_or_b64 s[0:1], vcc, s[0:1]
                                        ; implicit-def: $vgpr5
	s_and_saveexec_b64 s[26:27], s[0:1]
	s_xor_b64 s[0:1], exec, s[26:27]
; %bb.53:                               ;   in Loop: Header=BB84_45 Depth=1
	v_min_i32_e32 v2, 15, v2
	v_lshl_or_b32 v2, v2, 3, v9
	v_and_or_b32 v5, v4, 7, v2
                                        ; implicit-def: $vgpr9
; %bb.54:                               ;   in Loop: Header=BB84_45 Depth=1
	s_andn2_saveexec_b64 s[0:1], s[0:1]
; %bb.55:                               ;   in Loop: Header=BB84_45 Depth=1
	v_mov_b32_e32 v5, v9
; %bb.56:                               ;   in Loop: Header=BB84_45 Depth=1
	s_or_b64 exec, exec, s[0:1]
.LBB84_57:                              ;   in Loop: Header=BB84_45 Depth=1
	s_or_b64 exec, exec, s[16:17]
.LBB84_58:                              ;   in Loop: Header=BB84_45 Depth=1
	s_andn2_saveexec_b64 s[0:1], s[14:15]
	s_or_b64 exec, exec, s[0:1]
                                        ; implicit-def: $vgpr4
.LBB84_59:                              ;   in Loop: Header=BB84_45 Depth=1
	s_andn2_saveexec_b64 s[0:1], s[12:13]
	s_cbranch_execz .LBB84_44
; %bb.60:                               ;   in Loop: Header=BB84_45 Depth=1
	v_or_b32_sdwa v4, v4, s24 dst_sel:DWORD dst_unused:UNUSED_PAD src0_sel:BYTE_3 src1_sel:DWORD
	v_cmp_eq_u64_e32 vcc, 0, v[2:3]
	v_cndmask_b32_e32 v5, v4, v5, vcc
	s_branch .LBB84_44
.LBB84_61:
	s_endpgm
.LBB84_62:
                                        ; implicit-def: $sgpr2_sgpr3
	s_branch .LBB84_6
	.section	.rodata,"a",@progbits
	.p2align	6, 0x0
	.amdhsa_kernel _ZN4vllm38concat_and_cache_mla_rope_fused_kernelIN3c108BFloat16EfLb1EthLNS_18Fp8KVCacheDataTypeE1EEEvPKlPT_S7_PKS6_PKT0_illlliPT3_S5_iiiiPKf
		.amdhsa_group_segment_fixed_size 0
		.amdhsa_private_segment_fixed_size 0
		.amdhsa_kernarg_size 384
		.amdhsa_user_sgpr_count 6
		.amdhsa_user_sgpr_private_segment_buffer 1
		.amdhsa_user_sgpr_dispatch_ptr 0
		.amdhsa_user_sgpr_queue_ptr 0
		.amdhsa_user_sgpr_kernarg_segment_ptr 1
		.amdhsa_user_sgpr_dispatch_id 0
		.amdhsa_user_sgpr_flat_scratch_init 0
		.amdhsa_user_sgpr_kernarg_preload_length 0
		.amdhsa_user_sgpr_kernarg_preload_offset 0
		.amdhsa_user_sgpr_private_segment_size 0
		.amdhsa_uses_dynamic_stack 0
		.amdhsa_system_sgpr_private_segment_wavefront_offset 0
		.amdhsa_system_sgpr_workgroup_id_x 1
		.amdhsa_system_sgpr_workgroup_id_y 0
		.amdhsa_system_sgpr_workgroup_id_z 0
		.amdhsa_system_sgpr_workgroup_info 0
		.amdhsa_system_vgpr_workitem_id 0
		.amdhsa_next_free_vgpr 24
		.amdhsa_next_free_sgpr 62
		.amdhsa_accum_offset 24
		.amdhsa_reserve_vcc 1
		.amdhsa_reserve_flat_scratch 0
		.amdhsa_float_round_mode_32 0
		.amdhsa_float_round_mode_16_64 0
		.amdhsa_float_denorm_mode_32 3
		.amdhsa_float_denorm_mode_16_64 3
		.amdhsa_dx10_clamp 1
		.amdhsa_ieee_mode 1
		.amdhsa_fp16_overflow 0
		.amdhsa_tg_split 0
		.amdhsa_exception_fp_ieee_invalid_op 0
		.amdhsa_exception_fp_denorm_src 0
		.amdhsa_exception_fp_ieee_div_zero 0
		.amdhsa_exception_fp_ieee_overflow 0
		.amdhsa_exception_fp_ieee_underflow 0
		.amdhsa_exception_fp_ieee_inexact 0
		.amdhsa_exception_int_div_zero 0
	.end_amdhsa_kernel
	.section	.text._ZN4vllm38concat_and_cache_mla_rope_fused_kernelIN3c108BFloat16EfLb1EthLNS_18Fp8KVCacheDataTypeE1EEEvPKlPT_S7_PKS6_PKT0_illlliPT3_S5_iiiiPKf,"axG",@progbits,_ZN4vllm38concat_and_cache_mla_rope_fused_kernelIN3c108BFloat16EfLb1EthLNS_18Fp8KVCacheDataTypeE1EEEvPKlPT_S7_PKS6_PKT0_illlliPT3_S5_iiiiPKf,comdat
.Lfunc_end84:
	.size	_ZN4vllm38concat_and_cache_mla_rope_fused_kernelIN3c108BFloat16EfLb1EthLNS_18Fp8KVCacheDataTypeE1EEEvPKlPT_S7_PKS6_PKT0_illlliPT3_S5_iiiiPKf, .Lfunc_end84-_ZN4vllm38concat_and_cache_mla_rope_fused_kernelIN3c108BFloat16EfLb1EthLNS_18Fp8KVCacheDataTypeE1EEEvPKlPT_S7_PKS6_PKT0_illlliPT3_S5_iiiiPKf
                                        ; -- End function
	.section	.AMDGPU.csdata,"",@progbits
; Kernel info:
; codeLenInByte = 4316
; NumSgprs: 66
; NumVgprs: 24
; NumAgprs: 0
; TotalNumVgprs: 24
; ScratchSize: 0
; MemoryBound: 0
; FloatMode: 240
; IeeeMode: 1
; LDSByteSize: 0 bytes/workgroup (compile time only)
; SGPRBlocks: 8
; VGPRBlocks: 2
; NumSGPRsForWavesPerEU: 66
; NumVGPRsForWavesPerEU: 24
; AccumOffset: 24
; Occupancy: 8
; WaveLimiterHint : 1
; COMPUTE_PGM_RSRC2:SCRATCH_EN: 0
; COMPUTE_PGM_RSRC2:USER_SGPR: 6
; COMPUTE_PGM_RSRC2:TRAP_HANDLER: 0
; COMPUTE_PGM_RSRC2:TGID_X_EN: 1
; COMPUTE_PGM_RSRC2:TGID_Y_EN: 0
; COMPUTE_PGM_RSRC2:TGID_Z_EN: 0
; COMPUTE_PGM_RSRC2:TIDIG_COMP_CNT: 0
; COMPUTE_PGM_RSRC3_GFX90A:ACCUM_OFFSET: 5
; COMPUTE_PGM_RSRC3_GFX90A:TG_SPLIT: 0
	.section	.text._ZN4vllm38concat_and_cache_mla_rope_fused_kernelIN3c108BFloat16EfLb0EthLNS_18Fp8KVCacheDataTypeE1EEEvPKlPT_S7_PKS6_PKT0_illlliPT3_S5_iiiiPKf,"axG",@progbits,_ZN4vllm38concat_and_cache_mla_rope_fused_kernelIN3c108BFloat16EfLb0EthLNS_18Fp8KVCacheDataTypeE1EEEvPKlPT_S7_PKS6_PKT0_illlliPT3_S5_iiiiPKf,comdat
	.protected	_ZN4vllm38concat_and_cache_mla_rope_fused_kernelIN3c108BFloat16EfLb0EthLNS_18Fp8KVCacheDataTypeE1EEEvPKlPT_S7_PKS6_PKT0_illlliPT3_S5_iiiiPKf ; -- Begin function _ZN4vllm38concat_and_cache_mla_rope_fused_kernelIN3c108BFloat16EfLb0EthLNS_18Fp8KVCacheDataTypeE1EEEvPKlPT_S7_PKS6_PKT0_illlliPT3_S5_iiiiPKf
	.globl	_ZN4vllm38concat_and_cache_mla_rope_fused_kernelIN3c108BFloat16EfLb0EthLNS_18Fp8KVCacheDataTypeE1EEEvPKlPT_S7_PKS6_PKT0_illlliPT3_S5_iiiiPKf
	.p2align	8
	.type	_ZN4vllm38concat_and_cache_mla_rope_fused_kernelIN3c108BFloat16EfLb0EthLNS_18Fp8KVCacheDataTypeE1EEEvPKlPT_S7_PKS6_PKT0_illlliPT3_S5_iiiiPKf,@function
_ZN4vllm38concat_and_cache_mla_rope_fused_kernelIN3c108BFloat16EfLb0EthLNS_18Fp8KVCacheDataTypeE1EEEvPKlPT_S7_PKS6_PKT0_illlliPT3_S5_iiiiPKf: ; @_ZN4vllm38concat_and_cache_mla_rope_fused_kernelIN3c108BFloat16EfLb0EthLNS_18Fp8KVCacheDataTypeE1EEEvPKlPT_S7_PKS6_PKT0_illlliPT3_S5_iiiiPKf
; %bb.0:
	s_load_dwordx2 s[2:3], s[4:5], 0x60
	s_mov_b32 s7, 0
	s_lshl_b64 s[0:1], s[6:7], 3
	s_waitcnt lgkmcnt(0)
	s_add_u32 s2, s2, s0
	s_addc_u32 s3, s3, s1
	s_load_dwordx2 s[26:27], s[2:3], 0x0
	s_waitcnt lgkmcnt(0)
	v_cmp_lt_i64_e64 s[2:3], s[26:27], 0
	s_and_b64 vcc, exec, s[2:3]
	s_cbranch_vccnz .LBB85_61
; %bb.1:
	s_load_dword s7, s[4:5], 0x28
	s_load_dwordx2 s[2:3], s[4:5], 0x0
	s_load_dwordx4 s[16:19], s[4:5], 0x10
	v_lshlrev_b32_e32 v3, 1, v0
	s_waitcnt lgkmcnt(0)
	s_ashr_i32 s22, s7, 31
	s_add_u32 s0, s2, s0
	s_addc_u32 s1, s3, s1
	s_load_dwordx2 s[20:21], s[0:1], 0x0
	s_load_dwordx2 s[28:29], s[4:5], 0x20
	s_load_dwordx8 s[8:15], s[4:5], 0x30
	s_load_dwordx2 s[2:3], s[4:5], 0x58
	s_load_dword s23, s[4:5], 0x50
	s_waitcnt lgkmcnt(0)
	s_mul_i32 s0, s20, s22
	s_mul_hi_u32 s1, s20, s7
	s_mul_i32 s21, s21, s7
	s_add_i32 s0, s1, s0
	s_add_i32 s31, s0, s21
	s_lshr_b32 s0, s7, 31
	s_mul_i32 s30, s20, s7
	s_add_i32 s7, s7, s0
	s_ashr_i32 s20, s7, 1
	s_mul_i32 s7, s20, s23
	v_cmp_gt_i32_e32 vcc, s7, v0
	s_and_saveexec_b64 s[22:23], vcc
	s_cbranch_execz .LBB85_4
; %bb.2:
	s_lshl_b64 s[0:1], s[30:31], 2
	s_add_u32 s33, s28, s0
	s_addc_u32 s24, s29, s1
	s_load_dwordx2 s[0:1], s[4:5], 0x8
	s_mul_i32 s9, s6, s9
	s_mul_hi_u32 s25, s6, s8
	s_add_i32 s9, s25, s9
	s_load_dword s25, s[4:5], 0x8c
	s_mul_i32 s8, s6, s8
	s_ashr_i32 s21, s20, 31
	s_lshl_b64 s[8:9], s[8:9], 1
	s_waitcnt lgkmcnt(0)
	s_add_u32 s34, s0, s8
	s_addc_u32 s0, s1, s9
	s_abs_i32 s35, s20
	v_cvt_f32_u32_e32 v1, s35
	s_sub_i32 s1, 0, s35
	s_and_b32 s36, s25, 0xffff
	v_mov_b32_e32 v5, s24
	v_rcp_iflag_f32_e32 v1, v1
	s_lshl_b64 s[24:25], s[20:21], 2
	s_sub_i32 s37, 0, s20
	s_lshl_b32 s39, s36, 1
	v_mul_f32_e32 v1, 0x4f7ffffe, v1
	v_cvt_u32_f32_e32 v1, v1
	s_mov_b64 s[8:9], 0
	s_movk_i32 s40, 0x7fff
	v_mov_b32_e32 v6, s25
	v_mul_lo_u32 v2, s1, v1
	v_mul_hi_u32 v2, v1, v2
	s_lshl_b32 s1, s20, 1
	v_add_u32_e32 v1, v1, v2
	s_sub_i32 s38, 0, s1
	v_mov_b32_e32 v7, s0
	v_mov_b32_e32 v8, 0x7fc00000
	;; [unrolled: 1-line block ×3, first 2 shown]
	s_mov_b32 s25, 0x5040100
	v_mov_b32_e32 v2, v3
	v_mov_b32_e32 v4, v0
.LBB85_3:                               ; =>This Inner Loop Header: Depth=1
	v_sub_u32_e32 v11, 0, v4
	v_max_i32_e32 v11, v4, v11
	v_mul_hi_u32 v12, v11, v1
	v_mul_lo_u32 v13, v12, s35
	v_sub_u32_e32 v11, v11, v13
	v_add_u32_e32 v14, 1, v12
	v_cmp_le_u32_e32 vcc, s35, v11
	v_subrev_u32_e32 v13, s35, v11
	v_cndmask_b32_e32 v12, v12, v14, vcc
	v_cndmask_b32_e32 v11, v11, v13, vcc
	v_ashrrev_i32_e32 v10, 31, v4
	v_add_u32_e32 v13, 1, v12
	v_cmp_le_u32_e32 vcc, s35, v11
	v_xor_b32_e32 v10, s21, v10
	v_cndmask_b32_e32 v11, v12, v13, vcc
	v_xor_b32_e32 v11, v11, v10
	v_sub_u32_e32 v14, v11, v10
	v_mad_u64_u32 v[10:11], s[0:1], s37, v14, v[4:5]
	v_ashrrev_i32_e32 v11, 31, v10
	v_lshlrev_b64 v[10:11], 2, v[10:11]
	v_ashrrev_i32_e32 v16, 31, v14
	v_add_co_u32_e32 v10, vcc, s33, v10
	v_mul_lo_u32 v17, v14, s11
	v_mad_u64_u32 v[12:13], s[0:1], v14, s10, 0
	v_mul_lo_u32 v16, v16, s10
	v_addc_co_u32_e32 v11, vcc, v5, v11, vcc
	v_add3_u32 v13, v13, v17, v16
	v_add_co_u32_e32 v16, vcc, s24, v10
	v_mad_u64_u32 v[14:15], s[0:1], s38, v14, v[2:3]
	v_lshlrev_b64 v[12:13], 1, v[12:13]
	v_addc_co_u32_e32 v17, vcc, v11, v6, vcc
	v_ashrrev_i32_e32 v15, 31, v14
	v_add_co_u32_e32 v12, vcc, s34, v12
	v_lshlrev_b64 v[14:15], 1, v[14:15]
	v_addc_co_u32_e32 v13, vcc, v7, v13, vcc
	global_load_dword v18, v[10:11], off
	global_load_dword v19, v[16:17], off
	v_add_co_u32_e32 v10, vcc, v12, v14
	v_addc_co_u32_e32 v11, vcc, v13, v15, vcc
	global_load_dword v12, v[10:11], off
	v_add_u32_e32 v4, s36, v4
	v_cmp_le_i32_e32 vcc, s7, v4
	s_or_b64 s[8:9], vcc, s[8:9]
	v_add_u32_e32 v2, s39, v2
	s_waitcnt vmcnt(2)
	v_bfe_u32 v13, v18, 16, 1
	v_add3_u32 v13, v18, v13, s40
	s_waitcnt vmcnt(1)
	v_bfe_u32 v14, v19, 16, 1
	v_and_b32_e32 v15, 0xffff0000, v13
	v_add3_u32 v14, v19, v14, s40
	v_cmp_o_f32_e32 vcc, v18, v18
	s_waitcnt vmcnt(0)
	v_and_b32_e32 v13, 0xffff0000, v12
	v_lshlrev_b32_e32 v12, 16, v12
	v_and_b32_e32 v16, 0xffff0000, v14
	v_cndmask_b32_e32 v14, v8, v15, vcc
	v_cmp_o_f32_e32 vcc, v19, v19
	v_pk_mul_f32 v[14:15], v[14:15], v[12:13] op_sel_hi:[0,1]
	v_cndmask_b32_e32 v16, v8, v16, vcc
	v_bfe_u32 v17, v14, 16, 1
	v_bfe_u32 v18, v15, 16, 1
	v_pk_mul_f32 v[12:13], v[16:17], v[12:13] op_sel_hi:[0,1]
	v_add3_u32 v16, v15, v18, s40
	v_add3_u32 v17, v14, v17, s40
	v_bfe_u32 v18, v13, 16, 1
	v_bfe_u32 v19, v12, 16, 1
	v_and_b32_e32 v17, 0xffff0000, v17
	v_and_b32_e32 v16, 0xffff0000, v16
	v_add3_u32 v19, v12, v19, s40
	v_add3_u32 v18, v13, v18, s40
	v_cmp_o_f32_e32 vcc, v14, v14
	v_cmp_o_f32_e64 s[0:1], v15, v15
	v_and_b32_e32 v18, 0xffff0000, v18
	v_and_b32_e32 v19, 0xffff0000, v19
	v_cndmask_b32_e64 v15, v8, v16, s[0:1]
	v_cndmask_b32_e32 v14, v8, v17, vcc
	v_cmp_o_f32_e32 vcc, v13, v13
	v_cmp_o_f32_e64 s[0:1], v12, v12
	v_cndmask_b32_e64 v13, v8, v19, s[0:1]
	v_cndmask_b32_e32 v12, v8, v18, vcc
	v_pk_add_f32 v[16:17], v[14:15], v[12:13] neg_lo:[0,1] neg_hi:[0,1]
	v_pk_add_f32 v[12:13], v[14:15], v[12:13]
	v_bfe_u32 v12, v16, 16, 1
	v_bfe_u32 v14, v13, 16, 1
	v_add3_u32 v14, v13, v14, s40
	v_add3_u32 v12, v16, v12, s40
	v_lshrrev_b32_e32 v12, 16, v12
	v_lshrrev_b32_e32 v14, 16, v14
	v_cmp_o_f32_e32 vcc, v13, v13
	v_cmp_o_f32_e64 s[0:1], v16, v16
	v_cndmask_b32_e64 v12, v9, v12, s[0:1]
	v_cndmask_b32_e32 v13, v9, v14, vcc
	v_perm_b32 v12, v13, v12, s25
	global_store_dword v[10:11], v12, off
	s_andn2_b64 exec, exec, s[8:9]
	s_cbranch_execnz .LBB85_3
.LBB85_4:
	s_or_b64 exec, exec, s[22:23]
	s_load_dwordx4 s[8:11], s[4:5], 0x68
	s_waitcnt lgkmcnt(0)
	s_ashr_i32 s35, s11, 31
	s_mov_b32 s34, s11
	s_or_b64 s[0:1], s[26:27], s[34:35]
	s_mov_b32 s0, 0
	s_cmp_lg_u64 s[0:1], 0
	s_cbranch_scc0 .LBB85_62
; %bb.5:
	s_add_u32 s0, s34, s35
	s_mov_b32 s22, s35
	s_mov_b32 s23, s35
	s_addc_u32 s1, s35, s35
	s_xor_b64 s[36:37], s[0:1], s[22:23]
	v_cvt_f32_u32_e32 v1, s36
	v_cvt_f32_u32_e32 v2, s37
	s_sub_u32 s0, 0, s36
	s_subb_u32 s1, 0, s37
	v_madmk_f32 v1, v2, 0x4f800000, v1
	v_rcp_f32_e32 v1, v1
	v_mul_f32_e32 v1, 0x5f7ffffc, v1
	v_mul_f32_e32 v2, 0x2f800000, v1
	v_trunc_f32_e32 v2, v2
	v_madmk_f32 v1, v2, 0xcf800000, v1
	v_cvt_u32_f32_e32 v2, v2
	v_cvt_u32_f32_e32 v1, v1
	v_readfirstlane_b32 s7, v2
	v_readfirstlane_b32 s11, v1
	s_mul_i32 s21, s0, s7
	s_mul_hi_u32 s38, s0, s11
	s_mul_i32 s33, s1, s11
	s_add_i32 s21, s38, s21
	s_add_i32 s21, s21, s33
	s_mul_i32 s39, s0, s11
	s_mul_hi_u32 s33, s11, s21
	s_mul_i32 s38, s11, s21
	s_mul_hi_u32 s11, s11, s39
	s_add_u32 s11, s11, s38
	s_addc_u32 s33, 0, s33
	s_mul_hi_u32 s40, s7, s39
	s_mul_i32 s39, s7, s39
	s_add_u32 s11, s11, s39
	s_mul_hi_u32 s38, s7, s21
	s_addc_u32 s11, s33, s40
	s_addc_u32 s33, s38, 0
	s_mul_i32 s21, s7, s21
	s_add_u32 s11, s11, s21
	s_addc_u32 s21, 0, s33
	v_add_co_u32_e32 v1, vcc, s11, v1
	s_cmp_lg_u64 vcc, 0
	s_addc_u32 s7, s7, s21
	v_readfirstlane_b32 s21, v1
	s_mul_i32 s11, s0, s7
	s_mul_hi_u32 s33, s0, s21
	s_add_i32 s11, s33, s11
	s_mul_i32 s1, s1, s21
	s_add_i32 s11, s11, s1
	s_mul_i32 s0, s0, s21
	s_mul_hi_u32 s33, s7, s0
	s_mul_i32 s38, s7, s0
	s_mul_i32 s40, s21, s11
	s_mul_hi_u32 s0, s21, s0
	s_mul_hi_u32 s39, s21, s11
	s_add_u32 s0, s0, s40
	s_addc_u32 s21, 0, s39
	s_add_u32 s0, s0, s38
	s_mul_hi_u32 s1, s7, s11
	s_addc_u32 s0, s21, s33
	s_addc_u32 s1, s1, 0
	s_mul_i32 s11, s7, s11
	s_add_u32 s0, s0, s11
	s_addc_u32 s1, 0, s1
	v_add_co_u32_e32 v1, vcc, s0, v1
	s_cmp_lg_u64 vcc, 0
	s_addc_u32 s7, s7, s1
	s_ashr_i32 s38, s27, 31
	s_add_u32 s0, s26, s38
	s_mov_b32 s39, s38
	s_addc_u32 s1, s27, s38
	s_xor_b64 s[40:41], s[0:1], s[38:39]
	v_readfirstlane_b32 s11, v1
	s_mul_i32 s1, s40, s7
	s_mul_hi_u32 s21, s40, s11
	s_mul_hi_u32 s0, s40, s7
	s_add_u32 s1, s21, s1
	s_addc_u32 s0, 0, s0
	s_mul_hi_u32 s33, s41, s11
	s_mul_i32 s11, s41, s11
	s_add_u32 s1, s1, s11
	s_mul_hi_u32 s21, s41, s7
	s_addc_u32 s0, s0, s33
	s_addc_u32 s1, s21, 0
	s_mul_i32 s7, s41, s7
	s_add_u32 s7, s0, s7
	s_addc_u32 s11, 0, s1
	s_mul_i32 s0, s36, s11
	s_mul_hi_u32 s1, s36, s7
	s_add_i32 s0, s1, s0
	s_mul_i32 s1, s37, s7
	s_add_i32 s21, s0, s1
	s_mul_i32 s1, s36, s7
	v_mov_b32_e32 v1, s1
	s_sub_i32 s0, s41, s21
	v_sub_co_u32_e32 v1, vcc, s40, v1
	s_cmp_lg_u64 vcc, 0
	s_subb_u32 s33, s0, s37
	v_subrev_co_u32_e64 v2, s[0:1], s36, v1
	s_cmp_lg_u64 s[0:1], 0
	s_subb_u32 s0, s33, 0
	s_cmp_ge_u32 s0, s37
	v_readfirstlane_b32 s33, v2
	s_cselect_b32 s1, -1, 0
	s_cmp_ge_u32 s33, s36
	s_cselect_b32 s33, -1, 0
	s_cmp_eq_u32 s0, s37
	s_cselect_b32 s0, s33, s1
	s_add_u32 s1, s7, 1
	s_addc_u32 s33, s11, 0
	s_add_u32 s40, s7, 2
	s_addc_u32 s42, s11, 0
	s_cmp_lg_u32 s0, 0
	s_cselect_b32 s0, s40, s1
	s_cselect_b32 s1, s42, s33
	s_cmp_lg_u64 vcc, 0
	s_subb_u32 s21, s41, s21
	s_cmp_ge_u32 s21, s37
	v_readfirstlane_b32 s40, v1
	s_cselect_b32 s33, -1, 0
	s_cmp_ge_u32 s40, s36
	s_cselect_b32 s36, -1, 0
	s_cmp_eq_u32 s21, s37
	s_cselect_b32 s21, s36, s33
	s_cmp_lg_u32 s21, 0
	s_cselect_b32 s1, s1, s11
	s_cselect_b32 s0, s0, s7
	s_xor_b64 s[22:23], s[38:39], s[22:23]
	s_xor_b64 s[0:1], s[0:1], s[22:23]
	s_sub_u32 s22, s0, s22
	s_subb_u32 s23, s1, s23
	s_cbranch_execnz .LBB85_7
.LBB85_6:
	v_cvt_f32_u32_e32 v1, s34
	s_sub_i32 s0, 0, s34
	s_mov_b32 s23, 0
	v_rcp_iflag_f32_e32 v1, v1
	v_mul_f32_e32 v1, 0x4f7ffffe, v1
	v_cvt_u32_f32_e32 v1, v1
	v_readfirstlane_b32 s1, v1
	s_mul_i32 s0, s0, s1
	s_mul_hi_u32 s0, s1, s0
	s_add_i32 s1, s1, s0
	s_mul_hi_u32 s0, s26, s1
	s_mul_i32 s7, s0, s34
	s_sub_i32 s7, s26, s7
	s_add_i32 s1, s0, 1
	s_sub_i32 s11, s7, s34
	s_cmp_ge_u32 s7, s34
	s_cselect_b32 s0, s1, s0
	s_cselect_b32 s7, s11, s7
	s_add_i32 s1, s0, 1
	s_cmp_ge_u32 s7, s34
	s_cselect_b32 s22, s1, s0
.LBB85_7:
	s_mul_i32 s0, s22, s35
	s_mul_hi_u32 s1, s22, s34
	s_load_dwordx2 s[24:25], s[4:5], 0x78
	s_add_i32 s0, s1, s0
	s_mul_i32 s1, s23, s34
	s_add_i32 s0, s0, s1
	s_mul_i32 s1, s22, s34
	s_sub_u32 s7, s26, s1
	s_subb_u32 s11, s27, s0
	v_cmp_gt_i32_e32 vcc, s20, v0
	s_mul_hi_u32 s42, s22, s8
	s_mul_i32 s43, s23, s8
	s_mul_i32 s44, s22, s8
	s_mul_hi_u32 s33, s7, s9
	s_mul_i32 s11, s11, s9
	s_mul_i32 s23, s7, s9
	s_and_saveexec_b64 s[26:27], vcc
	s_cbranch_execz .LBB85_42
; %bb.8:
	s_ashr_i32 s0, s8, 31
	s_mul_i32 s0, s22, s0
	s_load_dword s1, s[4:5], 0x8c
	s_add_i32 s0, s42, s0
	s_add_i32 s34, s0, s43
	s_ashr_i32 s0, s9, 31
	s_mul_i32 s0, s7, s0
	s_add_i32 s0, s33, s0
	s_ashr_i32 s21, s20, 31
	s_add_i32 s35, s0, s11
	s_ashr_i32 s36, s10, 31
	s_waitcnt lgkmcnt(0)
	s_and_b32 s46, s1, 0xffff
	s_lshl_b64 s[0:1], s[30:31], 2
	s_add_u32 s0, s28, s0
	v_lshlrev_b32_e32 v2, 2, v0
	s_addc_u32 s1, s29, s1
	v_mov_b32_e32 v4, s1
	v_add_co_u32_e32 v1, vcc, s0, v2
	v_addc_co_u32_e32 v8, vcc, 0, v4, vcc
	s_lshl_b64 s[0:1], s[20:21], 2
	v_mov_b32_e32 v4, s1
	v_add_co_u32_e32 v9, vcc, s0, v1
	s_mul_i32 s0, s13, s6
	s_mul_hi_u32 s1, s12, s6
	s_add_i32 s1, s1, s0
	s_mul_i32 s0, s12, s6
	s_lshl_b32 s48, s46, 2
	s_lshl_b64 s[0:1], s[0:1], 1
	s_add_u32 s0, s16, s0
	v_addc_co_u32_e32 v10, vcc, v8, v4, vcc
	s_addc_u32 s1, s17, s1
	v_add_co_u32_e32 v11, vcc, s0, v2
	s_add_u32 s0, s44, s23
	v_mov_b32_e32 v4, s1
	s_addc_u32 s1, s34, s35
	s_add_u32 s12, s2, s10
	s_addc_u32 s13, s3, s36
	s_add_u32 s0, s12, s0
	s_load_dword s45, s[24:25], 0x0
	v_addc_co_u32_e32 v12, vcc, 0, v4, vcc
	s_addc_u32 s1, s13, s1
	v_mov_b32_e32 v2, s1
	v_add_co_u32_e32 v3, vcc, s0, v3
	v_addc_co_u32_e32 v4, vcc, 0, v2, vcc
	v_add_co_u32_e32 v2, vcc, 1, v3
	s_mov_b32 s47, 0
	v_addc_co_u32_e32 v3, vcc, 0, v4, vcc
	s_lshl_b32 s21, s46, 1
	s_mov_b64 s[12:13], 0
	s_movk_i32 s49, 0x7fff
	v_mov_b32_e32 v13, 0x7fc00000
	v_mov_b32_e32 v14, 0x7fc0
	s_mov_b32 s50, 0x5040100
	v_mov_b32_e32 v5, 0
	s_movk_i32 s51, 0x80
	s_mov_b64 s[16:17], 0x7f800000
	s_mov_b64 s[28:29], 0x43e00001
	s_movk_i32 s52, 0x7a
	s_mov_b64 s[30:31], 0xffffff
	s_movk_i32 s53, 0x7f
	v_mov_b32_e32 v15, 0xffffff82
	v_mov_b32_e32 v16, 0x78
	s_mov_b64 s[34:35], 0
	v_mov_b32_e32 v17, v0
	s_branch .LBB85_10
.LBB85_9:                               ;   in Loop: Header=BB85_10 Depth=1
	s_or_b64 exec, exec, s[0:1]
	v_add_u32_e32 v17, s46, v17
	s_add_u32 s34, s34, s48
	s_addc_u32 s35, s35, 0
	v_cmp_le_i32_e32 vcc, s20, v17
	global_store_byte v[2:3], v7, off
	v_mov_b32_e32 v4, s47
	s_or_b64 s[12:13], vcc, s[12:13]
	v_add_co_u32_e32 v2, vcc, s21, v2
	v_addc_co_u32_e32 v3, vcc, v3, v4, vcc
	s_andn2_b64 exec, exec, s[12:13]
	s_cbranch_execz .LBB85_42
.LBB85_10:                              ; =>This Inner Loop Header: Depth=1
	v_mov_b32_e32 v4, s35
	v_add_co_u32_e32 v6, vcc, s34, v1
	v_addc_co_u32_e32 v7, vcc, v8, v4, vcc
	v_add_co_u32_e32 v18, vcc, s34, v9
	v_addc_co_u32_e32 v19, vcc, v10, v4, vcc
	;; [unrolled: 2-line block ×3, first 2 shown]
	global_load_dword v22, v[6:7], off
	global_load_dword v23, v[18:19], off
	;; [unrolled: 1-line block ×3, first 2 shown]
	s_waitcnt vmcnt(2)
	v_bfe_u32 v18, v22, 16, 1
	s_waitcnt vmcnt(1)
	v_bfe_u32 v19, v23, 16, 1
	s_waitcnt vmcnt(0)
	v_and_b32_e32 v7, 0xffff0000, v4
	v_lshlrev_b32_e32 v6, 16, v4
	v_add3_u32 v4, v22, v18, s49
	v_add3_u32 v18, v23, v19, s49
	v_and_b32_e32 v4, 0xffff0000, v4
	v_cmp_o_f32_e32 vcc, v22, v22
	v_and_b32_e32 v18, 0xffff0000, v18
	v_cndmask_b32_e32 v4, v13, v4, vcc
	v_cmp_o_f32_e32 vcc, v23, v23
	v_cndmask_b32_e32 v18, v13, v18, vcc
	v_pk_mul_f32 v[22:23], v[4:5], v[6:7] op_sel_hi:[0,1]
	v_pk_mul_f32 v[6:7], v[18:19], v[6:7] op_sel_hi:[0,1]
	v_bfe_u32 v18, v23, 16, 1
	v_bfe_u32 v4, v22, 16, 1
	;; [unrolled: 1-line block ×3, first 2 shown]
	v_add3_u32 v18, v23, v18, s49
	v_bfe_u32 v24, v6, 16, 1
	v_add3_u32 v4, v22, v4, s49
	v_add3_u32 v19, v7, v19, s49
	v_and_b32_e32 v18, 0xffff0000, v18
	v_cmp_o_f32_e32 vcc, v23, v23
	v_add3_u32 v24, v6, v24, s49
	v_and_b32_e32 v4, 0xffff0000, v4
	v_and_b32_e32 v25, 0xffff0000, v19
	v_cndmask_b32_e32 v19, v13, v18, vcc
	v_cmp_o_f32_e32 vcc, v22, v22
	v_and_b32_e32 v24, 0xffff0000, v24
	v_cndmask_b32_e32 v18, v13, v4, vcc
	v_cmp_o_f32_e32 vcc, v6, v6
	v_cndmask_b32_e32 v23, v13, v24, vcc
	v_cmp_o_f32_e32 vcc, v7, v7
	v_cndmask_b32_e32 v22, v13, v25, vcc
	v_pk_add_f32 v[6:7], v[18:19], v[22:23] neg_lo:[0,1] neg_hi:[0,1]
	v_bfe_u32 v4, v6, 16, 1
	v_add3_u32 v4, v6, v4, s49
	v_lshrrev_b32_e32 v4, 16, v4
	v_cmp_o_f32_e32 vcc, v6, v6
	v_cndmask_b32_e32 v4, v14, v4, vcc
	v_cvt_f32_f16_e32 v24, v4
	v_pk_add_f32 v[6:7], v[18:19], v[22:23]
	v_mov_b32_e32 v25, v5
	s_waitcnt lgkmcnt(0)
	v_div_scale_f32 v26, s[0:1], s45, s45, v24
	v_rcp_f32_e32 v27, v26
	v_div_scale_f32 v6, vcc, v24, s45, v24
	v_fma_f32 v18, -v26, v27, 1.0
	v_fmac_f32_e32 v27, v18, v27
	v_mul_f32_e32 v18, v6, v27
	v_fma_f32 v19, -v26, v18, v6
	v_fmac_f32_e32 v18, v19, v27
	v_fma_f32 v6, -v26, v18, v6
	v_div_fmas_f32 v6, v6, v27, v18
	v_div_fixup_f32 v6, v6, s45, v24
	v_cvt_f16_f32_e32 v6, v6
	v_bfe_u32 v18, v7, 16, 1
	v_add3_u32 v18, v7, v18, s49
	v_lshrrev_b32_e32 v18, 16, v18
	v_cvt_f32_f16_e32 v6, v6
	v_cmp_o_f32_e32 vcc, v7, v7
	v_cndmask_b32_e32 v7, v14, v18, vcc
	v_perm_b32 v18, v7, v4, s50
	v_and_b32_sdwa v19, v6, s51 dst_sel:DWORD dst_unused:UNUSED_PAD src0_sel:BYTE_3 src1_sel:DWORD
	v_and_b32_e32 v24, 0x7f800000, v6
	v_and_b32_e32 v4, 0x7fffff, v6
	v_or_b32_e32 v7, 0x7e, v19
	v_cmp_ne_u64_e32 vcc, s[16:17], v[24:25]
	global_store_dword v[20:21], v18, off
	s_and_saveexec_b64 s[0:1], vcc
	s_xor_b64 s[36:37], exec, s[0:1]
	s_cbranch_execz .LBB85_24
; %bb.11:                               ;   in Loop: Header=BB85_10 Depth=1
	v_and_b32_e32 v20, 0x7fffffff, v6
	v_mov_b32_e32 v21, v5
	v_cmp_gt_u64_e32 vcc, s[28:29], v[20:21]
	s_and_saveexec_b64 s[0:1], vcc
	s_xor_b64 s[38:39], exec, s[0:1]
	s_cbranch_execz .LBB85_23
; %bb.12:                               ;   in Loop: Header=BB85_10 Depth=1
	v_cmp_ne_u32_e32 vcc, 0, v6
	v_mov_b32_e32 v7, 0
	s_and_saveexec_b64 s[40:41], vcc
	s_cbranch_execz .LBB85_22
; %bb.13:                               ;   in Loop: Header=BB85_10 Depth=1
	v_bfe_u32 v6, v6, 23, 8
	v_sub_u32_e32 v20, 0x79, v6
	v_cmp_gt_u32_e32 vcc, s52, v6
	v_cndmask_b32_e32 v20, 0, v20, vcc
	v_cmp_eq_u32_e32 vcc, 0, v6
	v_cndmask_b32_e32 v20, v20, v16, vcc
	v_add_u32_e32 v7, 0xffffff81, v6
	v_or_b32_e32 v21, 0x800000, v4
	v_add_u32_e32 v6, 20, v20
	v_cndmask_b32_e32 v26, v7, v15, vcc
	v_cndmask_b32_e32 v4, v21, v4, vcc
	v_lshlrev_b64 v[6:7], v6, -1
	v_not_b32_e32 v6, v6
	v_lshrrev_b64 v[24:25], v20, v[4:5]
	v_not_b32_e32 v7, v7
	v_and_b32_e32 v6, v4, v6
	v_add_u32_e32 v21, 19, v20
	v_lshrrev_b32_e32 v4, 23, v24
	v_and_b32_e32 v7, 0, v7
	v_lshlrev_b64 v[22:23], v21, 1
	v_add3_u32 v21, v20, v26, v4
	v_bfe_u32 v4, v24, 20, 1
	v_add_u32_e32 v4, -1, v4
	v_cmp_eq_u64_e32 vcc, v[6:7], v[22:23]
	v_cndmask_b32_e32 v4, 0, v4, vcc
	v_add_u32_e32 v4, v4, v24
	v_and_b32_e32 v4, 0xfffff, v4
	v_add_co_u32_e32 v6, vcc, v4, v24
	v_add_u32_e32 v20, 6, v21
	v_addc_co_u32_e32 v7, vcc, 0, v25, vcc
	v_cmp_ne_u32_e32 vcc, 0, v20
                                        ; implicit-def: $vgpr4
	s_and_saveexec_b64 s[0:1], vcc
	s_xor_b64 s[0:1], exec, s[0:1]
; %bb.14:                               ;   in Loop: Header=BB85_10 Depth=1
	v_add_u32_e32 v4, 7, v21
	v_cmp_lt_u64_e32 vcc, s[30:31], v[6:7]
	v_cndmask_b32_e32 v4, v20, v4, vcc
	v_cndmask_b32_e64 v20, 0, 1, vcc
	v_lshrrev_b64 v[6:7], v20, v[6:7]
; %bb.15:                               ;   in Loop: Header=BB85_10 Depth=1
	s_andn2_saveexec_b64 s[0:1], s[0:1]
; %bb.16:                               ;   in Loop: Header=BB85_10 Depth=1
	v_bfe_u32 v4, v6, 23, 1
; %bb.17:                               ;   in Loop: Header=BB85_10 Depth=1
	s_or_b64 exec, exec, s[0:1]
	v_lshrrev_b64 v[6:7], 20, v[6:7]
	v_cmp_gt_i32_e32 vcc, 16, v4
	v_cndmask_b32_e32 v7, 0, v7, vcc
	v_cndmask_b32_e32 v6, 7, v6, vcc
	v_cmp_ne_u32_e32 vcc, 0, v4
	v_cmp_ne_u64_e64 s[0:1], 0, v[6:7]
	s_or_b64 s[0:1], vcc, s[0:1]
                                        ; implicit-def: $vgpr7
	s_and_saveexec_b64 s[54:55], s[0:1]
	s_xor_b64 s[0:1], exec, s[54:55]
; %bb.18:                               ;   in Loop: Header=BB85_10 Depth=1
	v_min_i32_e32 v4, 15, v4
	v_lshl_or_b32 v4, v4, 3, v19
	v_and_or_b32 v7, v6, 7, v4
                                        ; implicit-def: $vgpr19
; %bb.19:                               ;   in Loop: Header=BB85_10 Depth=1
	s_andn2_saveexec_b64 s[0:1], s[0:1]
; %bb.20:                               ;   in Loop: Header=BB85_10 Depth=1
	v_mov_b32_e32 v7, v19
; %bb.21:                               ;   in Loop: Header=BB85_10 Depth=1
	s_or_b64 exec, exec, s[0:1]
.LBB85_22:                              ;   in Loop: Header=BB85_10 Depth=1
	s_or_b64 exec, exec, s[40:41]
.LBB85_23:                              ;   in Loop: Header=BB85_10 Depth=1
	s_andn2_saveexec_b64 s[0:1], s[38:39]
	s_or_b64 exec, exec, s[0:1]
                                        ; implicit-def: $vgpr6
.LBB85_24:                              ;   in Loop: Header=BB85_10 Depth=1
	s_andn2_saveexec_b64 s[0:1], s[36:37]
; %bb.25:                               ;   in Loop: Header=BB85_10 Depth=1
	v_or_b32_sdwa v6, v6, s53 dst_sel:DWORD dst_unused:UNUSED_PAD src0_sel:BYTE_3 src1_sel:DWORD
	v_cmp_eq_u64_e32 vcc, 0, v[4:5]
	v_cndmask_b32_e32 v7, v6, v7, vcc
; %bb.26:                               ;   in Loop: Header=BB85_10 Depth=1
	s_or_b64 exec, exec, s[0:1]
	v_cvt_f32_f16_sdwa v4, v18 dst_sel:DWORD dst_unused:UNUSED_PAD src0_sel:WORD_1
	global_store_byte v[2:3], v7, off offset:-1
	v_div_scale_f32 v6, s[0:1], s45, s45, v4
	v_rcp_f32_e32 v18, v6
	v_div_scale_f32 v19, vcc, v4, s45, v4
	v_fma_f32 v20, -v6, v18, 1.0
	v_fmac_f32_e32 v18, v20, v18
	v_mul_f32_e32 v20, v19, v18
	v_fma_f32 v21, -v6, v20, v19
	v_fmac_f32_e32 v20, v21, v18
	v_fma_f32 v6, -v6, v20, v19
	v_div_fmas_f32 v6, v6, v18, v20
	v_div_fixup_f32 v4, v6, s45, v4
	v_cvt_f16_f32_e32 v4, v4
	v_mov_b32_e32 v21, v5
	v_cvt_f32_f16_e32 v6, v4
	v_and_b32_sdwa v18, v6, s51 dst_sel:DWORD dst_unused:UNUSED_PAD src0_sel:BYTE_3 src1_sel:DWORD
	v_and_b32_e32 v20, 0x7f800000, v6
	v_and_b32_e32 v4, 0x7fffff, v6
	v_or_b32_e32 v7, 0x7e, v18
	v_cmp_ne_u64_e32 vcc, s[16:17], v[20:21]
	s_and_saveexec_b64 s[0:1], vcc
	s_xor_b64 s[36:37], exec, s[0:1]
	s_cbranch_execz .LBB85_40
; %bb.27:                               ;   in Loop: Header=BB85_10 Depth=1
	v_and_b32_e32 v20, 0x7fffffff, v6
	v_mov_b32_e32 v21, v5
	v_cmp_gt_u64_e32 vcc, s[28:29], v[20:21]
	s_and_saveexec_b64 s[0:1], vcc
	s_xor_b64 s[38:39], exec, s[0:1]
	s_cbranch_execz .LBB85_39
; %bb.28:                               ;   in Loop: Header=BB85_10 Depth=1
	v_cmp_ne_u32_e32 vcc, 0, v6
	v_mov_b32_e32 v7, 0
	s_and_saveexec_b64 s[40:41], vcc
	s_cbranch_execz .LBB85_38
; %bb.29:                               ;   in Loop: Header=BB85_10 Depth=1
	v_bfe_u32 v6, v6, 23, 8
	v_sub_u32_e32 v19, 0x79, v6
	v_cmp_gt_u32_e32 vcc, s52, v6
	v_cndmask_b32_e32 v19, 0, v19, vcc
	v_cmp_eq_u32_e32 vcc, 0, v6
	v_cndmask_b32_e32 v19, v19, v16, vcc
	v_add_u32_e32 v7, 0xffffff81, v6
	v_or_b32_e32 v20, 0x800000, v4
	v_add_u32_e32 v6, 20, v19
	v_cndmask_b32_e32 v21, v7, v15, vcc
	v_cndmask_b32_e32 v4, v20, v4, vcc
	v_lshlrev_b64 v[6:7], v6, -1
	v_not_b32_e32 v6, v6
	v_lshrrev_b64 v[24:25], v19, v[4:5]
	v_not_b32_e32 v7, v7
	v_and_b32_e32 v6, v4, v6
	v_add_u32_e32 v20, 19, v19
	v_lshrrev_b32_e32 v4, 23, v24
	v_and_b32_e32 v7, 0, v7
	v_lshlrev_b64 v[22:23], v20, 1
	v_add3_u32 v20, v19, v21, v4
	v_bfe_u32 v4, v24, 20, 1
	v_add_u32_e32 v4, -1, v4
	v_cmp_eq_u64_e32 vcc, v[6:7], v[22:23]
	v_cndmask_b32_e32 v4, 0, v4, vcc
	v_add_u32_e32 v4, v4, v24
	v_and_b32_e32 v4, 0xfffff, v4
	v_add_co_u32_e32 v6, vcc, v4, v24
	v_add_u32_e32 v19, 6, v20
	v_addc_co_u32_e32 v7, vcc, 0, v25, vcc
	v_cmp_ne_u32_e32 vcc, 0, v19
                                        ; implicit-def: $vgpr4
	s_and_saveexec_b64 s[0:1], vcc
	s_xor_b64 s[0:1], exec, s[0:1]
; %bb.30:                               ;   in Loop: Header=BB85_10 Depth=1
	v_add_u32_e32 v4, 7, v20
	v_cmp_lt_u64_e32 vcc, s[30:31], v[6:7]
	v_cndmask_b32_e32 v4, v19, v4, vcc
	v_cndmask_b32_e64 v19, 0, 1, vcc
	v_lshrrev_b64 v[6:7], v19, v[6:7]
; %bb.31:                               ;   in Loop: Header=BB85_10 Depth=1
	s_andn2_saveexec_b64 s[0:1], s[0:1]
; %bb.32:                               ;   in Loop: Header=BB85_10 Depth=1
	v_bfe_u32 v4, v6, 23, 1
; %bb.33:                               ;   in Loop: Header=BB85_10 Depth=1
	s_or_b64 exec, exec, s[0:1]
	v_lshrrev_b64 v[6:7], 20, v[6:7]
	v_cmp_gt_i32_e32 vcc, 16, v4
	v_cndmask_b32_e32 v7, 0, v7, vcc
	v_cndmask_b32_e32 v6, 7, v6, vcc
	v_cmp_ne_u32_e32 vcc, 0, v4
	v_cmp_ne_u64_e64 s[0:1], 0, v[6:7]
	s_or_b64 s[0:1], vcc, s[0:1]
                                        ; implicit-def: $vgpr7
	s_and_saveexec_b64 s[54:55], s[0:1]
	s_xor_b64 s[0:1], exec, s[54:55]
; %bb.34:                               ;   in Loop: Header=BB85_10 Depth=1
	v_min_i32_e32 v4, 15, v4
	v_lshl_or_b32 v4, v4, 3, v18
	v_and_or_b32 v7, v6, 7, v4
                                        ; implicit-def: $vgpr18
; %bb.35:                               ;   in Loop: Header=BB85_10 Depth=1
	s_andn2_saveexec_b64 s[0:1], s[0:1]
; %bb.36:                               ;   in Loop: Header=BB85_10 Depth=1
	v_mov_b32_e32 v7, v18
; %bb.37:                               ;   in Loop: Header=BB85_10 Depth=1
	s_or_b64 exec, exec, s[0:1]
.LBB85_38:                              ;   in Loop: Header=BB85_10 Depth=1
	s_or_b64 exec, exec, s[40:41]
.LBB85_39:                              ;   in Loop: Header=BB85_10 Depth=1
	s_andn2_saveexec_b64 s[0:1], s[38:39]
	s_or_b64 exec, exec, s[0:1]
                                        ; implicit-def: $vgpr6
.LBB85_40:                              ;   in Loop: Header=BB85_10 Depth=1
	s_andn2_saveexec_b64 s[0:1], s[36:37]
	s_cbranch_execz .LBB85_9
; %bb.41:                               ;   in Loop: Header=BB85_10 Depth=1
	v_or_b32_sdwa v6, v6, s53 dst_sel:DWORD dst_unused:UNUSED_PAD src0_sel:BYTE_3 src1_sel:DWORD
	v_cmp_eq_u64_e32 vcc, 0, v[4:5]
	v_cndmask_b32_e32 v7, v6, v7, vcc
	s_branch .LBB85_9
.LBB85_42:
	s_or_b64 exec, exec, s[26:27]
	v_cmp_gt_i32_e32 vcc, s10, v0
	s_and_saveexec_b64 s[0:1], vcc
	s_cbranch_execz .LBB85_61
; %bb.43:
	s_mul_i32 s0, s6, s15
	s_mul_hi_u32 s1, s6, s14
	s_add_i32 s1, s1, s0
	s_mul_i32 s0, s6, s14
	s_lshl_b64 s[0:1], s[0:1], 1
	s_add_u32 s18, s18, s0
	s_addc_u32 s0, s19, s1
	s_ashr_i32 s1, s8, 31
	s_mul_i32 s1, s22, s1
	s_add_i32 s1, s42, s1
	s_add_i32 s1, s1, s43
	s_add_u32 s2, s2, s44
	s_addc_u32 s1, s3, s1
	s_ashr_i32 s3, s9, 31
	s_load_dword s4, s[4:5], 0x8c
	s_mul_i32 s7, s7, s3
	s_waitcnt lgkmcnt(0)
	s_load_dword s20, s[24:25], 0x0
	s_add_i32 s3, s33, s7
	s_add_i32 s3, s3, s11
	s_add_u32 s11, s2, s23
	s_addc_u32 s19, s1, s3
	s_and_b32 s21, s4, 0xffff
	s_mov_b64 s[2:3], 0
	v_mov_b32_e32 v6, s0
	v_mov_b32_e32 v3, 0
	s_movk_i32 s22, 0x80
	s_mov_b64 s[4:5], 0x7f800000
	s_mov_b64 s[6:7], 0x43e00001
	s_movk_i32 s23, 0x7a
	s_mov_b64 s[8:9], 0xffffff
	s_movk_i32 s24, 0x7f
	v_mov_b32_e32 v7, 0xffffff82
	v_mov_b32_e32 v8, 0x78
	s_branch .LBB85_45
.LBB85_44:                              ;   in Loop: Header=BB85_45 Depth=1
	s_or_b64 exec, exec, s[0:1]
	v_mov_b32_e32 v2, s19
	v_add_co_u32_e32 v10, vcc, s11, v0
	v_addc_co_u32_e32 v11, vcc, v2, v1, vcc
	v_add_u32_e32 v0, s21, v0
	v_cmp_le_i32_e32 vcc, s10, v0
	s_or_b64 s[2:3], vcc, s[2:3]
	global_store_byte v[10:11], v5, off
	s_andn2_b64 exec, exec, s[2:3]
	s_cbranch_execz .LBB85_61
.LBB85_45:                              ; =>This Inner Loop Header: Depth=1
	v_ashrrev_i32_e32 v1, 31, v0
	v_lshlrev_b64 v[4:5], 1, v[0:1]
	v_add_co_u32_e32 v4, vcc, s18, v4
	v_addc_co_u32_e32 v5, vcc, v6, v5, vcc
	global_load_ushort v2, v[4:5], off
	s_waitcnt vmcnt(0)
	v_cvt_f32_f16_e32 v2, v2
	s_waitcnt lgkmcnt(0)
	v_div_scale_f32 v4, s[0:1], s20, s20, v2
	v_rcp_f32_e32 v5, v4
	v_div_scale_f32 v9, vcc, v2, s20, v2
	v_fma_f32 v10, -v4, v5, 1.0
	v_fmac_f32_e32 v5, v10, v5
	v_mul_f32_e32 v10, v9, v5
	v_fma_f32 v11, -v4, v10, v9
	v_fmac_f32_e32 v10, v11, v5
	v_fma_f32 v4, -v4, v10, v9
	v_div_fmas_f32 v4, v4, v5, v10
	v_div_fixup_f32 v2, v4, s20, v2
	v_cvt_f16_f32_e32 v2, v2
	v_mov_b32_e32 v11, v3
	v_cvt_f32_f16_e32 v4, v2
	v_and_b32_sdwa v9, v4, s22 dst_sel:DWORD dst_unused:UNUSED_PAD src0_sel:BYTE_3 src1_sel:DWORD
	v_and_b32_e32 v10, 0x7f800000, v4
	v_and_b32_e32 v2, 0x7fffff, v4
	v_or_b32_e32 v5, 0x7e, v9
	v_cmp_ne_u64_e32 vcc, s[4:5], v[10:11]
	s_and_saveexec_b64 s[0:1], vcc
	s_xor_b64 s[12:13], exec, s[0:1]
	s_cbranch_execz .LBB85_59
; %bb.46:                               ;   in Loop: Header=BB85_45 Depth=1
	v_and_b32_e32 v10, 0x7fffffff, v4
	v_mov_b32_e32 v11, v3
	v_cmp_gt_u64_e32 vcc, s[6:7], v[10:11]
	s_and_saveexec_b64 s[0:1], vcc
	s_xor_b64 s[14:15], exec, s[0:1]
	s_cbranch_execz .LBB85_58
; %bb.47:                               ;   in Loop: Header=BB85_45 Depth=1
	v_cmp_ne_u32_e32 vcc, 0, v4
	v_mov_b32_e32 v5, 0
	s_and_saveexec_b64 s[16:17], vcc
	s_cbranch_execz .LBB85_57
; %bb.48:                               ;   in Loop: Header=BB85_45 Depth=1
	v_bfe_u32 v4, v4, 23, 8
	v_sub_u32_e32 v10, 0x79, v4
	v_cmp_gt_u32_e32 vcc, s23, v4
	v_cndmask_b32_e32 v10, 0, v10, vcc
	v_cmp_eq_u32_e32 vcc, 0, v4
	v_cndmask_b32_e32 v10, v10, v8, vcc
	v_add_u32_e32 v5, 0xffffff81, v4
	v_or_b32_e32 v11, 0x800000, v2
	v_add_u32_e32 v4, 20, v10
	v_cndmask_b32_e32 v16, v5, v7, vcc
	v_cndmask_b32_e32 v2, v11, v2, vcc
	v_lshlrev_b64 v[4:5], v4, -1
	v_not_b32_e32 v4, v4
	v_lshrrev_b64 v[14:15], v10, v[2:3]
	v_not_b32_e32 v5, v5
	v_and_b32_e32 v4, v2, v4
	v_add_u32_e32 v11, 19, v10
	v_lshrrev_b32_e32 v2, 23, v14
	v_and_b32_e32 v5, 0, v5
	v_lshlrev_b64 v[12:13], v11, 1
	v_add3_u32 v11, v10, v16, v2
	v_bfe_u32 v2, v14, 20, 1
	v_add_u32_e32 v2, -1, v2
	v_cmp_eq_u64_e32 vcc, v[4:5], v[12:13]
	v_cndmask_b32_e32 v2, 0, v2, vcc
	v_add_u32_e32 v2, v2, v14
	v_and_b32_e32 v2, 0xfffff, v2
	v_add_co_u32_e32 v4, vcc, v2, v14
	v_add_u32_e32 v10, 6, v11
	v_addc_co_u32_e32 v5, vcc, 0, v15, vcc
	v_cmp_ne_u32_e32 vcc, 0, v10
                                        ; implicit-def: $vgpr2
	s_and_saveexec_b64 s[0:1], vcc
	s_xor_b64 s[0:1], exec, s[0:1]
; %bb.49:                               ;   in Loop: Header=BB85_45 Depth=1
	v_add_u32_e32 v2, 7, v11
	v_cmp_lt_u64_e32 vcc, s[8:9], v[4:5]
	v_cndmask_b32_e32 v2, v10, v2, vcc
	v_cndmask_b32_e64 v10, 0, 1, vcc
	v_lshrrev_b64 v[4:5], v10, v[4:5]
; %bb.50:                               ;   in Loop: Header=BB85_45 Depth=1
	s_andn2_saveexec_b64 s[0:1], s[0:1]
; %bb.51:                               ;   in Loop: Header=BB85_45 Depth=1
	v_bfe_u32 v2, v4, 23, 1
; %bb.52:                               ;   in Loop: Header=BB85_45 Depth=1
	s_or_b64 exec, exec, s[0:1]
	v_lshrrev_b64 v[4:5], 20, v[4:5]
	v_cmp_gt_i32_e32 vcc, 16, v2
	v_cndmask_b32_e32 v5, 0, v5, vcc
	v_cndmask_b32_e32 v4, 7, v4, vcc
	v_cmp_ne_u32_e32 vcc, 0, v2
	v_cmp_ne_u64_e64 s[0:1], 0, v[4:5]
	s_or_b64 s[0:1], vcc, s[0:1]
                                        ; implicit-def: $vgpr5
	s_and_saveexec_b64 s[26:27], s[0:1]
	s_xor_b64 s[0:1], exec, s[26:27]
; %bb.53:                               ;   in Loop: Header=BB85_45 Depth=1
	v_min_i32_e32 v2, 15, v2
	v_lshl_or_b32 v2, v2, 3, v9
	v_and_or_b32 v5, v4, 7, v2
                                        ; implicit-def: $vgpr9
; %bb.54:                               ;   in Loop: Header=BB85_45 Depth=1
	s_andn2_saveexec_b64 s[0:1], s[0:1]
; %bb.55:                               ;   in Loop: Header=BB85_45 Depth=1
	v_mov_b32_e32 v5, v9
; %bb.56:                               ;   in Loop: Header=BB85_45 Depth=1
	s_or_b64 exec, exec, s[0:1]
.LBB85_57:                              ;   in Loop: Header=BB85_45 Depth=1
	s_or_b64 exec, exec, s[16:17]
.LBB85_58:                              ;   in Loop: Header=BB85_45 Depth=1
	s_andn2_saveexec_b64 s[0:1], s[14:15]
	s_or_b64 exec, exec, s[0:1]
                                        ; implicit-def: $vgpr4
.LBB85_59:                              ;   in Loop: Header=BB85_45 Depth=1
	s_andn2_saveexec_b64 s[0:1], s[12:13]
	s_cbranch_execz .LBB85_44
; %bb.60:                               ;   in Loop: Header=BB85_45 Depth=1
	v_or_b32_sdwa v4, v4, s24 dst_sel:DWORD dst_unused:UNUSED_PAD src0_sel:BYTE_3 src1_sel:DWORD
	v_cmp_eq_u64_e32 vcc, 0, v[2:3]
	v_cndmask_b32_e32 v5, v4, v5, vcc
	s_branch .LBB85_44
.LBB85_61:
	s_endpgm
.LBB85_62:
                                        ; implicit-def: $sgpr22_sgpr23
	s_branch .LBB85_6
	.section	.rodata,"a",@progbits
	.p2align	6, 0x0
	.amdhsa_kernel _ZN4vllm38concat_and_cache_mla_rope_fused_kernelIN3c108BFloat16EfLb0EthLNS_18Fp8KVCacheDataTypeE1EEEvPKlPT_S7_PKS6_PKT0_illlliPT3_S5_iiiiPKf
		.amdhsa_group_segment_fixed_size 0
		.amdhsa_private_segment_fixed_size 0
		.amdhsa_kernarg_size 384
		.amdhsa_user_sgpr_count 6
		.amdhsa_user_sgpr_private_segment_buffer 1
		.amdhsa_user_sgpr_dispatch_ptr 0
		.amdhsa_user_sgpr_queue_ptr 0
		.amdhsa_user_sgpr_kernarg_segment_ptr 1
		.amdhsa_user_sgpr_dispatch_id 0
		.amdhsa_user_sgpr_flat_scratch_init 0
		.amdhsa_user_sgpr_kernarg_preload_length 0
		.amdhsa_user_sgpr_kernarg_preload_offset 0
		.amdhsa_user_sgpr_private_segment_size 0
		.amdhsa_uses_dynamic_stack 0
		.amdhsa_system_sgpr_private_segment_wavefront_offset 0
		.amdhsa_system_sgpr_workgroup_id_x 1
		.amdhsa_system_sgpr_workgroup_id_y 0
		.amdhsa_system_sgpr_workgroup_id_z 0
		.amdhsa_system_sgpr_workgroup_info 0
		.amdhsa_system_vgpr_workitem_id 0
		.amdhsa_next_free_vgpr 28
		.amdhsa_next_free_sgpr 56
		.amdhsa_accum_offset 28
		.amdhsa_reserve_vcc 1
		.amdhsa_reserve_flat_scratch 0
		.amdhsa_float_round_mode_32 0
		.amdhsa_float_round_mode_16_64 0
		.amdhsa_float_denorm_mode_32 3
		.amdhsa_float_denorm_mode_16_64 3
		.amdhsa_dx10_clamp 1
		.amdhsa_ieee_mode 1
		.amdhsa_fp16_overflow 0
		.amdhsa_tg_split 0
		.amdhsa_exception_fp_ieee_invalid_op 0
		.amdhsa_exception_fp_denorm_src 0
		.amdhsa_exception_fp_ieee_div_zero 0
		.amdhsa_exception_fp_ieee_overflow 0
		.amdhsa_exception_fp_ieee_underflow 0
		.amdhsa_exception_fp_ieee_inexact 0
		.amdhsa_exception_int_div_zero 0
	.end_amdhsa_kernel
	.section	.text._ZN4vllm38concat_and_cache_mla_rope_fused_kernelIN3c108BFloat16EfLb0EthLNS_18Fp8KVCacheDataTypeE1EEEvPKlPT_S7_PKS6_PKT0_illlliPT3_S5_iiiiPKf,"axG",@progbits,_ZN4vllm38concat_and_cache_mla_rope_fused_kernelIN3c108BFloat16EfLb0EthLNS_18Fp8KVCacheDataTypeE1EEEvPKlPT_S7_PKS6_PKT0_illlliPT3_S5_iiiiPKf,comdat
.Lfunc_end85:
	.size	_ZN4vllm38concat_and_cache_mla_rope_fused_kernelIN3c108BFloat16EfLb0EthLNS_18Fp8KVCacheDataTypeE1EEEvPKlPT_S7_PKS6_PKT0_illlliPT3_S5_iiiiPKf, .Lfunc_end85-_ZN4vllm38concat_and_cache_mla_rope_fused_kernelIN3c108BFloat16EfLb0EthLNS_18Fp8KVCacheDataTypeE1EEEvPKlPT_S7_PKS6_PKT0_illlliPT3_S5_iiiiPKf
                                        ; -- End function
	.section	.AMDGPU.csdata,"",@progbits
; Kernel info:
; codeLenInByte = 4284
; NumSgprs: 60
; NumVgprs: 28
; NumAgprs: 0
; TotalNumVgprs: 28
; ScratchSize: 0
; MemoryBound: 0
; FloatMode: 240
; IeeeMode: 1
; LDSByteSize: 0 bytes/workgroup (compile time only)
; SGPRBlocks: 7
; VGPRBlocks: 3
; NumSGPRsForWavesPerEU: 60
; NumVGPRsForWavesPerEU: 28
; AccumOffset: 28
; Occupancy: 8
; WaveLimiterHint : 1
; COMPUTE_PGM_RSRC2:SCRATCH_EN: 0
; COMPUTE_PGM_RSRC2:USER_SGPR: 6
; COMPUTE_PGM_RSRC2:TRAP_HANDLER: 0
; COMPUTE_PGM_RSRC2:TGID_X_EN: 1
; COMPUTE_PGM_RSRC2:TGID_Y_EN: 0
; COMPUTE_PGM_RSRC2:TGID_Z_EN: 0
; COMPUTE_PGM_RSRC2:TIDIG_COMP_CNT: 0
; COMPUTE_PGM_RSRC3_GFX90A:ACCUM_OFFSET: 6
; COMPUTE_PGM_RSRC3_GFX90A:TG_SPLIT: 0
	.section	.text._ZN4vllm38concat_and_cache_mla_rope_fused_kernelIN3c108BFloat16ENS1_4HalfELb1EthLNS_18Fp8KVCacheDataTypeE1EEEvPKlPT_S8_PKS7_PKT0_illlliPT3_S6_iiiiPKf,"axG",@progbits,_ZN4vllm38concat_and_cache_mla_rope_fused_kernelIN3c108BFloat16ENS1_4HalfELb1EthLNS_18Fp8KVCacheDataTypeE1EEEvPKlPT_S8_PKS7_PKT0_illlliPT3_S6_iiiiPKf,comdat
	.protected	_ZN4vllm38concat_and_cache_mla_rope_fused_kernelIN3c108BFloat16ENS1_4HalfELb1EthLNS_18Fp8KVCacheDataTypeE1EEEvPKlPT_S8_PKS7_PKT0_illlliPT3_S6_iiiiPKf ; -- Begin function _ZN4vllm38concat_and_cache_mla_rope_fused_kernelIN3c108BFloat16ENS1_4HalfELb1EthLNS_18Fp8KVCacheDataTypeE1EEEvPKlPT_S8_PKS7_PKT0_illlliPT3_S6_iiiiPKf
	.globl	_ZN4vllm38concat_and_cache_mla_rope_fused_kernelIN3c108BFloat16ENS1_4HalfELb1EthLNS_18Fp8KVCacheDataTypeE1EEEvPKlPT_S8_PKS7_PKT0_illlliPT3_S6_iiiiPKf
	.p2align	8
	.type	_ZN4vllm38concat_and_cache_mla_rope_fused_kernelIN3c108BFloat16ENS1_4HalfELb1EthLNS_18Fp8KVCacheDataTypeE1EEEvPKlPT_S8_PKS7_PKT0_illlliPT3_S6_iiiiPKf,@function
_ZN4vllm38concat_and_cache_mla_rope_fused_kernelIN3c108BFloat16ENS1_4HalfELb1EthLNS_18Fp8KVCacheDataTypeE1EEEvPKlPT_S8_PKS7_PKT0_illlliPT3_S6_iiiiPKf: ; @_ZN4vllm38concat_and_cache_mla_rope_fused_kernelIN3c108BFloat16ENS1_4HalfELb1EthLNS_18Fp8KVCacheDataTypeE1EEEvPKlPT_S8_PKS7_PKT0_illlliPT3_S6_iiiiPKf
; %bb.0:
	s_load_dwordx2 s[2:3], s[4:5], 0x60
	s_mov_b32 s7, 0
	s_lshl_b64 s[0:1], s[6:7], 3
	s_waitcnt lgkmcnt(0)
	s_add_u32 s2, s2, s0
	s_addc_u32 s3, s3, s1
	s_load_dwordx2 s[26:27], s[2:3], 0x0
	s_waitcnt lgkmcnt(0)
	v_cmp_lt_i64_e64 s[2:3], s[26:27], 0
	s_and_b64 vcc, exec, s[2:3]
	s_cbranch_vccnz .LBB86_61
; %bb.1:
	s_load_dword s22, s[4:5], 0x28
	s_load_dwordx2 s[2:3], s[4:5], 0x0
	s_load_dwordx4 s[16:19], s[4:5], 0x10
	s_waitcnt lgkmcnt(0)
	s_ashr_i32 s7, s22, 31
	s_add_u32 s0, s2, s0
	s_addc_u32 s1, s3, s1
	s_load_dwordx2 s[2:3], s[0:1], 0x0
	s_load_dwordx2 s[28:29], s[4:5], 0x20
	s_load_dwordx8 s[8:15], s[4:5], 0x30
	s_load_dwordx2 s[20:21], s[4:5], 0x58
	s_load_dword s23, s[4:5], 0x50
	s_waitcnt lgkmcnt(0)
	s_mul_i32 s0, s2, s7
	s_mul_hi_u32 s1, s2, s22
	s_mul_i32 s3, s3, s22
	s_add_i32 s0, s1, s0
	s_add_i32 s1, s0, s3
	s_mul_i32 s0, s2, s22
	s_lshl_b64 s[30:31], s[0:1], 1
	s_add_u32 s7, s28, s30
	s_addc_u32 s33, s29, s31
	s_lshr_b32 s0, s22, 31
	s_add_i32 s22, s22, s0
	s_ashr_i32 s22, s22, 1
	s_mul_i32 s38, s22, s23
	v_cmp_gt_i32_e32 vcc, s38, v0
	s_and_saveexec_b64 s[24:25], vcc
	s_cbranch_execz .LBB86_4
; %bb.2:
	s_load_dwordx2 s[0:1], s[4:5], 0x8
	s_mul_i32 s2, s6, s9
	s_mul_hi_u32 s3, s6, s8
	s_add_i32 s3, s3, s2
	s_mul_i32 s2, s6, s8
	s_load_dword s8, s[4:5], 0x8c
	s_ashr_i32 s23, s22, 31
	s_lshl_b64 s[2:3], s[2:3], 1
	s_waitcnt lgkmcnt(0)
	s_add_u32 s39, s0, s2
	s_addc_u32 s0, s1, s3
	s_abs_i32 s40, s22
	v_cvt_f32_u32_e32 v1, s40
	s_sub_i32 s1, 0, s40
	s_lshl_b64 s[36:37], s[22:23], 1
	s_mov_b64 s[34:35], 0
	v_rcp_iflag_f32_e32 v2, v1
	v_mov_b32_e32 v1, s33
	s_and_b32 s41, s8, 0xffff
	s_sub_i32 s42, 0, s22
	v_mul_f32_e32 v2, 0x4f7ffffe, v2
	v_cvt_u32_f32_e32 v2, v2
	v_mov_b32_e32 v4, s37
	v_mov_b32_e32 v5, s0
	s_movk_i32 s37, 0x7fff
	v_mul_lo_u32 v3, s1, v2
	v_mul_hi_u32 v3, v2, v3
	v_add_u32_e32 v3, v2, v3
	v_mov_b32_e32 v6, 0x7fc00000
	v_mov_b32_e32 v7, 0x7fc0
	;; [unrolled: 1-line block ×3, first 2 shown]
.LBB86_3:                               ; =>This Inner Loop Header: Depth=1
	v_sub_u32_e32 v9, 0, v2
	v_max_i32_e32 v9, v2, v9
	v_mul_hi_u32 v10, v9, v3
	v_mul_lo_u32 v11, v10, s40
	v_sub_u32_e32 v9, v9, v11
	v_add_u32_e32 v12, 1, v10
	v_cmp_le_u32_e32 vcc, s40, v9
	v_subrev_u32_e32 v11, s40, v9
	v_cndmask_b32_e32 v10, v10, v12, vcc
	v_cndmask_b32_e32 v9, v9, v11, vcc
	v_ashrrev_i32_e32 v8, 31, v2
	v_add_u32_e32 v11, 1, v10
	v_cmp_le_u32_e32 vcc, s40, v9
	v_xor_b32_e32 v8, s23, v8
	v_cndmask_b32_e32 v9, v10, v11, vcc
	v_xor_b32_e32 v9, v9, v8
	v_sub_u32_e32 v10, v9, v8
	v_mad_u64_u32 v[8:9], s[0:1], s42, v10, v[2:3]
	v_ashrrev_i32_e32 v12, 31, v10
	v_ashrrev_i32_e32 v9, 31, v8
	v_mul_lo_u32 v13, v10, s11
	v_mad_u64_u32 v[10:11], s[0:1], v10, s10, 0
	v_mul_lo_u32 v12, v12, s10
	v_lshlrev_b64 v[8:9], 1, v[8:9]
	v_add3_u32 v11, v11, v13, v12
	v_add_co_u32_e32 v12, vcc, s7, v8
	v_addc_co_u32_e32 v13, vcc, v1, v9, vcc
	v_add_co_u32_e32 v14, vcc, s36, v12
	v_lshlrev_b64 v[10:11], 1, v[10:11]
	v_addc_co_u32_e32 v15, vcc, v13, v4, vcc
	global_load_ushort v16, v[12:13], off
	global_load_ushort v17, v[14:15], off
	v_add_co_u32_e32 v10, vcc, s39, v10
	v_addc_co_u32_e32 v11, vcc, v5, v11, vcc
	v_add_co_u32_e32 v8, vcc, v10, v8
	v_addc_co_u32_e32 v9, vcc, v11, v9, vcc
	;; [unrolled: 2-line block ×3, first 2 shown]
	global_load_ushort v12, v[8:9], off
	global_load_ushort v14, v[10:11], off
	v_add_u32_e32 v2, s41, v2
	v_cmp_le_i32_e32 vcc, s38, v2
	s_or_b64 s[34:35], vcc, s[34:35]
	s_waitcnt vmcnt(3)
	v_cvt_f32_f16_e32 v18, v16
	s_waitcnt vmcnt(2)
	v_cvt_f32_f16_e32 v19, v17
	v_cmp_o_f16_e32 vcc, v16, v16
	v_bfe_u32 v20, v18, 16, 1
	v_bfe_u32 v21, v19, 16, 1
	v_add3_u32 v18, v18, v20, s37
	v_add3_u32 v19, v19, v21, s37
	v_and_b32_e32 v18, 0xffff0000, v18
	v_and_b32_e32 v19, 0xffff0000, v19
	v_cndmask_b32_e32 v16, v6, v18, vcc
	v_cmp_o_f16_e32 vcc, v17, v17
	v_cndmask_b32_e32 v17, v6, v19, vcc
	s_waitcnt vmcnt(1)
	v_lshlrev_b32_e32 v13, 16, v12
	s_waitcnt vmcnt(0)
	v_lshlrev_b32_e32 v12, 16, v14
	v_mov_b32_e32 v14, v13
	v_mov_b32_e32 v15, v12
	v_pk_mul_f32 v[14:15], v[16:17], v[14:15]
	v_pk_mul_f32 v[12:13], v[16:17], v[12:13]
	v_bfe_u32 v16, v14, 16, 1
	v_bfe_u32 v17, v15, 16, 1
	;; [unrolled: 1-line block ×4, first 2 shown]
	v_add3_u32 v17, v15, v17, s37
	v_add3_u32 v16, v14, v16, s37
	;; [unrolled: 1-line block ×4, first 2 shown]
	v_and_b32_e32 v16, 0xffff0000, v16
	v_and_b32_e32 v17, 0xffff0000, v17
	v_cmp_o_f32_e32 vcc, v14, v14
	v_cmp_o_f32_e64 s[8:9], v15, v15
	v_and_b32_e32 v14, 0xffff0000, v18
	v_and_b32_e32 v18, 0xffff0000, v19
	v_cmp_o_f32_e64 s[0:1], v13, v13
	v_cmp_o_f32_e64 s[2:3], v12, v12
	v_cndmask_b32_e64 v12, v6, v17, s[8:9]
	v_cndmask_b32_e32 v13, v6, v16, vcc
	v_cndmask_b32_e64 v15, v6, v18, s[0:1]
	v_cndmask_b32_e64 v14, v6, v14, s[2:3]
	v_sub_f32_e32 v12, v13, v12
	v_add_f32_e32 v13, v14, v15
	v_bfe_u32 v14, v12, 16, 1
	v_bfe_u32 v15, v13, 16, 1
	v_add3_u32 v14, v12, v14, s37
	v_add3_u32 v15, v13, v15, s37
	v_lshrrev_b32_e32 v14, 16, v14
	v_cmp_o_f32_e64 s[0:1], v12, v12
	v_lshrrev_b32_e32 v15, 16, v15
	v_cmp_o_f32_e32 vcc, v13, v13
	v_cndmask_b32_e64 v12, v7, v14, s[0:1]
	v_cndmask_b32_e32 v13, v7, v15, vcc
	global_store_short v[8:9], v12, off
	global_store_short v[10:11], v13, off
	s_andn2_b64 exec, exec, s[34:35]
	s_cbranch_execnz .LBB86_3
.LBB86_4:
	s_or_b64 exec, exec, s[24:25]
	s_load_dwordx4 s[8:11], s[4:5], 0x68
	s_waitcnt lgkmcnt(0)
	s_ashr_i32 s35, s11, 31
	s_mov_b32 s34, s11
	s_or_b64 s[0:1], s[26:27], s[34:35]
	s_mov_b32 s0, 0
	s_cmp_lg_u64 s[0:1], 0
	s_cbranch_scc0 .LBB86_62
; %bb.5:
	s_add_u32 s0, s34, s35
	s_mov_b32 s2, s35
	s_mov_b32 s3, s35
	s_addc_u32 s1, s35, s35
	s_xor_b64 s[36:37], s[0:1], s[2:3]
	v_cvt_f32_u32_e32 v1, s36
	v_cvt_f32_u32_e32 v2, s37
	s_sub_u32 s0, 0, s36
	s_subb_u32 s1, 0, s37
	v_madmk_f32 v1, v2, 0x4f800000, v1
	v_rcp_f32_e32 v1, v1
	v_mul_f32_e32 v1, 0x5f7ffffc, v1
	v_mul_f32_e32 v2, 0x2f800000, v1
	v_trunc_f32_e32 v2, v2
	v_madmk_f32 v1, v2, 0xcf800000, v1
	v_cvt_u32_f32_e32 v2, v2
	v_cvt_u32_f32_e32 v1, v1
	v_readfirstlane_b32 s11, v2
	v_readfirstlane_b32 s23, v1
	s_mul_i32 s38, s0, s11
	s_mul_hi_u32 s40, s0, s23
	s_mul_i32 s39, s1, s23
	s_add_i32 s38, s40, s38
	s_add_i32 s38, s38, s39
	s_mul_i32 s41, s0, s23
	s_mul_hi_u32 s39, s23, s38
	s_mul_i32 s40, s23, s38
	s_mul_hi_u32 s23, s23, s41
	s_add_u32 s23, s23, s40
	s_addc_u32 s39, 0, s39
	s_mul_hi_u32 s42, s11, s41
	s_mul_i32 s41, s11, s41
	s_add_u32 s23, s23, s41
	s_mul_hi_u32 s40, s11, s38
	s_addc_u32 s23, s39, s42
	s_addc_u32 s39, s40, 0
	s_mul_i32 s38, s11, s38
	s_add_u32 s23, s23, s38
	s_addc_u32 s38, 0, s39
	v_add_co_u32_e32 v1, vcc, s23, v1
	s_cmp_lg_u64 vcc, 0
	s_addc_u32 s11, s11, s38
	v_readfirstlane_b32 s38, v1
	s_mul_i32 s23, s0, s11
	s_mul_hi_u32 s39, s0, s38
	s_add_i32 s23, s39, s23
	s_mul_i32 s1, s1, s38
	s_add_i32 s23, s23, s1
	s_mul_i32 s0, s0, s38
	s_mul_hi_u32 s39, s11, s0
	s_mul_i32 s40, s11, s0
	s_mul_i32 s42, s38, s23
	s_mul_hi_u32 s0, s38, s0
	s_mul_hi_u32 s41, s38, s23
	s_add_u32 s0, s0, s42
	s_addc_u32 s38, 0, s41
	s_add_u32 s0, s0, s40
	s_mul_hi_u32 s1, s11, s23
	s_addc_u32 s0, s38, s39
	s_addc_u32 s1, s1, 0
	s_mul_i32 s23, s11, s23
	s_add_u32 s0, s0, s23
	s_addc_u32 s1, 0, s1
	v_add_co_u32_e32 v1, vcc, s0, v1
	s_cmp_lg_u64 vcc, 0
	s_addc_u32 s11, s11, s1
	s_ashr_i32 s38, s27, 31
	s_add_u32 s0, s26, s38
	s_mov_b32 s39, s38
	s_addc_u32 s1, s27, s38
	s_xor_b64 s[40:41], s[0:1], s[38:39]
	v_readfirstlane_b32 s23, v1
	s_mul_i32 s1, s40, s11
	s_mul_hi_u32 s42, s40, s23
	s_mul_hi_u32 s0, s40, s11
	s_add_u32 s1, s42, s1
	s_addc_u32 s0, 0, s0
	s_mul_hi_u32 s43, s41, s23
	s_mul_i32 s23, s41, s23
	s_add_u32 s1, s1, s23
	s_mul_hi_u32 s42, s41, s11
	s_addc_u32 s0, s0, s43
	s_addc_u32 s1, s42, 0
	s_mul_i32 s11, s41, s11
	s_add_u32 s11, s0, s11
	s_addc_u32 s23, 0, s1
	s_mul_i32 s0, s36, s23
	s_mul_hi_u32 s1, s36, s11
	s_add_i32 s0, s1, s0
	s_mul_i32 s1, s37, s11
	s_add_i32 s42, s0, s1
	s_mul_i32 s1, s36, s11
	v_mov_b32_e32 v1, s1
	s_sub_i32 s0, s41, s42
	v_sub_co_u32_e32 v1, vcc, s40, v1
	s_cmp_lg_u64 vcc, 0
	s_subb_u32 s40, s0, s37
	v_subrev_co_u32_e64 v2, s[0:1], s36, v1
	s_cmp_lg_u64 s[0:1], 0
	s_subb_u32 s0, s40, 0
	s_cmp_ge_u32 s0, s37
	v_readfirstlane_b32 s40, v2
	s_cselect_b32 s1, -1, 0
	s_cmp_ge_u32 s40, s36
	s_cselect_b32 s40, -1, 0
	s_cmp_eq_u32 s0, s37
	s_cselect_b32 s0, s40, s1
	s_add_u32 s1, s11, 1
	s_addc_u32 s40, s23, 0
	s_add_u32 s43, s11, 2
	s_addc_u32 s44, s23, 0
	s_cmp_lg_u32 s0, 0
	s_cselect_b32 s0, s43, s1
	s_cselect_b32 s1, s44, s40
	s_cmp_lg_u64 vcc, 0
	s_subb_u32 s40, s41, s42
	s_cmp_ge_u32 s40, s37
	v_readfirstlane_b32 s42, v1
	s_cselect_b32 s41, -1, 0
	s_cmp_ge_u32 s42, s36
	s_cselect_b32 s36, -1, 0
	s_cmp_eq_u32 s40, s37
	s_cselect_b32 s36, s36, s41
	s_cmp_lg_u32 s36, 0
	s_cselect_b32 s1, s1, s23
	s_cselect_b32 s0, s0, s11
	s_xor_b64 s[2:3], s[38:39], s[2:3]
	s_xor_b64 s[0:1], s[0:1], s[2:3]
	s_sub_u32 s2, s0, s2
	s_subb_u32 s3, s1, s3
	s_cbranch_execnz .LBB86_7
.LBB86_6:
	v_cvt_f32_u32_e32 v1, s34
	s_sub_i32 s0, 0, s34
	s_mov_b32 s3, 0
	v_rcp_iflag_f32_e32 v1, v1
	v_mul_f32_e32 v1, 0x4f7ffffe, v1
	v_cvt_u32_f32_e32 v1, v1
	v_readfirstlane_b32 s1, v1
	s_mul_i32 s0, s0, s1
	s_mul_hi_u32 s0, s1, s0
	s_add_i32 s1, s1, s0
	s_mul_hi_u32 s0, s26, s1
	s_mul_i32 s2, s0, s34
	s_sub_i32 s2, s26, s2
	s_add_i32 s1, s0, 1
	s_sub_i32 s11, s2, s34
	s_cmp_ge_u32 s2, s34
	s_cselect_b32 s0, s1, s0
	s_cselect_b32 s2, s11, s2
	s_add_i32 s1, s0, 1
	s_cmp_ge_u32 s2, s34
	s_cselect_b32 s2, s1, s0
.LBB86_7:
	s_mul_i32 s0, s2, s35
	s_mul_hi_u32 s1, s2, s34
	s_load_dwordx2 s[24:25], s[4:5], 0x78
	s_add_i32 s0, s1, s0
	s_mul_i32 s1, s3, s34
	s_add_i32 s0, s0, s1
	s_mul_i32 s1, s2, s34
	s_sub_u32 s11, s26, s1
	s_subb_u32 s0, s27, s0
	v_cmp_gt_i32_e32 vcc, s22, v0
	s_mul_hi_u32 s42, s2, s8
	s_mul_i32 s43, s3, s8
	s_mul_i32 s44, s2, s8
	s_mul_hi_u32 s41, s11, s9
	s_mul_i32 s3, s0, s9
	s_mul_i32 s40, s11, s9
	s_and_saveexec_b64 s[26:27], vcc
	s_cbranch_execz .LBB86_42
; %bb.8:
	s_mul_i32 s0, s6, s13
	s_mul_hi_u32 s1, s6, s12
	s_add_i32 s1, s1, s0
	s_mul_i32 s0, s6, s12
	s_ashr_i32 s23, s22, 31
	s_lshl_b64 s[0:1], s[0:1], 1
	s_add_u32 s45, s16, s0
	s_addc_u32 s46, s17, s1
	s_ashr_i32 s12, s8, 31
	s_load_dword s13, s[4:5], 0x8c
	s_mul_i32 s12, s2, s12
	s_add_i32 s12, s42, s12
	s_add_i32 s34, s12, s43
	s_ashr_i32 s12, s9, 31
	s_mul_i32 s12, s11, s12
	s_add_i32 s12, s41, s12
	s_waitcnt lgkmcnt(0)
	s_and_b32 s48, s13, 0xffff
	s_add_i32 s35, s12, s3
	s_ashr_i32 s36, s10, 31
	s_lshl_b32 s50, s48, 1
	s_lshl_b64 s[12:13], s[22:23], 1
	s_add_u32 s30, s30, s12
	s_addc_u32 s31, s31, s13
	s_add_u32 s51, s28, s30
	s_addc_u32 s52, s29, s31
	;; [unrolled: 2-line block ×5, first 2 shown]
	s_add_u32 s0, s0, s10
	s_load_dword s47, s[24:25], 0x0
	s_addc_u32 s1, s1, s36
	s_add_u32 s0, s20, s0
	s_addc_u32 s1, s21, s1
	v_mov_b32_e32 v1, s1
	v_add_co_u32_e32 v6, vcc, s0, v0
	s_mov_b32 s49, 0
	v_mov_b32_e32 v3, 0
	v_lshlrev_b32_e32 v4, 1, v0
	v_addc_co_u32_e32 v7, vcc, 0, v1, vcc
	s_mov_b64 s[12:13], 0
	s_movk_i32 s55, 0x7fff
	v_mov_b32_e32 v1, 0x7fc00000
	v_mov_b32_e32 v5, 0x7fc0
	s_movk_i32 s56, 0x80
	s_mov_b64 s[16:17], 0x7f800000
	s_mov_b64 s[28:29], 0x43e00001
	s_movk_i32 s57, 0x7a
	s_mov_b64 s[30:31], 0xffffff
	s_movk_i32 s58, 0x7f
	v_mov_b32_e32 v12, 0xffffff82
	v_mov_b32_e32 v13, 0x78
	;; [unrolled: 1-line block ×3, first 2 shown]
	s_branch .LBB86_10
.LBB86_9:                               ;   in Loop: Header=BB86_10 Depth=1
	s_or_b64 exec, exec, s[0:1]
	s_add_u32 s7, s7, s50
	s_addc_u32 s33, s33, 0
	s_add_u32 s51, s51, s50
	s_addc_u32 s52, s52, 0
	s_add_u32 s53, s53, s50
	v_mov_b32_e32 v2, s23
	v_add_co_u32_e32 v10, vcc, s22, v6
	s_addc_u32 s54, s54, 0
	v_addc_co_u32_e32 v11, vcc, v7, v2, vcc
	v_add_u32_e32 v14, s48, v14
	s_add_u32 s45, s45, s50
	s_addc_u32 s46, s46, 0
	v_cmp_le_i32_e32 vcc, s22, v14
	v_mov_b32_e32 v2, s49
	s_or_b64 s[12:13], vcc, s[12:13]
	v_add_co_u32_e32 v6, vcc, s48, v6
	v_addc_co_u32_e32 v7, vcc, v7, v2, vcc
	global_store_byte v[10:11], v9, off
	s_andn2_b64 exec, exec, s[12:13]
	s_cbranch_execz .LBB86_42
.LBB86_10:                              ; =>This Inner Loop Header: Depth=1
	v_mov_b32_e32 v2, s33
	v_add_co_u32_e32 v8, vcc, s7, v4
	v_addc_co_u32_e32 v9, vcc, 0, v2, vcc
	global_load_ushort v2, v[8:9], off
	v_mov_b32_e32 v9, s52
	v_add_co_u32_e32 v8, vcc, s51, v4
	v_addc_co_u32_e32 v9, vcc, 0, v9, vcc
	global_load_ushort v15, v[8:9], off
	v_mov_b32_e32 v9, s46
	v_add_co_u32_e32 v8, vcc, s45, v4
	v_addc_co_u32_e32 v9, vcc, 0, v9, vcc
	v_mov_b32_e32 v11, s54
	v_add_co_u32_e32 v10, vcc, s53, v4
	v_addc_co_u32_e32 v11, vcc, 0, v11, vcc
	global_load_ushort v16, v[8:9], off
	global_load_ushort v18, v[10:11], off
	v_mov_b32_e32 v19, v3
	s_waitcnt vmcnt(3)
	v_cvt_f32_f16_e32 v23, v2
	s_waitcnt vmcnt(2)
	v_cvt_f32_f16_e32 v22, v15
	v_cmp_o_f16_e32 vcc, v15, v15
	v_bfe_u32 v24, v22, 16, 1
	v_add3_u32 v22, v22, v24, s55
	v_and_b32_e32 v22, 0xffff0000, v22
	s_waitcnt vmcnt(1)
	v_lshlrev_b32_e32 v17, 16, v16
	s_waitcnt vmcnt(0)
	v_lshlrev_b32_e32 v16, 16, v18
	v_bfe_u32 v18, v23, 16, 1
	v_add3_u32 v18, v23, v18, s55
	v_and_b32_e32 v18, 0xffff0000, v18
	v_cndmask_b32_e32 v23, v1, v22, vcc
	v_cmp_o_f16_e32 vcc, v2, v2
	v_mov_b32_e32 v20, v17
	v_mov_b32_e32 v21, v16
	v_cndmask_b32_e32 v22, v1, v18, vcc
	v_pk_mul_f32 v[20:21], v[22:23], v[20:21]
	v_bfe_u32 v15, v21, 16, 1
	v_bfe_u32 v2, v20, 16, 1
	v_add3_u32 v15, v21, v15, s55
	v_add3_u32 v2, v20, v2, s55
	v_and_b32_e32 v15, 0xffff0000, v15
	v_cmp_o_f32_e32 vcc, v21, v21
	v_and_b32_e32 v2, 0xffff0000, v2
	v_cndmask_b32_e32 v15, v1, v15, vcc
	v_cmp_o_f32_e32 vcc, v20, v20
	v_pk_mul_f32 v[16:17], v[22:23], v[16:17]
	v_cndmask_b32_e32 v2, v1, v2, vcc
	v_bfe_u32 v22, v17, 16, 1
	v_sub_f32_e32 v2, v2, v15
	v_add3_u32 v22, v17, v22, s55
	v_bfe_u32 v15, v2, 16, 1
	v_and_b32_e32 v22, 0xffff0000, v22
	v_cmp_o_f32_e32 vcc, v17, v17
	v_add3_u32 v15, v2, v15, s55
	v_cndmask_b32_e32 v17, v1, v22, vcc
	v_lshrrev_b32_e32 v15, 16, v15
	v_cmp_o_f32_e32 vcc, v2, v2
	v_cndmask_b32_e32 v2, v5, v15, vcc
	v_cvt_f32_f16_e32 v15, v2
	v_bfe_u32 v18, v16, 16, 1
	v_add3_u32 v18, v16, v18, s55
	v_and_b32_e32 v18, 0xffff0000, v18
	v_cmp_o_f32_e32 vcc, v16, v16
	v_cndmask_b32_e32 v16, v1, v18, vcc
	s_waitcnt lgkmcnt(0)
	v_div_scale_f32 v18, s[0:1], s47, s47, v15
	v_rcp_f32_e32 v20, v18
	v_add_f32_e32 v17, v16, v17
	v_div_scale_f32 v16, vcc, v15, s47, v15
	v_fma_f32 v21, -v18, v20, 1.0
	v_fmac_f32_e32 v20, v21, v20
	v_mul_f32_e32 v21, v16, v20
	v_fma_f32 v22, -v18, v21, v16
	v_fmac_f32_e32 v21, v22, v20
	v_fma_f32 v16, -v18, v21, v16
	v_div_fmas_f32 v16, v16, v20, v21
	v_div_fixup_f32 v15, v16, s47, v15
	v_cvt_f16_f32_e32 v15, v15
	v_bfe_u32 v16, v17, 16, 1
	v_add3_u32 v16, v17, v16, s55
	v_lshrrev_b32_e32 v18, 16, v16
	v_cvt_f32_f16_e32 v16, v15
	v_cmp_o_f32_e32 vcc, v17, v17
	v_cndmask_b32_e32 v15, v5, v18, vcc
	global_store_short v[8:9], v2, off
	global_store_short v[10:11], v15, off
	v_and_b32_sdwa v10, v16, s56 dst_sel:DWORD dst_unused:UNUSED_PAD src0_sel:BYTE_3 src1_sel:DWORD
	v_and_b32_e32 v18, 0x7f800000, v16
	v_and_b32_e32 v2, 0x7fffff, v16
	v_or_b32_e32 v9, 0x7e, v10
	v_cmp_ne_u64_e32 vcc, s[16:17], v[18:19]
	s_and_saveexec_b64 s[0:1], vcc
	s_xor_b64 s[34:35], exec, s[0:1]
	s_cbranch_execz .LBB86_24
; %bb.11:                               ;   in Loop: Header=BB86_10 Depth=1
	v_and_b32_e32 v18, 0x7fffffff, v16
	v_mov_b32_e32 v19, v3
	v_cmp_gt_u64_e32 vcc, s[28:29], v[18:19]
	s_and_saveexec_b64 s[0:1], vcc
	s_xor_b64 s[36:37], exec, s[0:1]
	s_cbranch_execz .LBB86_23
; %bb.12:                               ;   in Loop: Header=BB86_10 Depth=1
	v_cmp_ne_u32_e32 vcc, 0, v16
	v_mov_b32_e32 v9, 0
	s_and_saveexec_b64 s[38:39], vcc
	s_cbranch_execz .LBB86_22
; %bb.13:                               ;   in Loop: Header=BB86_10 Depth=1
	v_bfe_u32 v8, v16, 23, 8
	v_sub_u32_e32 v11, 0x79, v8
	v_cmp_gt_u32_e32 vcc, s57, v8
	v_cndmask_b32_e32 v11, 0, v11, vcc
	v_cmp_eq_u32_e32 vcc, 0, v8
	v_cndmask_b32_e32 v11, v11, v13, vcc
	v_add_u32_e32 v9, 0xffffff81, v8
	v_or_b32_e32 v16, 0x800000, v2
	v_add_u32_e32 v8, 20, v11
	v_cndmask_b32_e32 v17, v9, v12, vcc
	v_cndmask_b32_e32 v2, v16, v2, vcc
	v_lshlrev_b64 v[8:9], v8, -1
	v_not_b32_e32 v8, v8
	v_lshrrev_b64 v[20:21], v11, v[2:3]
	v_not_b32_e32 v9, v9
	v_and_b32_e32 v8, v2, v8
	v_add_u32_e32 v16, 19, v11
	v_lshrrev_b32_e32 v2, 23, v20
	v_and_b32_e32 v9, 0, v9
	v_lshlrev_b64 v[18:19], v16, 1
	v_add3_u32 v16, v11, v17, v2
	v_bfe_u32 v2, v20, 20, 1
	v_add_u32_e32 v2, -1, v2
	v_cmp_eq_u64_e32 vcc, v[8:9], v[18:19]
	v_cndmask_b32_e32 v2, 0, v2, vcc
	v_add_u32_e32 v2, v2, v20
	v_and_b32_e32 v2, 0xfffff, v2
	v_add_co_u32_e32 v8, vcc, v2, v20
	v_add_u32_e32 v11, 6, v16
	v_addc_co_u32_e32 v9, vcc, 0, v21, vcc
	v_cmp_ne_u32_e32 vcc, 0, v11
                                        ; implicit-def: $vgpr2
	s_and_saveexec_b64 s[0:1], vcc
	s_xor_b64 s[0:1], exec, s[0:1]
; %bb.14:                               ;   in Loop: Header=BB86_10 Depth=1
	v_add_u32_e32 v2, 7, v16
	v_cmp_lt_u64_e32 vcc, s[30:31], v[8:9]
	v_cndmask_b32_e32 v2, v11, v2, vcc
	v_cndmask_b32_e64 v11, 0, 1, vcc
	v_lshrrev_b64 v[8:9], v11, v[8:9]
; %bb.15:                               ;   in Loop: Header=BB86_10 Depth=1
	s_andn2_saveexec_b64 s[0:1], s[0:1]
; %bb.16:                               ;   in Loop: Header=BB86_10 Depth=1
	v_bfe_u32 v2, v8, 23, 1
; %bb.17:                               ;   in Loop: Header=BB86_10 Depth=1
	s_or_b64 exec, exec, s[0:1]
	v_lshrrev_b64 v[8:9], 20, v[8:9]
	v_cmp_gt_i32_e32 vcc, 16, v2
	v_cndmask_b32_e32 v9, 0, v9, vcc
	v_cndmask_b32_e32 v8, 7, v8, vcc
	v_cmp_ne_u32_e32 vcc, 0, v2
	v_cmp_ne_u64_e64 s[0:1], 0, v[8:9]
	s_or_b64 s[0:1], vcc, s[0:1]
                                        ; implicit-def: $vgpr9
	s_and_saveexec_b64 s[60:61], s[0:1]
	s_xor_b64 s[0:1], exec, s[60:61]
; %bb.18:                               ;   in Loop: Header=BB86_10 Depth=1
	v_min_i32_e32 v2, 15, v2
	v_lshl_or_b32 v2, v2, 3, v10
	v_and_or_b32 v9, v8, 7, v2
                                        ; implicit-def: $vgpr10
; %bb.19:                               ;   in Loop: Header=BB86_10 Depth=1
	s_andn2_saveexec_b64 s[0:1], s[0:1]
; %bb.20:                               ;   in Loop: Header=BB86_10 Depth=1
	v_mov_b32_e32 v9, v10
; %bb.21:                               ;   in Loop: Header=BB86_10 Depth=1
	s_or_b64 exec, exec, s[0:1]
.LBB86_22:                              ;   in Loop: Header=BB86_10 Depth=1
	s_or_b64 exec, exec, s[38:39]
.LBB86_23:                              ;   in Loop: Header=BB86_10 Depth=1
	s_andn2_saveexec_b64 s[0:1], s[36:37]
	s_or_b64 exec, exec, s[0:1]
                                        ; implicit-def: $vgpr16
.LBB86_24:                              ;   in Loop: Header=BB86_10 Depth=1
	s_andn2_saveexec_b64 s[0:1], s[34:35]
; %bb.25:                               ;   in Loop: Header=BB86_10 Depth=1
	v_or_b32_sdwa v8, v16, s58 dst_sel:DWORD dst_unused:UNUSED_PAD src0_sel:BYTE_3 src1_sel:DWORD
	v_cmp_eq_u64_e32 vcc, 0, v[2:3]
	v_cndmask_b32_e32 v9, v8, v9, vcc
; %bb.26:                               ;   in Loop: Header=BB86_10 Depth=1
	s_or_b64 exec, exec, s[0:1]
	v_cvt_f32_f16_e32 v2, v15
	v_mov_b32_e32 v17, v3
	global_store_byte v[6:7], v9, off
	v_div_scale_f32 v8, s[0:1], s47, s47, v2
	v_rcp_f32_e32 v10, v8
	v_div_scale_f32 v11, vcc, v2, s47, v2
	v_fma_f32 v15, -v8, v10, 1.0
	v_fmac_f32_e32 v10, v15, v10
	v_mul_f32_e32 v15, v11, v10
	v_fma_f32 v16, -v8, v15, v11
	v_fmac_f32_e32 v15, v16, v10
	v_fma_f32 v8, -v8, v15, v11
	v_div_fmas_f32 v8, v8, v10, v15
	v_div_fixup_f32 v2, v8, s47, v2
	v_cvt_f16_f32_e32 v2, v2
	v_cvt_f32_f16_e32 v8, v2
	v_and_b32_sdwa v10, v8, s56 dst_sel:DWORD dst_unused:UNUSED_PAD src0_sel:BYTE_3 src1_sel:DWORD
	v_and_b32_e32 v16, 0x7f800000, v8
	v_and_b32_e32 v2, 0x7fffff, v8
	v_or_b32_e32 v9, 0x7e, v10
	v_cmp_ne_u64_e32 vcc, s[16:17], v[16:17]
	s_and_saveexec_b64 s[0:1], vcc
	s_xor_b64 s[34:35], exec, s[0:1]
	s_cbranch_execz .LBB86_40
; %bb.27:                               ;   in Loop: Header=BB86_10 Depth=1
	v_and_b32_e32 v16, 0x7fffffff, v8
	v_mov_b32_e32 v17, v3
	v_cmp_gt_u64_e32 vcc, s[28:29], v[16:17]
	s_and_saveexec_b64 s[0:1], vcc
	s_xor_b64 s[36:37], exec, s[0:1]
	s_cbranch_execz .LBB86_39
; %bb.28:                               ;   in Loop: Header=BB86_10 Depth=1
	v_cmp_ne_u32_e32 vcc, 0, v8
	v_mov_b32_e32 v9, 0
	s_and_saveexec_b64 s[38:39], vcc
	s_cbranch_execz .LBB86_38
; %bb.29:                               ;   in Loop: Header=BB86_10 Depth=1
	v_bfe_u32 v8, v8, 23, 8
	v_sub_u32_e32 v11, 0x79, v8
	v_cmp_gt_u32_e32 vcc, s57, v8
	v_cndmask_b32_e32 v11, 0, v11, vcc
	v_cmp_eq_u32_e32 vcc, 0, v8
	v_cndmask_b32_e32 v11, v11, v13, vcc
	v_add_u32_e32 v9, 0xffffff81, v8
	v_or_b32_e32 v15, 0x800000, v2
	v_add_u32_e32 v8, 20, v11
	v_cndmask_b32_e32 v20, v9, v12, vcc
	v_cndmask_b32_e32 v2, v15, v2, vcc
	v_lshlrev_b64 v[8:9], v8, -1
	v_not_b32_e32 v8, v8
	v_lshrrev_b64 v[18:19], v11, v[2:3]
	v_not_b32_e32 v9, v9
	v_and_b32_e32 v8, v2, v8
	v_add_u32_e32 v15, 19, v11
	v_lshrrev_b32_e32 v2, 23, v18
	v_and_b32_e32 v9, 0, v9
	v_lshlrev_b64 v[16:17], v15, 1
	v_add3_u32 v15, v11, v20, v2
	v_bfe_u32 v2, v18, 20, 1
	v_add_u32_e32 v2, -1, v2
	v_cmp_eq_u64_e32 vcc, v[8:9], v[16:17]
	v_cndmask_b32_e32 v2, 0, v2, vcc
	v_add_u32_e32 v2, v2, v18
	v_and_b32_e32 v2, 0xfffff, v2
	v_add_co_u32_e32 v8, vcc, v2, v18
	v_add_u32_e32 v11, 6, v15
	v_addc_co_u32_e32 v9, vcc, 0, v19, vcc
	v_cmp_ne_u32_e32 vcc, 0, v11
                                        ; implicit-def: $vgpr2
	s_and_saveexec_b64 s[0:1], vcc
	s_xor_b64 s[0:1], exec, s[0:1]
; %bb.30:                               ;   in Loop: Header=BB86_10 Depth=1
	v_add_u32_e32 v2, 7, v15
	v_cmp_lt_u64_e32 vcc, s[30:31], v[8:9]
	v_cndmask_b32_e32 v2, v11, v2, vcc
	v_cndmask_b32_e64 v11, 0, 1, vcc
	v_lshrrev_b64 v[8:9], v11, v[8:9]
; %bb.31:                               ;   in Loop: Header=BB86_10 Depth=1
	s_andn2_saveexec_b64 s[0:1], s[0:1]
; %bb.32:                               ;   in Loop: Header=BB86_10 Depth=1
	v_bfe_u32 v2, v8, 23, 1
; %bb.33:                               ;   in Loop: Header=BB86_10 Depth=1
	s_or_b64 exec, exec, s[0:1]
	v_lshrrev_b64 v[8:9], 20, v[8:9]
	v_cmp_gt_i32_e32 vcc, 16, v2
	v_cndmask_b32_e32 v9, 0, v9, vcc
	v_cndmask_b32_e32 v8, 7, v8, vcc
	v_cmp_ne_u32_e32 vcc, 0, v2
	v_cmp_ne_u64_e64 s[0:1], 0, v[8:9]
	s_or_b64 s[0:1], vcc, s[0:1]
                                        ; implicit-def: $vgpr9
	s_and_saveexec_b64 s[60:61], s[0:1]
	s_xor_b64 s[0:1], exec, s[60:61]
; %bb.34:                               ;   in Loop: Header=BB86_10 Depth=1
	v_min_i32_e32 v2, 15, v2
	v_lshl_or_b32 v2, v2, 3, v10
	v_and_or_b32 v9, v8, 7, v2
                                        ; implicit-def: $vgpr10
; %bb.35:                               ;   in Loop: Header=BB86_10 Depth=1
	s_andn2_saveexec_b64 s[0:1], s[0:1]
; %bb.36:                               ;   in Loop: Header=BB86_10 Depth=1
	v_mov_b32_e32 v9, v10
; %bb.37:                               ;   in Loop: Header=BB86_10 Depth=1
	s_or_b64 exec, exec, s[0:1]
.LBB86_38:                              ;   in Loop: Header=BB86_10 Depth=1
	s_or_b64 exec, exec, s[38:39]
.LBB86_39:                              ;   in Loop: Header=BB86_10 Depth=1
	s_andn2_saveexec_b64 s[0:1], s[36:37]
	s_or_b64 exec, exec, s[0:1]
                                        ; implicit-def: $vgpr8
.LBB86_40:                              ;   in Loop: Header=BB86_10 Depth=1
	s_andn2_saveexec_b64 s[0:1], s[34:35]
	s_cbranch_execz .LBB86_9
; %bb.41:                               ;   in Loop: Header=BB86_10 Depth=1
	v_or_b32_sdwa v8, v8, s58 dst_sel:DWORD dst_unused:UNUSED_PAD src0_sel:BYTE_3 src1_sel:DWORD
	v_cmp_eq_u64_e32 vcc, 0, v[2:3]
	v_cndmask_b32_e32 v9, v8, v9, vcc
	s_branch .LBB86_9
.LBB86_42:
	s_or_b64 exec, exec, s[26:27]
	v_cmp_gt_i32_e32 vcc, s10, v0
	s_and_saveexec_b64 s[0:1], vcc
	s_cbranch_execz .LBB86_61
; %bb.43:
	s_mul_i32 s0, s6, s15
	s_mul_hi_u32 s1, s6, s14
	s_add_i32 s1, s1, s0
	s_mul_i32 s0, s6, s14
	s_lshl_b64 s[0:1], s[0:1], 1
	s_add_u32 s18, s18, s0
	s_addc_u32 s0, s19, s1
	s_ashr_i32 s1, s8, 31
	s_mul_i32 s1, s2, s1
	s_add_i32 s1, s42, s1
	s_add_i32 s1, s1, s43
	s_add_u32 s2, s20, s44
	s_addc_u32 s1, s21, s1
	s_ashr_i32 s6, s9, 31
	s_load_dword s4, s[4:5], 0x8c
	s_mul_i32 s11, s11, s6
	s_waitcnt lgkmcnt(0)
	s_load_dword s20, s[24:25], 0x0
	s_add_i32 s6, s41, s11
	s_add_i32 s6, s6, s3
	s_add_u32 s11, s2, s40
	s_addc_u32 s19, s1, s6
	s_and_b32 s21, s4, 0xffff
	s_mov_b64 s[2:3], 0
	v_mov_b32_e32 v6, s0
	v_mov_b32_e32 v3, 0
	s_movk_i32 s22, 0x80
	s_mov_b64 s[4:5], 0x7f800000
	s_mov_b64 s[6:7], 0x43e00001
	s_movk_i32 s23, 0x7a
	s_mov_b64 s[8:9], 0xffffff
	s_movk_i32 s24, 0x7f
	v_mov_b32_e32 v7, 0xffffff82
	v_mov_b32_e32 v8, 0x78
	s_branch .LBB86_45
.LBB86_44:                              ;   in Loop: Header=BB86_45 Depth=1
	s_or_b64 exec, exec, s[0:1]
	v_mov_b32_e32 v2, s19
	v_add_co_u32_e32 v10, vcc, s11, v0
	v_addc_co_u32_e32 v11, vcc, v2, v1, vcc
	v_add_u32_e32 v0, s21, v0
	v_cmp_le_i32_e32 vcc, s10, v0
	s_or_b64 s[2:3], vcc, s[2:3]
	global_store_byte v[10:11], v5, off
	s_andn2_b64 exec, exec, s[2:3]
	s_cbranch_execz .LBB86_61
.LBB86_45:                              ; =>This Inner Loop Header: Depth=1
	v_ashrrev_i32_e32 v1, 31, v0
	v_lshlrev_b64 v[4:5], 1, v[0:1]
	v_add_co_u32_e32 v4, vcc, s18, v4
	v_addc_co_u32_e32 v5, vcc, v6, v5, vcc
	global_load_ushort v2, v[4:5], off
	s_waitcnt vmcnt(0)
	v_cvt_f32_f16_e32 v2, v2
	s_waitcnt lgkmcnt(0)
	v_div_scale_f32 v4, s[0:1], s20, s20, v2
	v_rcp_f32_e32 v5, v4
	v_div_scale_f32 v9, vcc, v2, s20, v2
	v_fma_f32 v10, -v4, v5, 1.0
	v_fmac_f32_e32 v5, v10, v5
	v_mul_f32_e32 v10, v9, v5
	v_fma_f32 v11, -v4, v10, v9
	v_fmac_f32_e32 v10, v11, v5
	v_fma_f32 v4, -v4, v10, v9
	v_div_fmas_f32 v4, v4, v5, v10
	v_div_fixup_f32 v2, v4, s20, v2
	v_cvt_f16_f32_e32 v2, v2
	v_mov_b32_e32 v11, v3
	v_cvt_f32_f16_e32 v4, v2
	v_and_b32_sdwa v9, v4, s22 dst_sel:DWORD dst_unused:UNUSED_PAD src0_sel:BYTE_3 src1_sel:DWORD
	v_and_b32_e32 v10, 0x7f800000, v4
	v_and_b32_e32 v2, 0x7fffff, v4
	v_or_b32_e32 v5, 0x7e, v9
	v_cmp_ne_u64_e32 vcc, s[4:5], v[10:11]
	s_and_saveexec_b64 s[0:1], vcc
	s_xor_b64 s[12:13], exec, s[0:1]
	s_cbranch_execz .LBB86_59
; %bb.46:                               ;   in Loop: Header=BB86_45 Depth=1
	v_and_b32_e32 v10, 0x7fffffff, v4
	v_mov_b32_e32 v11, v3
	v_cmp_gt_u64_e32 vcc, s[6:7], v[10:11]
	s_and_saveexec_b64 s[0:1], vcc
	s_xor_b64 s[14:15], exec, s[0:1]
	s_cbranch_execz .LBB86_58
; %bb.47:                               ;   in Loop: Header=BB86_45 Depth=1
	v_cmp_ne_u32_e32 vcc, 0, v4
	v_mov_b32_e32 v5, 0
	s_and_saveexec_b64 s[16:17], vcc
	s_cbranch_execz .LBB86_57
; %bb.48:                               ;   in Loop: Header=BB86_45 Depth=1
	v_bfe_u32 v4, v4, 23, 8
	v_sub_u32_e32 v10, 0x79, v4
	v_cmp_gt_u32_e32 vcc, s23, v4
	v_cndmask_b32_e32 v10, 0, v10, vcc
	v_cmp_eq_u32_e32 vcc, 0, v4
	v_cndmask_b32_e32 v10, v10, v8, vcc
	v_add_u32_e32 v5, 0xffffff81, v4
	v_or_b32_e32 v11, 0x800000, v2
	v_add_u32_e32 v4, 20, v10
	v_cndmask_b32_e32 v16, v5, v7, vcc
	v_cndmask_b32_e32 v2, v11, v2, vcc
	v_lshlrev_b64 v[4:5], v4, -1
	v_not_b32_e32 v4, v4
	v_lshrrev_b64 v[14:15], v10, v[2:3]
	v_not_b32_e32 v5, v5
	v_and_b32_e32 v4, v2, v4
	v_add_u32_e32 v11, 19, v10
	v_lshrrev_b32_e32 v2, 23, v14
	v_and_b32_e32 v5, 0, v5
	v_lshlrev_b64 v[12:13], v11, 1
	v_add3_u32 v11, v10, v16, v2
	v_bfe_u32 v2, v14, 20, 1
	v_add_u32_e32 v2, -1, v2
	v_cmp_eq_u64_e32 vcc, v[4:5], v[12:13]
	v_cndmask_b32_e32 v2, 0, v2, vcc
	v_add_u32_e32 v2, v2, v14
	v_and_b32_e32 v2, 0xfffff, v2
	v_add_co_u32_e32 v4, vcc, v2, v14
	v_add_u32_e32 v10, 6, v11
	v_addc_co_u32_e32 v5, vcc, 0, v15, vcc
	v_cmp_ne_u32_e32 vcc, 0, v10
                                        ; implicit-def: $vgpr2
	s_and_saveexec_b64 s[0:1], vcc
	s_xor_b64 s[0:1], exec, s[0:1]
; %bb.49:                               ;   in Loop: Header=BB86_45 Depth=1
	v_add_u32_e32 v2, 7, v11
	v_cmp_lt_u64_e32 vcc, s[8:9], v[4:5]
	v_cndmask_b32_e32 v2, v10, v2, vcc
	v_cndmask_b32_e64 v10, 0, 1, vcc
	v_lshrrev_b64 v[4:5], v10, v[4:5]
; %bb.50:                               ;   in Loop: Header=BB86_45 Depth=1
	s_andn2_saveexec_b64 s[0:1], s[0:1]
; %bb.51:                               ;   in Loop: Header=BB86_45 Depth=1
	v_bfe_u32 v2, v4, 23, 1
; %bb.52:                               ;   in Loop: Header=BB86_45 Depth=1
	s_or_b64 exec, exec, s[0:1]
	v_lshrrev_b64 v[4:5], 20, v[4:5]
	v_cmp_gt_i32_e32 vcc, 16, v2
	v_cndmask_b32_e32 v5, 0, v5, vcc
	v_cndmask_b32_e32 v4, 7, v4, vcc
	v_cmp_ne_u32_e32 vcc, 0, v2
	v_cmp_ne_u64_e64 s[0:1], 0, v[4:5]
	s_or_b64 s[0:1], vcc, s[0:1]
                                        ; implicit-def: $vgpr5
	s_and_saveexec_b64 s[26:27], s[0:1]
	s_xor_b64 s[0:1], exec, s[26:27]
; %bb.53:                               ;   in Loop: Header=BB86_45 Depth=1
	v_min_i32_e32 v2, 15, v2
	v_lshl_or_b32 v2, v2, 3, v9
	v_and_or_b32 v5, v4, 7, v2
                                        ; implicit-def: $vgpr9
; %bb.54:                               ;   in Loop: Header=BB86_45 Depth=1
	s_andn2_saveexec_b64 s[0:1], s[0:1]
; %bb.55:                               ;   in Loop: Header=BB86_45 Depth=1
	v_mov_b32_e32 v5, v9
; %bb.56:                               ;   in Loop: Header=BB86_45 Depth=1
	s_or_b64 exec, exec, s[0:1]
.LBB86_57:                              ;   in Loop: Header=BB86_45 Depth=1
	s_or_b64 exec, exec, s[16:17]
.LBB86_58:                              ;   in Loop: Header=BB86_45 Depth=1
	s_andn2_saveexec_b64 s[0:1], s[14:15]
	s_or_b64 exec, exec, s[0:1]
                                        ; implicit-def: $vgpr4
.LBB86_59:                              ;   in Loop: Header=BB86_45 Depth=1
	s_andn2_saveexec_b64 s[0:1], s[12:13]
	s_cbranch_execz .LBB86_44
; %bb.60:                               ;   in Loop: Header=BB86_45 Depth=1
	v_or_b32_sdwa v4, v4, s24 dst_sel:DWORD dst_unused:UNUSED_PAD src0_sel:BYTE_3 src1_sel:DWORD
	v_cmp_eq_u64_e32 vcc, 0, v[2:3]
	v_cndmask_b32_e32 v5, v4, v5, vcc
	s_branch .LBB86_44
.LBB86_61:
	s_endpgm
.LBB86_62:
                                        ; implicit-def: $sgpr2_sgpr3
	s_branch .LBB86_6
	.section	.rodata,"a",@progbits
	.p2align	6, 0x0
	.amdhsa_kernel _ZN4vllm38concat_and_cache_mla_rope_fused_kernelIN3c108BFloat16ENS1_4HalfELb1EthLNS_18Fp8KVCacheDataTypeE1EEEvPKlPT_S8_PKS7_PKT0_illlliPT3_S6_iiiiPKf
		.amdhsa_group_segment_fixed_size 0
		.amdhsa_private_segment_fixed_size 0
		.amdhsa_kernarg_size 384
		.amdhsa_user_sgpr_count 6
		.amdhsa_user_sgpr_private_segment_buffer 1
		.amdhsa_user_sgpr_dispatch_ptr 0
		.amdhsa_user_sgpr_queue_ptr 0
		.amdhsa_user_sgpr_kernarg_segment_ptr 1
		.amdhsa_user_sgpr_dispatch_id 0
		.amdhsa_user_sgpr_flat_scratch_init 0
		.amdhsa_user_sgpr_kernarg_preload_length 0
		.amdhsa_user_sgpr_kernarg_preload_offset 0
		.amdhsa_user_sgpr_private_segment_size 0
		.amdhsa_uses_dynamic_stack 0
		.amdhsa_system_sgpr_private_segment_wavefront_offset 0
		.amdhsa_system_sgpr_workgroup_id_x 1
		.amdhsa_system_sgpr_workgroup_id_y 0
		.amdhsa_system_sgpr_workgroup_id_z 0
		.amdhsa_system_sgpr_workgroup_info 0
		.amdhsa_system_vgpr_workitem_id 0
		.amdhsa_next_free_vgpr 25
		.amdhsa_next_free_sgpr 62
		.amdhsa_accum_offset 28
		.amdhsa_reserve_vcc 1
		.amdhsa_reserve_flat_scratch 0
		.amdhsa_float_round_mode_32 0
		.amdhsa_float_round_mode_16_64 0
		.amdhsa_float_denorm_mode_32 3
		.amdhsa_float_denorm_mode_16_64 3
		.amdhsa_dx10_clamp 1
		.amdhsa_ieee_mode 1
		.amdhsa_fp16_overflow 0
		.amdhsa_tg_split 0
		.amdhsa_exception_fp_ieee_invalid_op 0
		.amdhsa_exception_fp_denorm_src 0
		.amdhsa_exception_fp_ieee_div_zero 0
		.amdhsa_exception_fp_ieee_overflow 0
		.amdhsa_exception_fp_ieee_underflow 0
		.amdhsa_exception_fp_ieee_inexact 0
		.amdhsa_exception_int_div_zero 0
	.end_amdhsa_kernel
	.section	.text._ZN4vllm38concat_and_cache_mla_rope_fused_kernelIN3c108BFloat16ENS1_4HalfELb1EthLNS_18Fp8KVCacheDataTypeE1EEEvPKlPT_S8_PKS7_PKT0_illlliPT3_S6_iiiiPKf,"axG",@progbits,_ZN4vllm38concat_and_cache_mla_rope_fused_kernelIN3c108BFloat16ENS1_4HalfELb1EthLNS_18Fp8KVCacheDataTypeE1EEEvPKlPT_S8_PKS7_PKT0_illlliPT3_S6_iiiiPKf,comdat
.Lfunc_end86:
	.size	_ZN4vllm38concat_and_cache_mla_rope_fused_kernelIN3c108BFloat16ENS1_4HalfELb1EthLNS_18Fp8KVCacheDataTypeE1EEEvPKlPT_S8_PKS7_PKT0_illlliPT3_S6_iiiiPKf, .Lfunc_end86-_ZN4vllm38concat_and_cache_mla_rope_fused_kernelIN3c108BFloat16ENS1_4HalfELb1EthLNS_18Fp8KVCacheDataTypeE1EEEvPKlPT_S8_PKS7_PKT0_illlliPT3_S6_iiiiPKf
                                        ; -- End function
	.section	.AMDGPU.csdata,"",@progbits
; Kernel info:
; codeLenInByte = 4292
; NumSgprs: 66
; NumVgprs: 25
; NumAgprs: 0
; TotalNumVgprs: 25
; ScratchSize: 0
; MemoryBound: 0
; FloatMode: 240
; IeeeMode: 1
; LDSByteSize: 0 bytes/workgroup (compile time only)
; SGPRBlocks: 8
; VGPRBlocks: 3
; NumSGPRsForWavesPerEU: 66
; NumVGPRsForWavesPerEU: 25
; AccumOffset: 28
; Occupancy: 8
; WaveLimiterHint : 1
; COMPUTE_PGM_RSRC2:SCRATCH_EN: 0
; COMPUTE_PGM_RSRC2:USER_SGPR: 6
; COMPUTE_PGM_RSRC2:TRAP_HANDLER: 0
; COMPUTE_PGM_RSRC2:TGID_X_EN: 1
; COMPUTE_PGM_RSRC2:TGID_Y_EN: 0
; COMPUTE_PGM_RSRC2:TGID_Z_EN: 0
; COMPUTE_PGM_RSRC2:TIDIG_COMP_CNT: 0
; COMPUTE_PGM_RSRC3_GFX90A:ACCUM_OFFSET: 6
; COMPUTE_PGM_RSRC3_GFX90A:TG_SPLIT: 0
	.section	.text._ZN4vllm38concat_and_cache_mla_rope_fused_kernelIN3c108BFloat16ENS1_4HalfELb0EthLNS_18Fp8KVCacheDataTypeE1EEEvPKlPT_S8_PKS7_PKT0_illlliPT3_S6_iiiiPKf,"axG",@progbits,_ZN4vllm38concat_and_cache_mla_rope_fused_kernelIN3c108BFloat16ENS1_4HalfELb0EthLNS_18Fp8KVCacheDataTypeE1EEEvPKlPT_S8_PKS7_PKT0_illlliPT3_S6_iiiiPKf,comdat
	.protected	_ZN4vllm38concat_and_cache_mla_rope_fused_kernelIN3c108BFloat16ENS1_4HalfELb0EthLNS_18Fp8KVCacheDataTypeE1EEEvPKlPT_S8_PKS7_PKT0_illlliPT3_S6_iiiiPKf ; -- Begin function _ZN4vllm38concat_and_cache_mla_rope_fused_kernelIN3c108BFloat16ENS1_4HalfELb0EthLNS_18Fp8KVCacheDataTypeE1EEEvPKlPT_S8_PKS7_PKT0_illlliPT3_S6_iiiiPKf
	.globl	_ZN4vllm38concat_and_cache_mla_rope_fused_kernelIN3c108BFloat16ENS1_4HalfELb0EthLNS_18Fp8KVCacheDataTypeE1EEEvPKlPT_S8_PKS7_PKT0_illlliPT3_S6_iiiiPKf
	.p2align	8
	.type	_ZN4vllm38concat_and_cache_mla_rope_fused_kernelIN3c108BFloat16ENS1_4HalfELb0EthLNS_18Fp8KVCacheDataTypeE1EEEvPKlPT_S8_PKS7_PKT0_illlliPT3_S6_iiiiPKf,@function
_ZN4vllm38concat_and_cache_mla_rope_fused_kernelIN3c108BFloat16ENS1_4HalfELb0EthLNS_18Fp8KVCacheDataTypeE1EEEvPKlPT_S8_PKS7_PKT0_illlliPT3_S6_iiiiPKf: ; @_ZN4vllm38concat_and_cache_mla_rope_fused_kernelIN3c108BFloat16ENS1_4HalfELb0EthLNS_18Fp8KVCacheDataTypeE1EEEvPKlPT_S8_PKS7_PKT0_illlliPT3_S6_iiiiPKf
; %bb.0:
	s_load_dwordx2 s[2:3], s[4:5], 0x60
	s_mov_b32 s7, 0
	s_lshl_b64 s[0:1], s[6:7], 3
	s_waitcnt lgkmcnt(0)
	s_add_u32 s2, s2, s0
	s_addc_u32 s3, s3, s1
	s_load_dwordx2 s[26:27], s[2:3], 0x0
	s_waitcnt lgkmcnt(0)
	v_cmp_lt_i64_e64 s[2:3], s[26:27], 0
	s_and_b64 vcc, exec, s[2:3]
	s_cbranch_vccnz .LBB87_61
; %bb.1:
	s_load_dword s7, s[4:5], 0x28
	s_load_dwordx2 s[2:3], s[4:5], 0x0
	s_load_dwordx4 s[16:19], s[4:5], 0x10
	v_lshlrev_b32_e32 v5, 1, v0
	s_waitcnt lgkmcnt(0)
	s_ashr_i32 s22, s7, 31
	s_add_u32 s0, s2, s0
	s_addc_u32 s1, s3, s1
	s_load_dwordx2 s[20:21], s[0:1], 0x0
	s_load_dwordx2 s[28:29], s[4:5], 0x20
	s_load_dwordx8 s[8:15], s[4:5], 0x30
	s_load_dwordx2 s[2:3], s[4:5], 0x58
	s_load_dword s23, s[4:5], 0x50
	s_waitcnt lgkmcnt(0)
	s_mul_i32 s0, s20, s22
	s_mul_hi_u32 s1, s20, s7
	s_mul_i32 s21, s21, s7
	s_add_i32 s0, s1, s0
	s_add_i32 s31, s0, s21
	s_lshr_b32 s0, s7, 31
	s_mul_i32 s30, s20, s7
	s_add_i32 s7, s7, s0
	s_ashr_i32 s20, s7, 1
	s_mul_i32 s7, s20, s23
	v_cmp_gt_i32_e32 vcc, s7, v0
	s_and_saveexec_b64 s[22:23], vcc
	s_cbranch_execz .LBB87_4
; %bb.2:
	s_lshl_b64 s[0:1], s[30:31], 1
	s_add_u32 s33, s28, s0
	s_addc_u32 s24, s29, s1
	s_load_dwordx2 s[0:1], s[4:5], 0x8
	s_mul_i32 s9, s6, s9
	s_mul_hi_u32 s25, s6, s8
	s_add_i32 s9, s25, s9
	s_load_dword s25, s[4:5], 0x8c
	s_mul_i32 s8, s6, s8
	s_ashr_i32 s21, s20, 31
	s_lshl_b64 s[8:9], s[8:9], 1
	s_waitcnt lgkmcnt(0)
	s_add_u32 s34, s0, s8
	s_addc_u32 s0, s1, s9
	s_abs_i32 s35, s20
	v_cvt_f32_u32_e32 v1, s35
	s_sub_i32 s1, 0, s35
	s_and_b32 s36, s25, 0xffff
	v_mov_b32_e32 v3, s24
	v_rcp_iflag_f32_e32 v1, v1
	s_lshl_b64 s[24:25], s[20:21], 1
	s_sub_i32 s37, 0, s20
	s_lshl_b32 s39, s36, 1
	v_mul_f32_e32 v1, 0x4f7ffffe, v1
	v_cvt_u32_f32_e32 v1, v1
	s_mov_b64 s[8:9], 0
	s_movk_i32 s40, 0x7fff
	v_mov_b32_e32 v6, s25
	v_mul_lo_u32 v2, s1, v1
	v_mul_hi_u32 v2, v1, v2
	s_lshl_b32 s1, s20, 1
	v_add_u32_e32 v1, v1, v2
	s_sub_i32 s38, 0, s1
	v_mov_b32_e32 v7, s0
	v_mov_b32_e32 v8, 0x7fc00000
	;; [unrolled: 1-line block ×3, first 2 shown]
	s_mov_b32 s25, 0x5040100
	v_mov_b32_e32 v2, v5
	v_mov_b32_e32 v4, v0
.LBB87_3:                               ; =>This Inner Loop Header: Depth=1
	v_sub_u32_e32 v11, 0, v4
	v_max_i32_e32 v11, v4, v11
	v_mul_hi_u32 v12, v11, v1
	v_mul_lo_u32 v13, v12, s35
	v_sub_u32_e32 v11, v11, v13
	v_add_u32_e32 v14, 1, v12
	v_cmp_le_u32_e32 vcc, s35, v11
	v_subrev_u32_e32 v13, s35, v11
	v_cndmask_b32_e32 v12, v12, v14, vcc
	v_cndmask_b32_e32 v11, v11, v13, vcc
	v_ashrrev_i32_e32 v10, 31, v4
	v_add_u32_e32 v13, 1, v12
	v_cmp_le_u32_e32 vcc, s35, v11
	v_xor_b32_e32 v10, s21, v10
	v_cndmask_b32_e32 v11, v12, v13, vcc
	v_xor_b32_e32 v11, v11, v10
	v_sub_u32_e32 v14, v11, v10
	v_mad_u64_u32 v[10:11], s[0:1], s37, v14, v[4:5]
	v_ashrrev_i32_e32 v11, 31, v10
	v_lshlrev_b64 v[10:11], 1, v[10:11]
	v_ashrrev_i32_e32 v16, 31, v14
	v_add_co_u32_e32 v10, vcc, s33, v10
	v_mul_lo_u32 v17, v14, s11
	v_mad_u64_u32 v[12:13], s[0:1], v14, s10, 0
	v_mul_lo_u32 v16, v16, s10
	v_addc_co_u32_e32 v11, vcc, v3, v11, vcc
	v_add3_u32 v13, v13, v17, v16
	v_add_co_u32_e32 v16, vcc, s24, v10
	v_addc_co_u32_e32 v17, vcc, v11, v6, vcc
	global_load_ushort v18, v[10:11], off
	global_load_ushort v19, v[16:17], off
	v_mad_u64_u32 v[14:15], s[0:1], s38, v14, v[2:3]
	v_lshlrev_b64 v[12:13], 1, v[12:13]
	v_ashrrev_i32_e32 v15, 31, v14
	v_add_co_u32_e32 v12, vcc, s34, v12
	v_lshlrev_b64 v[14:15], 1, v[14:15]
	v_addc_co_u32_e32 v13, vcc, v7, v13, vcc
	v_add_co_u32_e32 v10, vcc, v12, v14
	v_addc_co_u32_e32 v11, vcc, v13, v15, vcc
	global_load_dword v12, v[10:11], off
	v_add_u32_e32 v4, s36, v4
	v_cmp_le_i32_e32 vcc, s7, v4
	s_or_b64 s[8:9], vcc, s[8:9]
	v_add_u32_e32 v2, s39, v2
	s_waitcnt vmcnt(2)
	v_cvt_f32_f16_e32 v14, v18
	s_waitcnt vmcnt(1)
	v_cvt_f32_f16_e32 v15, v19
	v_cmp_o_f16_e32 vcc, v18, v18
	v_bfe_u32 v16, v14, 16, 1
	v_add3_u32 v14, v14, v16, s40
	v_bfe_u32 v16, v15, 16, 1
	v_and_b32_e32 v14, 0xffff0000, v14
	v_add3_u32 v15, v15, v16, s40
	v_and_b32_e32 v15, 0xffff0000, v15
	v_cndmask_b32_e32 v14, v8, v14, vcc
	v_cmp_o_f16_e32 vcc, v19, v19
	v_cndmask_b32_e32 v16, v8, v15, vcc
	s_waitcnt vmcnt(0)
	v_and_b32_e32 v13, 0xffff0000, v12
	v_lshlrev_b32_e32 v12, 16, v12
	v_pk_mul_f32 v[14:15], v[14:15], v[12:13] op_sel_hi:[0,1]
	v_bfe_u32 v17, v14, 16, 1
	v_bfe_u32 v18, v15, 16, 1
	v_pk_mul_f32 v[12:13], v[16:17], v[12:13] op_sel_hi:[0,1]
	v_add3_u32 v16, v15, v18, s40
	v_add3_u32 v17, v14, v17, s40
	v_bfe_u32 v18, v13, 16, 1
	v_bfe_u32 v19, v12, 16, 1
	v_and_b32_e32 v17, 0xffff0000, v17
	v_and_b32_e32 v16, 0xffff0000, v16
	v_add3_u32 v19, v12, v19, s40
	v_add3_u32 v18, v13, v18, s40
	v_cmp_o_f32_e32 vcc, v14, v14
	v_cmp_o_f32_e64 s[0:1], v15, v15
	v_and_b32_e32 v18, 0xffff0000, v18
	v_and_b32_e32 v19, 0xffff0000, v19
	v_cndmask_b32_e64 v15, v8, v16, s[0:1]
	v_cndmask_b32_e32 v14, v8, v17, vcc
	v_cmp_o_f32_e32 vcc, v13, v13
	v_cmp_o_f32_e64 s[0:1], v12, v12
	v_cndmask_b32_e64 v13, v8, v19, s[0:1]
	v_cndmask_b32_e32 v12, v8, v18, vcc
	v_pk_add_f32 v[16:17], v[14:15], v[12:13] neg_lo:[0,1] neg_hi:[0,1]
	v_pk_add_f32 v[12:13], v[14:15], v[12:13]
	v_bfe_u32 v12, v16, 16, 1
	v_bfe_u32 v14, v13, 16, 1
	v_add3_u32 v14, v13, v14, s40
	v_add3_u32 v12, v16, v12, s40
	v_lshrrev_b32_e32 v12, 16, v12
	v_lshrrev_b32_e32 v14, 16, v14
	v_cmp_o_f32_e32 vcc, v13, v13
	v_cmp_o_f32_e64 s[0:1], v16, v16
	v_cndmask_b32_e64 v12, v9, v12, s[0:1]
	v_cndmask_b32_e32 v13, v9, v14, vcc
	v_perm_b32 v12, v13, v12, s25
	global_store_dword v[10:11], v12, off
	s_andn2_b64 exec, exec, s[8:9]
	s_cbranch_execnz .LBB87_3
.LBB87_4:
	s_or_b64 exec, exec, s[22:23]
	s_load_dwordx4 s[8:11], s[4:5], 0x68
	s_waitcnt lgkmcnt(0)
	s_ashr_i32 s35, s11, 31
	s_mov_b32 s34, s11
	s_or_b64 s[0:1], s[26:27], s[34:35]
	s_mov_b32 s0, 0
	s_cmp_lg_u64 s[0:1], 0
	s_cbranch_scc0 .LBB87_62
; %bb.5:
	s_add_u32 s0, s34, s35
	s_mov_b32 s22, s35
	s_mov_b32 s23, s35
	s_addc_u32 s1, s35, s35
	s_xor_b64 s[36:37], s[0:1], s[22:23]
	v_cvt_f32_u32_e32 v1, s36
	v_cvt_f32_u32_e32 v2, s37
	s_sub_u32 s0, 0, s36
	s_subb_u32 s1, 0, s37
	v_madmk_f32 v1, v2, 0x4f800000, v1
	v_rcp_f32_e32 v1, v1
	v_mul_f32_e32 v1, 0x5f7ffffc, v1
	v_mul_f32_e32 v2, 0x2f800000, v1
	v_trunc_f32_e32 v2, v2
	v_madmk_f32 v1, v2, 0xcf800000, v1
	v_cvt_u32_f32_e32 v2, v2
	v_cvt_u32_f32_e32 v1, v1
	v_readfirstlane_b32 s7, v2
	v_readfirstlane_b32 s11, v1
	s_mul_i32 s21, s0, s7
	s_mul_hi_u32 s38, s0, s11
	s_mul_i32 s33, s1, s11
	s_add_i32 s21, s38, s21
	s_add_i32 s21, s21, s33
	s_mul_i32 s39, s0, s11
	s_mul_hi_u32 s33, s11, s21
	s_mul_i32 s38, s11, s21
	s_mul_hi_u32 s11, s11, s39
	s_add_u32 s11, s11, s38
	s_addc_u32 s33, 0, s33
	s_mul_hi_u32 s40, s7, s39
	s_mul_i32 s39, s7, s39
	s_add_u32 s11, s11, s39
	s_mul_hi_u32 s38, s7, s21
	s_addc_u32 s11, s33, s40
	s_addc_u32 s33, s38, 0
	s_mul_i32 s21, s7, s21
	s_add_u32 s11, s11, s21
	s_addc_u32 s21, 0, s33
	v_add_co_u32_e32 v1, vcc, s11, v1
	s_cmp_lg_u64 vcc, 0
	s_addc_u32 s7, s7, s21
	v_readfirstlane_b32 s21, v1
	s_mul_i32 s11, s0, s7
	s_mul_hi_u32 s33, s0, s21
	s_add_i32 s11, s33, s11
	s_mul_i32 s1, s1, s21
	s_add_i32 s11, s11, s1
	s_mul_i32 s0, s0, s21
	s_mul_hi_u32 s33, s7, s0
	s_mul_i32 s38, s7, s0
	s_mul_i32 s40, s21, s11
	s_mul_hi_u32 s0, s21, s0
	s_mul_hi_u32 s39, s21, s11
	s_add_u32 s0, s0, s40
	s_addc_u32 s21, 0, s39
	s_add_u32 s0, s0, s38
	s_mul_hi_u32 s1, s7, s11
	s_addc_u32 s0, s21, s33
	s_addc_u32 s1, s1, 0
	s_mul_i32 s11, s7, s11
	s_add_u32 s0, s0, s11
	s_addc_u32 s1, 0, s1
	v_add_co_u32_e32 v1, vcc, s0, v1
	s_cmp_lg_u64 vcc, 0
	s_addc_u32 s7, s7, s1
	s_ashr_i32 s38, s27, 31
	s_add_u32 s0, s26, s38
	s_mov_b32 s39, s38
	s_addc_u32 s1, s27, s38
	s_xor_b64 s[40:41], s[0:1], s[38:39]
	v_readfirstlane_b32 s11, v1
	s_mul_i32 s1, s40, s7
	s_mul_hi_u32 s21, s40, s11
	s_mul_hi_u32 s0, s40, s7
	s_add_u32 s1, s21, s1
	s_addc_u32 s0, 0, s0
	s_mul_hi_u32 s33, s41, s11
	s_mul_i32 s11, s41, s11
	s_add_u32 s1, s1, s11
	s_mul_hi_u32 s21, s41, s7
	s_addc_u32 s0, s0, s33
	s_addc_u32 s1, s21, 0
	s_mul_i32 s7, s41, s7
	s_add_u32 s7, s0, s7
	s_addc_u32 s11, 0, s1
	s_mul_i32 s0, s36, s11
	s_mul_hi_u32 s1, s36, s7
	s_add_i32 s0, s1, s0
	s_mul_i32 s1, s37, s7
	s_add_i32 s21, s0, s1
	s_mul_i32 s1, s36, s7
	v_mov_b32_e32 v1, s1
	s_sub_i32 s0, s41, s21
	v_sub_co_u32_e32 v1, vcc, s40, v1
	s_cmp_lg_u64 vcc, 0
	s_subb_u32 s33, s0, s37
	v_subrev_co_u32_e64 v2, s[0:1], s36, v1
	s_cmp_lg_u64 s[0:1], 0
	s_subb_u32 s0, s33, 0
	s_cmp_ge_u32 s0, s37
	v_readfirstlane_b32 s33, v2
	s_cselect_b32 s1, -1, 0
	s_cmp_ge_u32 s33, s36
	s_cselect_b32 s33, -1, 0
	s_cmp_eq_u32 s0, s37
	s_cselect_b32 s0, s33, s1
	s_add_u32 s1, s7, 1
	s_addc_u32 s33, s11, 0
	s_add_u32 s40, s7, 2
	s_addc_u32 s42, s11, 0
	s_cmp_lg_u32 s0, 0
	s_cselect_b32 s0, s40, s1
	s_cselect_b32 s1, s42, s33
	s_cmp_lg_u64 vcc, 0
	s_subb_u32 s21, s41, s21
	s_cmp_ge_u32 s21, s37
	v_readfirstlane_b32 s40, v1
	s_cselect_b32 s33, -1, 0
	s_cmp_ge_u32 s40, s36
	s_cselect_b32 s36, -1, 0
	s_cmp_eq_u32 s21, s37
	s_cselect_b32 s21, s36, s33
	s_cmp_lg_u32 s21, 0
	s_cselect_b32 s1, s1, s11
	s_cselect_b32 s0, s0, s7
	s_xor_b64 s[22:23], s[38:39], s[22:23]
	s_xor_b64 s[0:1], s[0:1], s[22:23]
	s_sub_u32 s22, s0, s22
	s_subb_u32 s23, s1, s23
	s_cbranch_execnz .LBB87_7
.LBB87_6:
	v_cvt_f32_u32_e32 v1, s34
	s_sub_i32 s0, 0, s34
	s_mov_b32 s23, 0
	v_rcp_iflag_f32_e32 v1, v1
	v_mul_f32_e32 v1, 0x4f7ffffe, v1
	v_cvt_u32_f32_e32 v1, v1
	v_readfirstlane_b32 s1, v1
	s_mul_i32 s0, s0, s1
	s_mul_hi_u32 s0, s1, s0
	s_add_i32 s1, s1, s0
	s_mul_hi_u32 s0, s26, s1
	s_mul_i32 s7, s0, s34
	s_sub_i32 s7, s26, s7
	s_add_i32 s1, s0, 1
	s_sub_i32 s11, s7, s34
	s_cmp_ge_u32 s7, s34
	s_cselect_b32 s0, s1, s0
	s_cselect_b32 s7, s11, s7
	s_add_i32 s1, s0, 1
	s_cmp_ge_u32 s7, s34
	s_cselect_b32 s22, s1, s0
.LBB87_7:
	s_mul_i32 s0, s22, s35
	s_mul_hi_u32 s1, s22, s34
	s_load_dwordx2 s[24:25], s[4:5], 0x78
	s_add_i32 s0, s1, s0
	s_mul_i32 s1, s23, s34
	s_add_i32 s0, s0, s1
	s_mul_i32 s1, s22, s34
	s_sub_u32 s7, s26, s1
	s_subb_u32 s11, s27, s0
	v_cmp_gt_i32_e32 vcc, s20, v0
	s_mul_hi_u32 s42, s22, s8
	s_mul_i32 s43, s23, s8
	s_mul_i32 s44, s22, s8
	s_mul_hi_u32 s33, s7, s9
	s_mul_i32 s11, s11, s9
	s_mul_i32 s23, s7, s9
	s_and_saveexec_b64 s[26:27], vcc
	s_cbranch_execz .LBB87_42
; %bb.8:
	s_ashr_i32 s0, s8, 31
	s_mul_i32 s0, s22, s0
	s_load_dword s1, s[4:5], 0x8c
	s_add_i32 s0, s42, s0
	s_add_i32 s34, s0, s43
	s_ashr_i32 s0, s9, 31
	s_mul_i32 s0, s7, s0
	s_add_i32 s0, s33, s0
	s_ashr_i32 s21, s20, 31
	s_add_i32 s35, s0, s11
	s_ashr_i32 s36, s10, 31
	s_waitcnt lgkmcnt(0)
	s_and_b32 s46, s1, 0xffff
	s_lshl_b64 s[0:1], s[30:31], 1
	s_add_u32 s0, s28, s0
	s_addc_u32 s1, s29, s1
	v_mov_b32_e32 v2, s1
	v_add_co_u32_e32 v1, vcc, s0, v5
	v_addc_co_u32_e32 v10, vcc, 0, v2, vcc
	s_lshl_b64 s[0:1], s[20:21], 1
	v_mov_b32_e32 v2, s1
	v_add_co_u32_e32 v11, vcc, s0, v1
	s_mul_i32 s0, s13, s6
	s_mul_hi_u32 s1, s12, s6
	s_add_i32 s1, s1, s0
	s_mul_i32 s0, s12, s6
	s_lshl_b32 s48, s46, 1
	s_lshl_b64 s[0:1], s[0:1], 1
	s_add_u32 s0, s16, s0
	v_addc_co_u32_e32 v12, vcc, v10, v2, vcc
	v_lshlrev_b32_e32 v2, 2, v0
	s_addc_u32 s1, s17, s1
	s_lshl_b32 s21, s46, 2
	v_add_co_u32_e32 v2, vcc, s0, v2
	s_add_u32 s0, s44, s23
	v_mov_b32_e32 v3, s1
	s_addc_u32 s1, s34, s35
	s_add_u32 s12, s2, s10
	s_load_dword s45, s[24:25], 0x0
	s_addc_u32 s13, s3, s36
	s_add_u32 s0, s12, s0
	v_addc_co_u32_e32 v3, vcc, 0, v3, vcc
	s_addc_u32 s1, s13, s1
	v_mov_b32_e32 v4, s1
	v_add_co_u32_e32 v13, vcc, s0, v5
	s_mov_b32 s47, 0
	v_addc_co_u32_e32 v14, vcc, 0, v4, vcc
	s_mov_b64 s[12:13], 0
	s_movk_i32 s49, 0x7fff
	v_mov_b32_e32 v15, 0x7fc00000
	v_mov_b32_e32 v16, 0x7fc0
	s_mov_b32 s50, 0x5040100
	v_mov_b32_e32 v5, 0
	s_movk_i32 s51, 0x80
	s_mov_b64 s[16:17], 0x7f800000
	s_mov_b64 s[28:29], 0x43e00001
	s_movk_i32 s52, 0x7a
	s_mov_b64 s[30:31], 0xffffff
	s_movk_i32 s53, 0x7f
	v_mov_b32_e32 v17, 0xffffff82
	v_mov_b32_e32 v18, 0x78
	s_mov_b64 s[34:35], 0
	v_mov_b32_e32 v19, v0
	s_branch .LBB87_10
.LBB87_9:                               ;   in Loop: Header=BB87_10 Depth=1
	s_or_b64 exec, exec, s[0:1]
	v_add_u32_e32 v19, s46, v19
	s_add_u32 s34, s34, s48
	s_addc_u32 s35, s35, 0
	v_cmp_le_i32_e32 vcc, s20, v19
	v_mov_b32_e32 v4, s47
	s_or_b64 s[12:13], vcc, s[12:13]
	v_add_co_u32_e32 v2, vcc, s21, v2
	v_addc_co_u32_e32 v3, vcc, v3, v4, vcc
	global_store_byte v[6:7], v9, off offset:1
	s_andn2_b64 exec, exec, s[12:13]
	s_cbranch_execz .LBB87_42
.LBB87_10:                              ; =>This Inner Loop Header: Depth=1
	v_mov_b32_e32 v4, s35
	v_add_co_u32_e32 v6, vcc, s34, v1
	v_addc_co_u32_e32 v7, vcc, v10, v4, vcc
	v_add_co_u32_e32 v8, vcc, s34, v11
	v_addc_co_u32_e32 v9, vcc, v12, v4, vcc
	global_load_ushort v4, v[6:7], off
	global_load_ushort v20, v[8:9], off
	global_load_dword v21, v[2:3], off
	s_waitcnt vmcnt(2)
	v_cvt_f32_f16_e32 v8, v4
	s_waitcnt vmcnt(1)
	v_cvt_f32_f16_e32 v9, v20
	s_waitcnt vmcnt(0)
	v_and_b32_e32 v7, 0xffff0000, v21
	v_lshlrev_b32_e32 v6, 16, v21
	v_bfe_u32 v21, v8, 16, 1
	v_bfe_u32 v22, v9, 16, 1
	v_add3_u32 v8, v8, v21, s49
	v_add3_u32 v9, v9, v22, s49
	v_and_b32_e32 v8, 0xffff0000, v8
	v_cmp_o_f16_e32 vcc, v4, v4
	v_and_b32_e32 v9, 0xffff0000, v9
	v_cndmask_b32_e32 v4, v15, v8, vcc
	v_cmp_o_f16_e32 vcc, v20, v20
	v_cndmask_b32_e32 v8, v15, v9, vcc
	v_pk_mul_f32 v[20:21], v[4:5], v[6:7] op_sel_hi:[0,1]
	v_pk_mul_f32 v[6:7], v[8:9], v[6:7] op_sel_hi:[0,1]
	v_bfe_u32 v8, v21, 16, 1
	v_bfe_u32 v4, v20, 16, 1
	;; [unrolled: 1-line block ×3, first 2 shown]
	v_add3_u32 v8, v21, v8, s49
	v_bfe_u32 v22, v6, 16, 1
	v_add3_u32 v4, v20, v4, s49
	v_add3_u32 v9, v7, v9, s49
	v_and_b32_e32 v8, 0xffff0000, v8
	v_cmp_o_f32_e32 vcc, v21, v21
	v_add3_u32 v22, v6, v22, s49
	v_and_b32_e32 v4, 0xffff0000, v4
	v_and_b32_e32 v23, 0xffff0000, v9
	v_cndmask_b32_e32 v9, v15, v8, vcc
	v_cmp_o_f32_e32 vcc, v20, v20
	v_and_b32_e32 v22, 0xffff0000, v22
	v_cndmask_b32_e32 v8, v15, v4, vcc
	v_cmp_o_f32_e32 vcc, v6, v6
	v_cndmask_b32_e32 v21, v15, v22, vcc
	v_cmp_o_f32_e32 vcc, v7, v7
	v_cndmask_b32_e32 v20, v15, v23, vcc
	v_pk_add_f32 v[6:7], v[8:9], v[20:21] neg_lo:[0,1] neg_hi:[0,1]
	v_bfe_u32 v4, v6, 16, 1
	v_add3_u32 v4, v6, v4, s49
	v_lshrrev_b32_e32 v4, 16, v4
	v_cmp_o_f32_e32 vcc, v6, v6
	v_cndmask_b32_e32 v4, v16, v4, vcc
	v_cvt_f32_f16_e32 v22, v4
	v_pk_add_f32 v[6:7], v[8:9], v[20:21]
	v_mov_b32_e32 v23, v5
	s_waitcnt lgkmcnt(0)
	v_div_scale_f32 v24, s[0:1], s45, s45, v22
	v_rcp_f32_e32 v25, v24
	v_div_scale_f32 v6, vcc, v22, s45, v22
	v_fma_f32 v8, -v24, v25, 1.0
	v_fmac_f32_e32 v25, v8, v25
	v_mul_f32_e32 v8, v6, v25
	v_fma_f32 v9, -v24, v8, v6
	v_fmac_f32_e32 v8, v9, v25
	v_fma_f32 v6, -v24, v8, v6
	v_div_fmas_f32 v6, v6, v25, v8
	v_div_fixup_f32 v6, v6, s45, v22
	v_cvt_f16_f32_e32 v6, v6
	v_bfe_u32 v8, v7, 16, 1
	v_add3_u32 v8, v7, v8, s49
	v_lshrrev_b32_e32 v8, 16, v8
	v_cvt_f32_f16_e32 v6, v6
	v_cmp_o_f32_e32 vcc, v7, v7
	v_cndmask_b32_e32 v7, v16, v8, vcc
	v_perm_b32 v8, v7, v4, s50
	v_and_b32_sdwa v9, v6, s51 dst_sel:DWORD dst_unused:UNUSED_PAD src0_sel:BYTE_3 src1_sel:DWORD
	v_and_b32_e32 v22, 0x7f800000, v6
	v_and_b32_e32 v4, 0x7fffff, v6
	v_or_b32_e32 v20, 0x7e, v9
	v_cmp_ne_u64_e32 vcc, s[16:17], v[22:23]
	global_store_dword v[2:3], v8, off
	s_and_saveexec_b64 s[0:1], vcc
	s_xor_b64 s[36:37], exec, s[0:1]
	s_cbranch_execz .LBB87_24
; %bb.11:                               ;   in Loop: Header=BB87_10 Depth=1
	v_and_b32_e32 v22, 0x7fffffff, v6
	v_mov_b32_e32 v23, v5
	v_cmp_gt_u64_e32 vcc, s[28:29], v[22:23]
	s_and_saveexec_b64 s[0:1], vcc
	s_xor_b64 s[38:39], exec, s[0:1]
	s_cbranch_execz .LBB87_23
; %bb.12:                               ;   in Loop: Header=BB87_10 Depth=1
	v_cmp_ne_u32_e32 vcc, 0, v6
	v_mov_b32_e32 v20, 0
	s_and_saveexec_b64 s[40:41], vcc
	s_cbranch_execz .LBB87_22
; %bb.13:                               ;   in Loop: Header=BB87_10 Depth=1
	v_bfe_u32 v6, v6, 23, 8
	v_sub_u32_e32 v20, 0x79, v6
	v_cmp_gt_u32_e32 vcc, s52, v6
	v_cndmask_b32_e32 v20, 0, v20, vcc
	v_cmp_eq_u32_e32 vcc, 0, v6
	v_cndmask_b32_e32 v20, v20, v18, vcc
	v_add_u32_e32 v7, 0xffffff81, v6
	v_or_b32_e32 v21, 0x800000, v4
	v_add_u32_e32 v6, 20, v20
	v_cndmask_b32_e32 v26, v7, v17, vcc
	v_cndmask_b32_e32 v4, v21, v4, vcc
	v_lshlrev_b64 v[6:7], v6, -1
	v_not_b32_e32 v6, v6
	v_lshrrev_b64 v[24:25], v20, v[4:5]
	v_not_b32_e32 v7, v7
	v_and_b32_e32 v6, v4, v6
	v_add_u32_e32 v21, 19, v20
	v_lshrrev_b32_e32 v4, 23, v24
	v_and_b32_e32 v7, 0, v7
	v_lshlrev_b64 v[22:23], v21, 1
	v_add3_u32 v21, v20, v26, v4
	v_bfe_u32 v4, v24, 20, 1
	v_add_u32_e32 v4, -1, v4
	v_cmp_eq_u64_e32 vcc, v[6:7], v[22:23]
	v_cndmask_b32_e32 v4, 0, v4, vcc
	v_add_u32_e32 v4, v4, v24
	v_and_b32_e32 v4, 0xfffff, v4
	v_add_co_u32_e32 v6, vcc, v4, v24
	v_add_u32_e32 v20, 6, v21
	v_addc_co_u32_e32 v7, vcc, 0, v25, vcc
	v_cmp_ne_u32_e32 vcc, 0, v20
                                        ; implicit-def: $vgpr4
	s_and_saveexec_b64 s[0:1], vcc
	s_xor_b64 s[0:1], exec, s[0:1]
; %bb.14:                               ;   in Loop: Header=BB87_10 Depth=1
	v_add_u32_e32 v4, 7, v21
	v_cmp_lt_u64_e32 vcc, s[30:31], v[6:7]
	v_cndmask_b32_e32 v4, v20, v4, vcc
	v_cndmask_b32_e64 v20, 0, 1, vcc
	v_lshrrev_b64 v[6:7], v20, v[6:7]
; %bb.15:                               ;   in Loop: Header=BB87_10 Depth=1
	s_andn2_saveexec_b64 s[0:1], s[0:1]
; %bb.16:                               ;   in Loop: Header=BB87_10 Depth=1
	v_bfe_u32 v4, v6, 23, 1
; %bb.17:                               ;   in Loop: Header=BB87_10 Depth=1
	s_or_b64 exec, exec, s[0:1]
	v_lshrrev_b64 v[6:7], 20, v[6:7]
	v_cmp_gt_i32_e32 vcc, 16, v4
	v_cndmask_b32_e32 v7, 0, v7, vcc
	v_cndmask_b32_e32 v6, 7, v6, vcc
	v_cmp_ne_u32_e32 vcc, 0, v4
	v_cmp_ne_u64_e64 s[0:1], 0, v[6:7]
	s_or_b64 s[0:1], vcc, s[0:1]
                                        ; implicit-def: $vgpr20
	s_and_saveexec_b64 s[54:55], s[0:1]
	s_xor_b64 s[0:1], exec, s[54:55]
; %bb.18:                               ;   in Loop: Header=BB87_10 Depth=1
	v_min_i32_e32 v4, 15, v4
	v_lshl_or_b32 v4, v4, 3, v9
	v_and_or_b32 v20, v6, 7, v4
                                        ; implicit-def: $vgpr9
; %bb.19:                               ;   in Loop: Header=BB87_10 Depth=1
	s_andn2_saveexec_b64 s[0:1], s[0:1]
; %bb.20:                               ;   in Loop: Header=BB87_10 Depth=1
	v_mov_b32_e32 v20, v9
; %bb.21:                               ;   in Loop: Header=BB87_10 Depth=1
	s_or_b64 exec, exec, s[0:1]
.LBB87_22:                              ;   in Loop: Header=BB87_10 Depth=1
	s_or_b64 exec, exec, s[40:41]
.LBB87_23:                              ;   in Loop: Header=BB87_10 Depth=1
	s_andn2_saveexec_b64 s[0:1], s[38:39]
	s_or_b64 exec, exec, s[0:1]
                                        ; implicit-def: $vgpr6
.LBB87_24:                              ;   in Loop: Header=BB87_10 Depth=1
	s_andn2_saveexec_b64 s[0:1], s[36:37]
; %bb.25:                               ;   in Loop: Header=BB87_10 Depth=1
	v_or_b32_sdwa v6, v6, s53 dst_sel:DWORD dst_unused:UNUSED_PAD src0_sel:BYTE_3 src1_sel:DWORD
	v_cmp_eq_u64_e32 vcc, 0, v[4:5]
	v_cndmask_b32_e32 v20, v6, v20, vcc
; %bb.26:                               ;   in Loop: Header=BB87_10 Depth=1
	s_or_b64 exec, exec, s[0:1]
	v_cvt_f32_f16_sdwa v4, v8 dst_sel:DWORD dst_unused:UNUSED_PAD src0_sel:WORD_1
	v_mov_b32_e32 v23, v5
	v_div_scale_f32 v6, s[0:1], s45, s45, v4
	v_rcp_f32_e32 v7, v6
	v_div_scale_f32 v8, vcc, v4, s45, v4
	v_fma_f32 v9, -v6, v7, 1.0
	v_fmac_f32_e32 v7, v9, v7
	v_mul_f32_e32 v9, v8, v7
	v_fma_f32 v21, -v6, v9, v8
	v_fmac_f32_e32 v9, v21, v7
	v_fma_f32 v6, -v6, v9, v8
	v_div_fmas_f32 v6, v6, v7, v9
	v_div_fixup_f32 v4, v6, s45, v4
	v_cvt_f16_f32_e32 v4, v4
	v_mov_b32_e32 v7, s35
	v_add_co_u32_e32 v6, vcc, s34, v13
	v_cvt_f32_f16_e32 v8, v4
	v_addc_co_u32_e32 v7, vcc, v14, v7, vcc
	global_store_byte v[6:7], v20, off
	v_and_b32_sdwa v20, v8, s51 dst_sel:DWORD dst_unused:UNUSED_PAD src0_sel:BYTE_3 src1_sel:DWORD
	v_and_b32_e32 v22, 0x7f800000, v8
	v_and_b32_e32 v4, 0x7fffff, v8
	v_or_b32_e32 v9, 0x7e, v20
	v_cmp_ne_u64_e32 vcc, s[16:17], v[22:23]
	s_and_saveexec_b64 s[0:1], vcc
	s_xor_b64 s[36:37], exec, s[0:1]
	s_cbranch_execz .LBB87_40
; %bb.27:                               ;   in Loop: Header=BB87_10 Depth=1
	v_and_b32_e32 v22, 0x7fffffff, v8
	v_mov_b32_e32 v23, v5
	v_cmp_gt_u64_e32 vcc, s[28:29], v[22:23]
	s_and_saveexec_b64 s[0:1], vcc
	s_xor_b64 s[38:39], exec, s[0:1]
	s_cbranch_execz .LBB87_39
; %bb.28:                               ;   in Loop: Header=BB87_10 Depth=1
	v_cmp_ne_u32_e32 vcc, 0, v8
	v_mov_b32_e32 v9, 0
	s_and_saveexec_b64 s[40:41], vcc
	s_cbranch_execz .LBB87_38
; %bb.29:                               ;   in Loop: Header=BB87_10 Depth=1
	v_bfe_u32 v8, v8, 23, 8
	v_sub_u32_e32 v21, 0x79, v8
	v_cmp_gt_u32_e32 vcc, s52, v8
	v_cndmask_b32_e32 v21, 0, v21, vcc
	v_cmp_eq_u32_e32 vcc, 0, v8
	v_cndmask_b32_e32 v21, v21, v18, vcc
	v_add_u32_e32 v9, 0xffffff81, v8
	v_or_b32_e32 v22, 0x800000, v4
	v_add_u32_e32 v8, 20, v21
	v_cndmask_b32_e32 v23, v9, v17, vcc
	v_cndmask_b32_e32 v4, v22, v4, vcc
	v_lshlrev_b64 v[8:9], v8, -1
	v_not_b32_e32 v8, v8
	v_lshrrev_b64 v[26:27], v21, v[4:5]
	v_not_b32_e32 v9, v9
	v_and_b32_e32 v8, v4, v8
	v_add_u32_e32 v22, 19, v21
	v_lshrrev_b32_e32 v4, 23, v26
	v_and_b32_e32 v9, 0, v9
	v_lshlrev_b64 v[24:25], v22, 1
	v_add3_u32 v22, v21, v23, v4
	v_bfe_u32 v4, v26, 20, 1
	v_add_u32_e32 v4, -1, v4
	v_cmp_eq_u64_e32 vcc, v[8:9], v[24:25]
	v_cndmask_b32_e32 v4, 0, v4, vcc
	v_add_u32_e32 v4, v4, v26
	v_and_b32_e32 v4, 0xfffff, v4
	v_add_co_u32_e32 v8, vcc, v4, v26
	v_add_u32_e32 v21, 6, v22
	v_addc_co_u32_e32 v9, vcc, 0, v27, vcc
	v_cmp_ne_u32_e32 vcc, 0, v21
                                        ; implicit-def: $vgpr4
	s_and_saveexec_b64 s[0:1], vcc
	s_xor_b64 s[0:1], exec, s[0:1]
; %bb.30:                               ;   in Loop: Header=BB87_10 Depth=1
	v_add_u32_e32 v4, 7, v22
	v_cmp_lt_u64_e32 vcc, s[30:31], v[8:9]
	v_cndmask_b32_e32 v4, v21, v4, vcc
	v_cndmask_b32_e64 v21, 0, 1, vcc
	v_lshrrev_b64 v[8:9], v21, v[8:9]
; %bb.31:                               ;   in Loop: Header=BB87_10 Depth=1
	s_andn2_saveexec_b64 s[0:1], s[0:1]
; %bb.32:                               ;   in Loop: Header=BB87_10 Depth=1
	v_bfe_u32 v4, v8, 23, 1
; %bb.33:                               ;   in Loop: Header=BB87_10 Depth=1
	s_or_b64 exec, exec, s[0:1]
	v_lshrrev_b64 v[8:9], 20, v[8:9]
	v_cmp_gt_i32_e32 vcc, 16, v4
	v_cndmask_b32_e32 v9, 0, v9, vcc
	v_cndmask_b32_e32 v8, 7, v8, vcc
	v_cmp_ne_u32_e32 vcc, 0, v4
	v_cmp_ne_u64_e64 s[0:1], 0, v[8:9]
	s_or_b64 s[0:1], vcc, s[0:1]
                                        ; implicit-def: $vgpr9
	s_and_saveexec_b64 s[54:55], s[0:1]
	s_xor_b64 s[0:1], exec, s[54:55]
; %bb.34:                               ;   in Loop: Header=BB87_10 Depth=1
	v_min_i32_e32 v4, 15, v4
	v_lshl_or_b32 v4, v4, 3, v20
	v_and_or_b32 v9, v8, 7, v4
                                        ; implicit-def: $vgpr20
; %bb.35:                               ;   in Loop: Header=BB87_10 Depth=1
	s_andn2_saveexec_b64 s[0:1], s[0:1]
; %bb.36:                               ;   in Loop: Header=BB87_10 Depth=1
	v_mov_b32_e32 v9, v20
; %bb.37:                               ;   in Loop: Header=BB87_10 Depth=1
	s_or_b64 exec, exec, s[0:1]
.LBB87_38:                              ;   in Loop: Header=BB87_10 Depth=1
	s_or_b64 exec, exec, s[40:41]
.LBB87_39:                              ;   in Loop: Header=BB87_10 Depth=1
	s_andn2_saveexec_b64 s[0:1], s[38:39]
	s_or_b64 exec, exec, s[0:1]
                                        ; implicit-def: $vgpr8
.LBB87_40:                              ;   in Loop: Header=BB87_10 Depth=1
	s_andn2_saveexec_b64 s[0:1], s[36:37]
	s_cbranch_execz .LBB87_9
; %bb.41:                               ;   in Loop: Header=BB87_10 Depth=1
	v_or_b32_sdwa v8, v8, s53 dst_sel:DWORD dst_unused:UNUSED_PAD src0_sel:BYTE_3 src1_sel:DWORD
	v_cmp_eq_u64_e32 vcc, 0, v[4:5]
	v_cndmask_b32_e32 v9, v8, v9, vcc
	s_branch .LBB87_9
.LBB87_42:
	s_or_b64 exec, exec, s[26:27]
	v_cmp_gt_i32_e32 vcc, s10, v0
	s_and_saveexec_b64 s[0:1], vcc
	s_cbranch_execz .LBB87_61
; %bb.43:
	s_mul_i32 s0, s6, s15
	s_mul_hi_u32 s1, s6, s14
	s_add_i32 s1, s1, s0
	s_mul_i32 s0, s6, s14
	s_lshl_b64 s[0:1], s[0:1], 1
	s_add_u32 s18, s18, s0
	s_addc_u32 s0, s19, s1
	s_ashr_i32 s1, s8, 31
	s_mul_i32 s1, s22, s1
	s_add_i32 s1, s42, s1
	s_add_i32 s1, s1, s43
	s_add_u32 s2, s2, s44
	s_addc_u32 s1, s3, s1
	s_ashr_i32 s3, s9, 31
	s_load_dword s4, s[4:5], 0x8c
	s_mul_i32 s7, s7, s3
	s_waitcnt lgkmcnt(0)
	s_load_dword s20, s[24:25], 0x0
	s_add_i32 s3, s33, s7
	s_add_i32 s3, s3, s11
	s_add_u32 s11, s2, s23
	s_addc_u32 s19, s1, s3
	s_and_b32 s21, s4, 0xffff
	s_mov_b64 s[2:3], 0
	v_mov_b32_e32 v6, s0
	v_mov_b32_e32 v3, 0
	s_movk_i32 s22, 0x80
	s_mov_b64 s[4:5], 0x7f800000
	s_mov_b64 s[6:7], 0x43e00001
	s_movk_i32 s23, 0x7a
	s_mov_b64 s[8:9], 0xffffff
	s_movk_i32 s24, 0x7f
	v_mov_b32_e32 v7, 0xffffff82
	v_mov_b32_e32 v8, 0x78
	s_branch .LBB87_45
.LBB87_44:                              ;   in Loop: Header=BB87_45 Depth=1
	s_or_b64 exec, exec, s[0:1]
	v_mov_b32_e32 v2, s19
	v_add_co_u32_e32 v10, vcc, s11, v0
	v_addc_co_u32_e32 v11, vcc, v2, v1, vcc
	v_add_u32_e32 v0, s21, v0
	v_cmp_le_i32_e32 vcc, s10, v0
	s_or_b64 s[2:3], vcc, s[2:3]
	global_store_byte v[10:11], v5, off
	s_andn2_b64 exec, exec, s[2:3]
	s_cbranch_execz .LBB87_61
.LBB87_45:                              ; =>This Inner Loop Header: Depth=1
	v_ashrrev_i32_e32 v1, 31, v0
	v_lshlrev_b64 v[4:5], 1, v[0:1]
	v_add_co_u32_e32 v4, vcc, s18, v4
	v_addc_co_u32_e32 v5, vcc, v6, v5, vcc
	global_load_ushort v2, v[4:5], off
	s_waitcnt vmcnt(0)
	v_cvt_f32_f16_e32 v2, v2
	s_waitcnt lgkmcnt(0)
	v_div_scale_f32 v4, s[0:1], s20, s20, v2
	v_rcp_f32_e32 v5, v4
	v_div_scale_f32 v9, vcc, v2, s20, v2
	v_fma_f32 v10, -v4, v5, 1.0
	v_fmac_f32_e32 v5, v10, v5
	v_mul_f32_e32 v10, v9, v5
	v_fma_f32 v11, -v4, v10, v9
	v_fmac_f32_e32 v10, v11, v5
	v_fma_f32 v4, -v4, v10, v9
	v_div_fmas_f32 v4, v4, v5, v10
	v_div_fixup_f32 v2, v4, s20, v2
	v_cvt_f16_f32_e32 v2, v2
	v_mov_b32_e32 v11, v3
	v_cvt_f32_f16_e32 v4, v2
	v_and_b32_sdwa v9, v4, s22 dst_sel:DWORD dst_unused:UNUSED_PAD src0_sel:BYTE_3 src1_sel:DWORD
	v_and_b32_e32 v10, 0x7f800000, v4
	v_and_b32_e32 v2, 0x7fffff, v4
	v_or_b32_e32 v5, 0x7e, v9
	v_cmp_ne_u64_e32 vcc, s[4:5], v[10:11]
	s_and_saveexec_b64 s[0:1], vcc
	s_xor_b64 s[12:13], exec, s[0:1]
	s_cbranch_execz .LBB87_59
; %bb.46:                               ;   in Loop: Header=BB87_45 Depth=1
	v_and_b32_e32 v10, 0x7fffffff, v4
	v_mov_b32_e32 v11, v3
	v_cmp_gt_u64_e32 vcc, s[6:7], v[10:11]
	s_and_saveexec_b64 s[0:1], vcc
	s_xor_b64 s[14:15], exec, s[0:1]
	s_cbranch_execz .LBB87_58
; %bb.47:                               ;   in Loop: Header=BB87_45 Depth=1
	v_cmp_ne_u32_e32 vcc, 0, v4
	v_mov_b32_e32 v5, 0
	s_and_saveexec_b64 s[16:17], vcc
	s_cbranch_execz .LBB87_57
; %bb.48:                               ;   in Loop: Header=BB87_45 Depth=1
	v_bfe_u32 v4, v4, 23, 8
	v_sub_u32_e32 v10, 0x79, v4
	v_cmp_gt_u32_e32 vcc, s23, v4
	v_cndmask_b32_e32 v10, 0, v10, vcc
	v_cmp_eq_u32_e32 vcc, 0, v4
	v_cndmask_b32_e32 v10, v10, v8, vcc
	v_add_u32_e32 v5, 0xffffff81, v4
	v_or_b32_e32 v11, 0x800000, v2
	v_add_u32_e32 v4, 20, v10
	v_cndmask_b32_e32 v16, v5, v7, vcc
	v_cndmask_b32_e32 v2, v11, v2, vcc
	v_lshlrev_b64 v[4:5], v4, -1
	v_not_b32_e32 v4, v4
	v_lshrrev_b64 v[14:15], v10, v[2:3]
	v_not_b32_e32 v5, v5
	v_and_b32_e32 v4, v2, v4
	v_add_u32_e32 v11, 19, v10
	v_lshrrev_b32_e32 v2, 23, v14
	v_and_b32_e32 v5, 0, v5
	v_lshlrev_b64 v[12:13], v11, 1
	v_add3_u32 v11, v10, v16, v2
	v_bfe_u32 v2, v14, 20, 1
	v_add_u32_e32 v2, -1, v2
	v_cmp_eq_u64_e32 vcc, v[4:5], v[12:13]
	v_cndmask_b32_e32 v2, 0, v2, vcc
	v_add_u32_e32 v2, v2, v14
	v_and_b32_e32 v2, 0xfffff, v2
	v_add_co_u32_e32 v4, vcc, v2, v14
	v_add_u32_e32 v10, 6, v11
	v_addc_co_u32_e32 v5, vcc, 0, v15, vcc
	v_cmp_ne_u32_e32 vcc, 0, v10
                                        ; implicit-def: $vgpr2
	s_and_saveexec_b64 s[0:1], vcc
	s_xor_b64 s[0:1], exec, s[0:1]
; %bb.49:                               ;   in Loop: Header=BB87_45 Depth=1
	v_add_u32_e32 v2, 7, v11
	v_cmp_lt_u64_e32 vcc, s[8:9], v[4:5]
	v_cndmask_b32_e32 v2, v10, v2, vcc
	v_cndmask_b32_e64 v10, 0, 1, vcc
	v_lshrrev_b64 v[4:5], v10, v[4:5]
; %bb.50:                               ;   in Loop: Header=BB87_45 Depth=1
	s_andn2_saveexec_b64 s[0:1], s[0:1]
; %bb.51:                               ;   in Loop: Header=BB87_45 Depth=1
	v_bfe_u32 v2, v4, 23, 1
; %bb.52:                               ;   in Loop: Header=BB87_45 Depth=1
	s_or_b64 exec, exec, s[0:1]
	v_lshrrev_b64 v[4:5], 20, v[4:5]
	v_cmp_gt_i32_e32 vcc, 16, v2
	v_cndmask_b32_e32 v5, 0, v5, vcc
	v_cndmask_b32_e32 v4, 7, v4, vcc
	v_cmp_ne_u32_e32 vcc, 0, v2
	v_cmp_ne_u64_e64 s[0:1], 0, v[4:5]
	s_or_b64 s[0:1], vcc, s[0:1]
                                        ; implicit-def: $vgpr5
	s_and_saveexec_b64 s[26:27], s[0:1]
	s_xor_b64 s[0:1], exec, s[26:27]
; %bb.53:                               ;   in Loop: Header=BB87_45 Depth=1
	v_min_i32_e32 v2, 15, v2
	v_lshl_or_b32 v2, v2, 3, v9
	v_and_or_b32 v5, v4, 7, v2
                                        ; implicit-def: $vgpr9
; %bb.54:                               ;   in Loop: Header=BB87_45 Depth=1
	s_andn2_saveexec_b64 s[0:1], s[0:1]
; %bb.55:                               ;   in Loop: Header=BB87_45 Depth=1
	v_mov_b32_e32 v5, v9
; %bb.56:                               ;   in Loop: Header=BB87_45 Depth=1
	s_or_b64 exec, exec, s[0:1]
.LBB87_57:                              ;   in Loop: Header=BB87_45 Depth=1
	s_or_b64 exec, exec, s[16:17]
.LBB87_58:                              ;   in Loop: Header=BB87_45 Depth=1
	s_andn2_saveexec_b64 s[0:1], s[14:15]
	s_or_b64 exec, exec, s[0:1]
                                        ; implicit-def: $vgpr4
.LBB87_59:                              ;   in Loop: Header=BB87_45 Depth=1
	s_andn2_saveexec_b64 s[0:1], s[12:13]
	s_cbranch_execz .LBB87_44
; %bb.60:                               ;   in Loop: Header=BB87_45 Depth=1
	v_or_b32_sdwa v4, v4, s24 dst_sel:DWORD dst_unused:UNUSED_PAD src0_sel:BYTE_3 src1_sel:DWORD
	v_cmp_eq_u64_e32 vcc, 0, v[2:3]
	v_cndmask_b32_e32 v5, v4, v5, vcc
	s_branch .LBB87_44
.LBB87_61:
	s_endpgm
.LBB87_62:
                                        ; implicit-def: $sgpr22_sgpr23
	s_branch .LBB87_6
	.section	.rodata,"a",@progbits
	.p2align	6, 0x0
	.amdhsa_kernel _ZN4vllm38concat_and_cache_mla_rope_fused_kernelIN3c108BFloat16ENS1_4HalfELb0EthLNS_18Fp8KVCacheDataTypeE1EEEvPKlPT_S8_PKS7_PKT0_illlliPT3_S6_iiiiPKf
		.amdhsa_group_segment_fixed_size 0
		.amdhsa_private_segment_fixed_size 0
		.amdhsa_kernarg_size 384
		.amdhsa_user_sgpr_count 6
		.amdhsa_user_sgpr_private_segment_buffer 1
		.amdhsa_user_sgpr_dispatch_ptr 0
		.amdhsa_user_sgpr_queue_ptr 0
		.amdhsa_user_sgpr_kernarg_segment_ptr 1
		.amdhsa_user_sgpr_dispatch_id 0
		.amdhsa_user_sgpr_flat_scratch_init 0
		.amdhsa_user_sgpr_kernarg_preload_length 0
		.amdhsa_user_sgpr_kernarg_preload_offset 0
		.amdhsa_user_sgpr_private_segment_size 0
		.amdhsa_uses_dynamic_stack 0
		.amdhsa_system_sgpr_private_segment_wavefront_offset 0
		.amdhsa_system_sgpr_workgroup_id_x 1
		.amdhsa_system_sgpr_workgroup_id_y 0
		.amdhsa_system_sgpr_workgroup_id_z 0
		.amdhsa_system_sgpr_workgroup_info 0
		.amdhsa_system_vgpr_workitem_id 0
		.amdhsa_next_free_vgpr 28
		.amdhsa_next_free_sgpr 56
		.amdhsa_accum_offset 28
		.amdhsa_reserve_vcc 1
		.amdhsa_reserve_flat_scratch 0
		.amdhsa_float_round_mode_32 0
		.amdhsa_float_round_mode_16_64 0
		.amdhsa_float_denorm_mode_32 3
		.amdhsa_float_denorm_mode_16_64 3
		.amdhsa_dx10_clamp 1
		.amdhsa_ieee_mode 1
		.amdhsa_fp16_overflow 0
		.amdhsa_tg_split 0
		.amdhsa_exception_fp_ieee_invalid_op 0
		.amdhsa_exception_fp_denorm_src 0
		.amdhsa_exception_fp_ieee_div_zero 0
		.amdhsa_exception_fp_ieee_overflow 0
		.amdhsa_exception_fp_ieee_underflow 0
		.amdhsa_exception_fp_ieee_inexact 0
		.amdhsa_exception_int_div_zero 0
	.end_amdhsa_kernel
	.section	.text._ZN4vllm38concat_and_cache_mla_rope_fused_kernelIN3c108BFloat16ENS1_4HalfELb0EthLNS_18Fp8KVCacheDataTypeE1EEEvPKlPT_S8_PKS7_PKT0_illlliPT3_S6_iiiiPKf,"axG",@progbits,_ZN4vllm38concat_and_cache_mla_rope_fused_kernelIN3c108BFloat16ENS1_4HalfELb0EthLNS_18Fp8KVCacheDataTypeE1EEEvPKlPT_S8_PKS7_PKT0_illlliPT3_S6_iiiiPKf,comdat
.Lfunc_end87:
	.size	_ZN4vllm38concat_and_cache_mla_rope_fused_kernelIN3c108BFloat16ENS1_4HalfELb0EthLNS_18Fp8KVCacheDataTypeE1EEEvPKlPT_S8_PKS7_PKT0_illlliPT3_S6_iiiiPKf, .Lfunc_end87-_ZN4vllm38concat_and_cache_mla_rope_fused_kernelIN3c108BFloat16ENS1_4HalfELb0EthLNS_18Fp8KVCacheDataTypeE1EEEvPKlPT_S8_PKS7_PKT0_illlliPT3_S6_iiiiPKf
                                        ; -- End function
	.section	.AMDGPU.csdata,"",@progbits
; Kernel info:
; codeLenInByte = 4296
; NumSgprs: 60
; NumVgprs: 28
; NumAgprs: 0
; TotalNumVgprs: 28
; ScratchSize: 0
; MemoryBound: 0
; FloatMode: 240
; IeeeMode: 1
; LDSByteSize: 0 bytes/workgroup (compile time only)
; SGPRBlocks: 7
; VGPRBlocks: 3
; NumSGPRsForWavesPerEU: 60
; NumVGPRsForWavesPerEU: 28
; AccumOffset: 28
; Occupancy: 8
; WaveLimiterHint : 1
; COMPUTE_PGM_RSRC2:SCRATCH_EN: 0
; COMPUTE_PGM_RSRC2:USER_SGPR: 6
; COMPUTE_PGM_RSRC2:TRAP_HANDLER: 0
; COMPUTE_PGM_RSRC2:TGID_X_EN: 1
; COMPUTE_PGM_RSRC2:TGID_Y_EN: 0
; COMPUTE_PGM_RSRC2:TGID_Z_EN: 0
; COMPUTE_PGM_RSRC2:TIDIG_COMP_CNT: 0
; COMPUTE_PGM_RSRC3_GFX90A:ACCUM_OFFSET: 6
; COMPUTE_PGM_RSRC3_GFX90A:TG_SPLIT: 0
	.section	.text._ZN4vllm38concat_and_cache_mla_rope_fused_kernelIN3c108BFloat16ES2_Lb1EthLNS_18Fp8KVCacheDataTypeE1EEEvPKlPT_S7_PKS6_PKT0_illlliPT3_S5_iiiiPKf,"axG",@progbits,_ZN4vllm38concat_and_cache_mla_rope_fused_kernelIN3c108BFloat16ES2_Lb1EthLNS_18Fp8KVCacheDataTypeE1EEEvPKlPT_S7_PKS6_PKT0_illlliPT3_S5_iiiiPKf,comdat
	.protected	_ZN4vllm38concat_and_cache_mla_rope_fused_kernelIN3c108BFloat16ES2_Lb1EthLNS_18Fp8KVCacheDataTypeE1EEEvPKlPT_S7_PKS6_PKT0_illlliPT3_S5_iiiiPKf ; -- Begin function _ZN4vllm38concat_and_cache_mla_rope_fused_kernelIN3c108BFloat16ES2_Lb1EthLNS_18Fp8KVCacheDataTypeE1EEEvPKlPT_S7_PKS6_PKT0_illlliPT3_S5_iiiiPKf
	.globl	_ZN4vllm38concat_and_cache_mla_rope_fused_kernelIN3c108BFloat16ES2_Lb1EthLNS_18Fp8KVCacheDataTypeE1EEEvPKlPT_S7_PKS6_PKT0_illlliPT3_S5_iiiiPKf
	.p2align	8
	.type	_ZN4vllm38concat_and_cache_mla_rope_fused_kernelIN3c108BFloat16ES2_Lb1EthLNS_18Fp8KVCacheDataTypeE1EEEvPKlPT_S7_PKS6_PKT0_illlliPT3_S5_iiiiPKf,@function
_ZN4vllm38concat_and_cache_mla_rope_fused_kernelIN3c108BFloat16ES2_Lb1EthLNS_18Fp8KVCacheDataTypeE1EEEvPKlPT_S7_PKS6_PKT0_illlliPT3_S5_iiiiPKf: ; @_ZN4vllm38concat_and_cache_mla_rope_fused_kernelIN3c108BFloat16ES2_Lb1EthLNS_18Fp8KVCacheDataTypeE1EEEvPKlPT_S7_PKS6_PKT0_illlliPT3_S5_iiiiPKf
; %bb.0:
	s_load_dwordx2 s[2:3], s[4:5], 0x60
	s_mov_b32 s7, 0
	s_lshl_b64 s[0:1], s[6:7], 3
	s_waitcnt lgkmcnt(0)
	s_add_u32 s2, s2, s0
	s_addc_u32 s3, s3, s1
	s_load_dwordx2 s[26:27], s[2:3], 0x0
	s_waitcnt lgkmcnt(0)
	v_cmp_lt_i64_e64 s[2:3], s[26:27], 0
	s_and_b64 vcc, exec, s[2:3]
	s_cbranch_vccnz .LBB88_61
; %bb.1:
	s_load_dword s22, s[4:5], 0x28
	s_load_dwordx2 s[2:3], s[4:5], 0x0
	s_load_dwordx4 s[16:19], s[4:5], 0x10
	s_waitcnt lgkmcnt(0)
	s_ashr_i32 s7, s22, 31
	s_add_u32 s0, s2, s0
	s_addc_u32 s1, s3, s1
	s_load_dwordx2 s[2:3], s[0:1], 0x0
	s_load_dwordx2 s[28:29], s[4:5], 0x20
	s_load_dwordx8 s[8:15], s[4:5], 0x30
	s_load_dwordx2 s[20:21], s[4:5], 0x58
	s_load_dword s23, s[4:5], 0x50
	s_waitcnt lgkmcnt(0)
	s_mul_i32 s0, s2, s7
	s_mul_hi_u32 s1, s2, s22
	s_mul_i32 s3, s3, s22
	s_add_i32 s0, s1, s0
	s_add_i32 s1, s0, s3
	s_mul_i32 s0, s2, s22
	s_lshl_b64 s[30:31], s[0:1], 1
	s_add_u32 s7, s28, s30
	s_addc_u32 s33, s29, s31
	s_lshr_b32 s0, s22, 31
	s_add_i32 s22, s22, s0
	s_ashr_i32 s22, s22, 1
	s_mul_i32 s38, s22, s23
	v_cmp_gt_i32_e32 vcc, s38, v0
	s_and_saveexec_b64 s[24:25], vcc
	s_cbranch_execz .LBB88_4
; %bb.2:
	s_load_dwordx2 s[0:1], s[4:5], 0x8
	s_mul_i32 s2, s6, s9
	s_mul_hi_u32 s3, s6, s8
	s_add_i32 s3, s3, s2
	s_mul_i32 s2, s6, s8
	s_load_dword s8, s[4:5], 0x8c
	s_ashr_i32 s23, s22, 31
	s_lshl_b64 s[2:3], s[2:3], 1
	s_waitcnt lgkmcnt(0)
	s_add_u32 s39, s0, s2
	s_addc_u32 s0, s1, s3
	s_abs_i32 s40, s22
	v_cvt_f32_u32_e32 v1, s40
	s_sub_i32 s1, 0, s40
	s_lshl_b64 s[36:37], s[22:23], 1
	s_mov_b64 s[34:35], 0
	v_rcp_iflag_f32_e32 v2, v1
	v_mov_b32_e32 v1, s33
	s_and_b32 s41, s8, 0xffff
	s_sub_i32 s42, 0, s22
	v_mul_f32_e32 v2, 0x4f7ffffe, v2
	v_cvt_u32_f32_e32 v2, v2
	v_mov_b32_e32 v4, s37
	v_mov_b32_e32 v5, s0
	s_movk_i32 s37, 0x7fff
	v_mul_lo_u32 v3, s1, v2
	v_mul_hi_u32 v3, v2, v3
	v_add_u32_e32 v3, v2, v3
	v_mov_b32_e32 v6, 0x7fc00000
	v_mov_b32_e32 v7, 0x7fc0
	;; [unrolled: 1-line block ×3, first 2 shown]
.LBB88_3:                               ; =>This Inner Loop Header: Depth=1
	v_sub_u32_e32 v9, 0, v2
	v_max_i32_e32 v9, v2, v9
	v_mul_hi_u32 v10, v9, v3
	v_mul_lo_u32 v11, v10, s40
	v_sub_u32_e32 v9, v9, v11
	v_add_u32_e32 v12, 1, v10
	v_cmp_le_u32_e32 vcc, s40, v9
	v_subrev_u32_e32 v11, s40, v9
	v_cndmask_b32_e32 v10, v10, v12, vcc
	v_cndmask_b32_e32 v9, v9, v11, vcc
	v_ashrrev_i32_e32 v8, 31, v2
	v_add_u32_e32 v11, 1, v10
	v_cmp_le_u32_e32 vcc, s40, v9
	v_xor_b32_e32 v8, s23, v8
	v_cndmask_b32_e32 v9, v10, v11, vcc
	v_xor_b32_e32 v9, v9, v8
	v_sub_u32_e32 v10, v9, v8
	v_mad_u64_u32 v[8:9], s[0:1], s42, v10, v[2:3]
	v_ashrrev_i32_e32 v12, 31, v10
	v_ashrrev_i32_e32 v9, 31, v8
	v_mul_lo_u32 v13, v10, s11
	v_mad_u64_u32 v[10:11], s[0:1], v10, s10, 0
	v_mul_lo_u32 v12, v12, s10
	v_lshlrev_b64 v[8:9], 1, v[8:9]
	v_add3_u32 v11, v11, v13, v12
	v_add_co_u32_e32 v12, vcc, s7, v8
	v_addc_co_u32_e32 v13, vcc, v1, v9, vcc
	v_add_co_u32_e32 v14, vcc, s36, v12
	v_lshlrev_b64 v[10:11], 1, v[10:11]
	v_addc_co_u32_e32 v15, vcc, v13, v4, vcc
	v_add_co_u32_e32 v10, vcc, s39, v10
	v_addc_co_u32_e32 v11, vcc, v5, v11, vcc
	v_add_co_u32_e32 v8, vcc, v10, v8
	v_addc_co_u32_e32 v9, vcc, v11, v9, vcc
	global_load_ushort v16, v[14:15], off
	global_load_ushort v17, v[12:13], off
	v_add_co_u32_e32 v10, vcc, s36, v8
	v_addc_co_u32_e32 v11, vcc, v9, v4, vcc
	global_load_ushort v18, v[8:9], off
	global_load_ushort v19, v[10:11], off
	v_add_u32_e32 v2, s41, v2
	v_cmp_le_i32_e32 vcc, s38, v2
	s_or_b64 s[34:35], vcc, s[34:35]
	s_waitcnt vmcnt(3)
	v_lshlrev_b32_e32 v12, 16, v16
	s_waitcnt vmcnt(2)
	v_lshlrev_b32_e32 v13, 16, v17
	v_mov_b32_e32 v14, v13
	v_mov_b32_e32 v15, v12
	s_waitcnt vmcnt(1)
	v_lshlrev_b32_e32 v16, 16, v18
	s_waitcnt vmcnt(0)
	v_lshlrev_b32_e32 v17, 16, v19
	v_pk_mul_f32 v[14:15], v[14:15], v[16:17]
	v_pk_mul_f32 v[12:13], v[12:13], v[16:17]
	v_bfe_u32 v16, v14, 16, 1
	v_bfe_u32 v17, v15, 16, 1
	;; [unrolled: 1-line block ×4, first 2 shown]
	v_add3_u32 v17, v15, v17, s37
	v_add3_u32 v16, v14, v16, s37
	;; [unrolled: 1-line block ×4, first 2 shown]
	v_and_b32_e32 v16, 0xffff0000, v16
	v_and_b32_e32 v17, 0xffff0000, v17
	v_cmp_o_f32_e32 vcc, v14, v14
	v_cmp_o_f32_e64 s[8:9], v15, v15
	v_and_b32_e32 v14, 0xffff0000, v18
	v_and_b32_e32 v18, 0xffff0000, v19
	v_cmp_o_f32_e64 s[0:1], v13, v13
	v_cmp_o_f32_e64 s[2:3], v12, v12
	v_cndmask_b32_e64 v12, v6, v17, s[8:9]
	v_cndmask_b32_e32 v13, v6, v16, vcc
	v_cndmask_b32_e64 v15, v6, v18, s[0:1]
	v_cndmask_b32_e64 v14, v6, v14, s[2:3]
	v_sub_f32_e32 v12, v13, v12
	v_add_f32_e32 v13, v14, v15
	v_bfe_u32 v14, v12, 16, 1
	v_bfe_u32 v15, v13, 16, 1
	v_add3_u32 v14, v12, v14, s37
	v_add3_u32 v15, v13, v15, s37
	v_lshrrev_b32_e32 v14, 16, v14
	v_cmp_o_f32_e64 s[0:1], v12, v12
	v_lshrrev_b32_e32 v15, 16, v15
	v_cmp_o_f32_e32 vcc, v13, v13
	v_cndmask_b32_e64 v12, v7, v14, s[0:1]
	v_cndmask_b32_e32 v13, v7, v15, vcc
	global_store_short v[8:9], v12, off
	global_store_short v[10:11], v13, off
	s_andn2_b64 exec, exec, s[34:35]
	s_cbranch_execnz .LBB88_3
.LBB88_4:
	s_or_b64 exec, exec, s[24:25]
	s_load_dwordx4 s[8:11], s[4:5], 0x68
	s_waitcnt lgkmcnt(0)
	s_ashr_i32 s35, s11, 31
	s_mov_b32 s34, s11
	s_or_b64 s[0:1], s[26:27], s[34:35]
	s_mov_b32 s0, 0
	s_cmp_lg_u64 s[0:1], 0
	s_cbranch_scc0 .LBB88_62
; %bb.5:
	s_add_u32 s0, s34, s35
	s_mov_b32 s2, s35
	s_mov_b32 s3, s35
	s_addc_u32 s1, s35, s35
	s_xor_b64 s[36:37], s[0:1], s[2:3]
	v_cvt_f32_u32_e32 v1, s36
	v_cvt_f32_u32_e32 v2, s37
	s_sub_u32 s0, 0, s36
	s_subb_u32 s1, 0, s37
	v_madmk_f32 v1, v2, 0x4f800000, v1
	v_rcp_f32_e32 v1, v1
	v_mul_f32_e32 v1, 0x5f7ffffc, v1
	v_mul_f32_e32 v2, 0x2f800000, v1
	v_trunc_f32_e32 v2, v2
	v_madmk_f32 v1, v2, 0xcf800000, v1
	v_cvt_u32_f32_e32 v2, v2
	v_cvt_u32_f32_e32 v1, v1
	v_readfirstlane_b32 s11, v2
	v_readfirstlane_b32 s23, v1
	s_mul_i32 s38, s0, s11
	s_mul_hi_u32 s40, s0, s23
	s_mul_i32 s39, s1, s23
	s_add_i32 s38, s40, s38
	s_add_i32 s38, s38, s39
	s_mul_i32 s41, s0, s23
	s_mul_hi_u32 s39, s23, s38
	s_mul_i32 s40, s23, s38
	s_mul_hi_u32 s23, s23, s41
	s_add_u32 s23, s23, s40
	s_addc_u32 s39, 0, s39
	s_mul_hi_u32 s42, s11, s41
	s_mul_i32 s41, s11, s41
	s_add_u32 s23, s23, s41
	s_mul_hi_u32 s40, s11, s38
	s_addc_u32 s23, s39, s42
	s_addc_u32 s39, s40, 0
	s_mul_i32 s38, s11, s38
	s_add_u32 s23, s23, s38
	s_addc_u32 s38, 0, s39
	v_add_co_u32_e32 v1, vcc, s23, v1
	s_cmp_lg_u64 vcc, 0
	s_addc_u32 s11, s11, s38
	v_readfirstlane_b32 s38, v1
	s_mul_i32 s23, s0, s11
	s_mul_hi_u32 s39, s0, s38
	s_add_i32 s23, s39, s23
	s_mul_i32 s1, s1, s38
	s_add_i32 s23, s23, s1
	s_mul_i32 s0, s0, s38
	s_mul_hi_u32 s39, s11, s0
	s_mul_i32 s40, s11, s0
	s_mul_i32 s42, s38, s23
	s_mul_hi_u32 s0, s38, s0
	s_mul_hi_u32 s41, s38, s23
	s_add_u32 s0, s0, s42
	s_addc_u32 s38, 0, s41
	s_add_u32 s0, s0, s40
	s_mul_hi_u32 s1, s11, s23
	s_addc_u32 s0, s38, s39
	s_addc_u32 s1, s1, 0
	s_mul_i32 s23, s11, s23
	s_add_u32 s0, s0, s23
	s_addc_u32 s1, 0, s1
	v_add_co_u32_e32 v1, vcc, s0, v1
	s_cmp_lg_u64 vcc, 0
	s_addc_u32 s11, s11, s1
	s_ashr_i32 s38, s27, 31
	s_add_u32 s0, s26, s38
	s_mov_b32 s39, s38
	s_addc_u32 s1, s27, s38
	s_xor_b64 s[40:41], s[0:1], s[38:39]
	v_readfirstlane_b32 s23, v1
	s_mul_i32 s1, s40, s11
	s_mul_hi_u32 s42, s40, s23
	s_mul_hi_u32 s0, s40, s11
	s_add_u32 s1, s42, s1
	s_addc_u32 s0, 0, s0
	s_mul_hi_u32 s43, s41, s23
	s_mul_i32 s23, s41, s23
	s_add_u32 s1, s1, s23
	s_mul_hi_u32 s42, s41, s11
	s_addc_u32 s0, s0, s43
	s_addc_u32 s1, s42, 0
	s_mul_i32 s11, s41, s11
	s_add_u32 s11, s0, s11
	s_addc_u32 s23, 0, s1
	s_mul_i32 s0, s36, s23
	s_mul_hi_u32 s1, s36, s11
	s_add_i32 s0, s1, s0
	s_mul_i32 s1, s37, s11
	s_add_i32 s42, s0, s1
	s_mul_i32 s1, s36, s11
	v_mov_b32_e32 v1, s1
	s_sub_i32 s0, s41, s42
	v_sub_co_u32_e32 v1, vcc, s40, v1
	s_cmp_lg_u64 vcc, 0
	s_subb_u32 s40, s0, s37
	v_subrev_co_u32_e64 v2, s[0:1], s36, v1
	s_cmp_lg_u64 s[0:1], 0
	s_subb_u32 s0, s40, 0
	s_cmp_ge_u32 s0, s37
	v_readfirstlane_b32 s40, v2
	s_cselect_b32 s1, -1, 0
	s_cmp_ge_u32 s40, s36
	s_cselect_b32 s40, -1, 0
	s_cmp_eq_u32 s0, s37
	s_cselect_b32 s0, s40, s1
	s_add_u32 s1, s11, 1
	s_addc_u32 s40, s23, 0
	s_add_u32 s43, s11, 2
	s_addc_u32 s44, s23, 0
	s_cmp_lg_u32 s0, 0
	s_cselect_b32 s0, s43, s1
	s_cselect_b32 s1, s44, s40
	s_cmp_lg_u64 vcc, 0
	s_subb_u32 s40, s41, s42
	s_cmp_ge_u32 s40, s37
	v_readfirstlane_b32 s42, v1
	s_cselect_b32 s41, -1, 0
	s_cmp_ge_u32 s42, s36
	s_cselect_b32 s36, -1, 0
	s_cmp_eq_u32 s40, s37
	s_cselect_b32 s36, s36, s41
	s_cmp_lg_u32 s36, 0
	s_cselect_b32 s1, s1, s23
	s_cselect_b32 s0, s0, s11
	s_xor_b64 s[2:3], s[38:39], s[2:3]
	s_xor_b64 s[0:1], s[0:1], s[2:3]
	s_sub_u32 s2, s0, s2
	s_subb_u32 s3, s1, s3
	s_cbranch_execnz .LBB88_7
.LBB88_6:
	v_cvt_f32_u32_e32 v1, s34
	s_sub_i32 s0, 0, s34
	s_mov_b32 s3, 0
	v_rcp_iflag_f32_e32 v1, v1
	v_mul_f32_e32 v1, 0x4f7ffffe, v1
	v_cvt_u32_f32_e32 v1, v1
	v_readfirstlane_b32 s1, v1
	s_mul_i32 s0, s0, s1
	s_mul_hi_u32 s0, s1, s0
	s_add_i32 s1, s1, s0
	s_mul_hi_u32 s0, s26, s1
	s_mul_i32 s2, s0, s34
	s_sub_i32 s2, s26, s2
	s_add_i32 s1, s0, 1
	s_sub_i32 s11, s2, s34
	s_cmp_ge_u32 s2, s34
	s_cselect_b32 s0, s1, s0
	s_cselect_b32 s2, s11, s2
	s_add_i32 s1, s0, 1
	s_cmp_ge_u32 s2, s34
	s_cselect_b32 s2, s1, s0
.LBB88_7:
	s_mul_i32 s0, s2, s35
	s_mul_hi_u32 s1, s2, s34
	s_load_dwordx2 s[24:25], s[4:5], 0x78
	s_add_i32 s0, s1, s0
	s_mul_i32 s1, s3, s34
	s_add_i32 s0, s0, s1
	s_mul_i32 s1, s2, s34
	s_sub_u32 s11, s26, s1
	s_subb_u32 s0, s27, s0
	v_cmp_gt_i32_e32 vcc, s22, v0
	s_mul_hi_u32 s42, s2, s8
	s_mul_i32 s43, s3, s8
	s_mul_i32 s44, s2, s8
	s_mul_hi_u32 s41, s11, s9
	s_mul_i32 s3, s0, s9
	s_mul_i32 s40, s11, s9
	s_and_saveexec_b64 s[26:27], vcc
	s_cbranch_execz .LBB88_42
; %bb.8:
	s_mul_i32 s0, s6, s13
	s_mul_hi_u32 s1, s6, s12
	s_add_i32 s1, s1, s0
	s_mul_i32 s0, s6, s12
	s_ashr_i32 s23, s22, 31
	s_lshl_b64 s[0:1], s[0:1], 1
	s_add_u32 s45, s16, s0
	s_addc_u32 s46, s17, s1
	s_ashr_i32 s12, s8, 31
	s_load_dword s13, s[4:5], 0x8c
	s_mul_i32 s12, s2, s12
	s_add_i32 s12, s42, s12
	s_add_i32 s34, s12, s43
	s_ashr_i32 s12, s9, 31
	s_mul_i32 s12, s11, s12
	s_add_i32 s12, s41, s12
	s_waitcnt lgkmcnt(0)
	s_and_b32 s48, s13, 0xffff
	s_add_i32 s35, s12, s3
	s_ashr_i32 s36, s10, 31
	s_lshl_b32 s50, s48, 1
	s_lshl_b64 s[12:13], s[22:23], 1
	s_add_u32 s30, s30, s12
	s_addc_u32 s31, s31, s13
	s_add_u32 s51, s28, s30
	s_addc_u32 s52, s29, s31
	;; [unrolled: 2-line block ×5, first 2 shown]
	s_add_u32 s0, s0, s10
	s_load_dword s47, s[24:25], 0x0
	s_addc_u32 s1, s1, s36
	s_add_u32 s0, s20, s0
	s_addc_u32 s1, s21, s1
	v_mov_b32_e32 v1, s1
	v_add_co_u32_e32 v6, vcc, s0, v0
	s_mov_b32 s49, 0
	v_mov_b32_e32 v3, 0
	v_lshlrev_b32_e32 v4, 1, v0
	v_addc_co_u32_e32 v7, vcc, 0, v1, vcc
	s_mov_b64 s[12:13], 0
	s_movk_i32 s55, 0x7fff
	v_mov_b32_e32 v1, 0x7fc00000
	v_mov_b32_e32 v5, 0x7fc0
	s_movk_i32 s56, 0x80
	s_mov_b64 s[16:17], 0x7f800000
	s_mov_b64 s[28:29], 0x43e00001
	s_movk_i32 s57, 0x7a
	s_mov_b64 s[30:31], 0xffffff
	s_movk_i32 s58, 0x7f
	v_mov_b32_e32 v12, 0xffffff82
	v_mov_b32_e32 v13, 0x78
	;; [unrolled: 1-line block ×3, first 2 shown]
	s_branch .LBB88_10
.LBB88_9:                               ;   in Loop: Header=BB88_10 Depth=1
	s_or_b64 exec, exec, s[0:1]
	s_add_u32 s7, s7, s50
	s_addc_u32 s33, s33, 0
	s_add_u32 s51, s51, s50
	s_addc_u32 s52, s52, 0
	s_add_u32 s53, s53, s50
	v_mov_b32_e32 v2, s23
	v_add_co_u32_e32 v10, vcc, s22, v6
	s_addc_u32 s54, s54, 0
	v_addc_co_u32_e32 v11, vcc, v7, v2, vcc
	v_add_u32_e32 v14, s48, v14
	s_add_u32 s45, s45, s50
	s_addc_u32 s46, s46, 0
	v_cmp_le_i32_e32 vcc, s22, v14
	v_mov_b32_e32 v2, s49
	s_or_b64 s[12:13], vcc, s[12:13]
	v_add_co_u32_e32 v6, vcc, s48, v6
	v_addc_co_u32_e32 v7, vcc, v7, v2, vcc
	global_store_byte v[10:11], v9, off
	s_andn2_b64 exec, exec, s[12:13]
	s_cbranch_execz .LBB88_42
.LBB88_10:                              ; =>This Inner Loop Header: Depth=1
	v_mov_b32_e32 v2, s33
	v_add_co_u32_e32 v16, vcc, s7, v4
	v_addc_co_u32_e32 v17, vcc, 0, v2, vcc
	v_mov_b32_e32 v2, s52
	v_add_co_u32_e32 v18, vcc, s51, v4
	v_addc_co_u32_e32 v19, vcc, 0, v2, vcc
	;; [unrolled: 3-line block ×4, first 2 shown]
	global_load_ushort v2, v[10:11], off
	global_load_ushort v15, v[8:9], off
	global_load_ushort v20, v[16:17], off
	s_nop 0
	global_load_ushort v18, v[18:19], off
	v_mov_b32_e32 v19, v3
	s_waitcnt vmcnt(3)
	v_lshlrev_b32_e32 v17, 16, v2
	s_waitcnt vmcnt(2)
	v_lshlrev_b32_e32 v16, 16, v15
	;; [unrolled: 2-line block ×4, first 2 shown]
	v_mov_b32_e32 v22, v21
	v_mov_b32_e32 v23, v20
	v_pk_mul_f32 v[20:21], v[20:21], v[16:17]
	v_pk_mul_f32 v[16:17], v[22:23], v[16:17]
	v_bfe_u32 v15, v21, 16, 1
	v_bfe_u32 v22, v17, 16, 1
	v_add3_u32 v15, v21, v15, s55
	v_bfe_u32 v18, v16, 16, 1
	v_add3_u32 v22, v17, v22, s55
	v_and_b32_e32 v15, 0xffff0000, v15
	v_cmp_o_f32_e32 vcc, v21, v21
	v_add3_u32 v18, v16, v18, s55
	v_and_b32_e32 v22, 0xffff0000, v22
	v_cndmask_b32_e32 v15, v1, v15, vcc
	v_cmp_o_f32_e32 vcc, v17, v17
	v_and_b32_e32 v18, 0xffff0000, v18
	v_cndmask_b32_e32 v17, v1, v22, vcc
	v_cmp_o_f32_e32 vcc, v16, v16
	v_cndmask_b32_e32 v16, v1, v18, vcc
	v_sub_f32_e32 v16, v16, v17
	v_bfe_u32 v17, v16, 16, 1
	v_add3_u32 v17, v16, v17, s55
	v_lshrrev_b32_e32 v17, 16, v17
	v_cmp_o_f32_e32 vcc, v16, v16
	v_cndmask_b32_e32 v17, v5, v17, vcc
	v_cvt_f32_f16_e32 v16, v17
	v_bfe_u32 v2, v20, 16, 1
	v_add3_u32 v2, v20, v2, s55
	v_cmp_o_f32_e32 vcc, v20, v20
	s_waitcnt lgkmcnt(0)
	v_div_scale_f32 v18, s[0:1], s47, s47, v16
	v_rcp_f32_e32 v20, v18
	v_and_b32_e32 v2, 0xffff0000, v2
	v_cndmask_b32_e32 v2, v1, v2, vcc
	v_add_f32_e32 v2, v2, v15
	v_fma_f32 v21, -v18, v20, 1.0
	v_div_scale_f32 v15, vcc, v16, s47, v16
	v_fmac_f32_e32 v20, v21, v20
	v_mul_f32_e32 v21, v15, v20
	v_fma_f32 v22, -v18, v21, v15
	v_fmac_f32_e32 v21, v22, v20
	v_fma_f32 v15, -v18, v21, v15
	v_div_fmas_f32 v15, v15, v20, v21
	v_div_fixup_f32 v15, v15, s47, v16
	v_cvt_f16_f32_e32 v15, v15
	v_bfe_u32 v16, v2, 16, 1
	v_add3_u32 v16, v2, v16, s55
	v_lshrrev_b32_e32 v18, 16, v16
	v_cvt_f32_f16_e32 v16, v15
	v_cmp_o_f32_e32 vcc, v2, v2
	v_cndmask_b32_e32 v15, v5, v18, vcc
	global_store_short v[8:9], v17, off
	global_store_short v[10:11], v15, off
	v_and_b32_sdwa v10, v16, s56 dst_sel:DWORD dst_unused:UNUSED_PAD src0_sel:BYTE_3 src1_sel:DWORD
	v_and_b32_e32 v18, 0x7f800000, v16
	v_and_b32_e32 v2, 0x7fffff, v16
	v_or_b32_e32 v9, 0x7e, v10
	v_cmp_ne_u64_e32 vcc, s[16:17], v[18:19]
	s_and_saveexec_b64 s[0:1], vcc
	s_xor_b64 s[34:35], exec, s[0:1]
	s_cbranch_execz .LBB88_24
; %bb.11:                               ;   in Loop: Header=BB88_10 Depth=1
	v_and_b32_e32 v18, 0x7fffffff, v16
	v_mov_b32_e32 v19, v3
	v_cmp_gt_u64_e32 vcc, s[28:29], v[18:19]
	s_and_saveexec_b64 s[0:1], vcc
	s_xor_b64 s[36:37], exec, s[0:1]
	s_cbranch_execz .LBB88_23
; %bb.12:                               ;   in Loop: Header=BB88_10 Depth=1
	v_cmp_ne_u32_e32 vcc, 0, v16
	v_mov_b32_e32 v9, 0
	s_and_saveexec_b64 s[38:39], vcc
	s_cbranch_execz .LBB88_22
; %bb.13:                               ;   in Loop: Header=BB88_10 Depth=1
	v_bfe_u32 v8, v16, 23, 8
	v_sub_u32_e32 v11, 0x79, v8
	v_cmp_gt_u32_e32 vcc, s57, v8
	v_cndmask_b32_e32 v11, 0, v11, vcc
	v_cmp_eq_u32_e32 vcc, 0, v8
	v_cndmask_b32_e32 v11, v11, v13, vcc
	v_add_u32_e32 v9, 0xffffff81, v8
	v_or_b32_e32 v16, 0x800000, v2
	v_add_u32_e32 v8, 20, v11
	v_cndmask_b32_e32 v17, v9, v12, vcc
	v_cndmask_b32_e32 v2, v16, v2, vcc
	v_lshlrev_b64 v[8:9], v8, -1
	v_not_b32_e32 v8, v8
	v_lshrrev_b64 v[20:21], v11, v[2:3]
	v_not_b32_e32 v9, v9
	v_and_b32_e32 v8, v2, v8
	v_add_u32_e32 v16, 19, v11
	v_lshrrev_b32_e32 v2, 23, v20
	v_and_b32_e32 v9, 0, v9
	v_lshlrev_b64 v[18:19], v16, 1
	v_add3_u32 v16, v11, v17, v2
	v_bfe_u32 v2, v20, 20, 1
	v_add_u32_e32 v2, -1, v2
	v_cmp_eq_u64_e32 vcc, v[8:9], v[18:19]
	v_cndmask_b32_e32 v2, 0, v2, vcc
	v_add_u32_e32 v2, v2, v20
	v_and_b32_e32 v2, 0xfffff, v2
	v_add_co_u32_e32 v8, vcc, v2, v20
	v_add_u32_e32 v11, 6, v16
	v_addc_co_u32_e32 v9, vcc, 0, v21, vcc
	v_cmp_ne_u32_e32 vcc, 0, v11
                                        ; implicit-def: $vgpr2
	s_and_saveexec_b64 s[0:1], vcc
	s_xor_b64 s[0:1], exec, s[0:1]
; %bb.14:                               ;   in Loop: Header=BB88_10 Depth=1
	v_add_u32_e32 v2, 7, v16
	v_cmp_lt_u64_e32 vcc, s[30:31], v[8:9]
	v_cndmask_b32_e32 v2, v11, v2, vcc
	v_cndmask_b32_e64 v11, 0, 1, vcc
	v_lshrrev_b64 v[8:9], v11, v[8:9]
; %bb.15:                               ;   in Loop: Header=BB88_10 Depth=1
	s_andn2_saveexec_b64 s[0:1], s[0:1]
; %bb.16:                               ;   in Loop: Header=BB88_10 Depth=1
	v_bfe_u32 v2, v8, 23, 1
; %bb.17:                               ;   in Loop: Header=BB88_10 Depth=1
	s_or_b64 exec, exec, s[0:1]
	v_lshrrev_b64 v[8:9], 20, v[8:9]
	v_cmp_gt_i32_e32 vcc, 16, v2
	v_cndmask_b32_e32 v9, 0, v9, vcc
	v_cndmask_b32_e32 v8, 7, v8, vcc
	v_cmp_ne_u32_e32 vcc, 0, v2
	v_cmp_ne_u64_e64 s[0:1], 0, v[8:9]
	s_or_b64 s[0:1], vcc, s[0:1]
                                        ; implicit-def: $vgpr9
	s_and_saveexec_b64 s[60:61], s[0:1]
	s_xor_b64 s[0:1], exec, s[60:61]
; %bb.18:                               ;   in Loop: Header=BB88_10 Depth=1
	v_min_i32_e32 v2, 15, v2
	v_lshl_or_b32 v2, v2, 3, v10
	v_and_or_b32 v9, v8, 7, v2
                                        ; implicit-def: $vgpr10
; %bb.19:                               ;   in Loop: Header=BB88_10 Depth=1
	s_andn2_saveexec_b64 s[0:1], s[0:1]
; %bb.20:                               ;   in Loop: Header=BB88_10 Depth=1
	v_mov_b32_e32 v9, v10
; %bb.21:                               ;   in Loop: Header=BB88_10 Depth=1
	s_or_b64 exec, exec, s[0:1]
.LBB88_22:                              ;   in Loop: Header=BB88_10 Depth=1
	s_or_b64 exec, exec, s[38:39]
.LBB88_23:                              ;   in Loop: Header=BB88_10 Depth=1
	s_andn2_saveexec_b64 s[0:1], s[36:37]
	s_or_b64 exec, exec, s[0:1]
                                        ; implicit-def: $vgpr16
.LBB88_24:                              ;   in Loop: Header=BB88_10 Depth=1
	s_andn2_saveexec_b64 s[0:1], s[34:35]
; %bb.25:                               ;   in Loop: Header=BB88_10 Depth=1
	v_or_b32_sdwa v8, v16, s58 dst_sel:DWORD dst_unused:UNUSED_PAD src0_sel:BYTE_3 src1_sel:DWORD
	v_cmp_eq_u64_e32 vcc, 0, v[2:3]
	v_cndmask_b32_e32 v9, v8, v9, vcc
; %bb.26:                               ;   in Loop: Header=BB88_10 Depth=1
	s_or_b64 exec, exec, s[0:1]
	v_cvt_f32_f16_e32 v2, v15
	v_mov_b32_e32 v17, v3
	global_store_byte v[6:7], v9, off
	v_div_scale_f32 v8, s[0:1], s47, s47, v2
	v_rcp_f32_e32 v10, v8
	v_div_scale_f32 v11, vcc, v2, s47, v2
	v_fma_f32 v15, -v8, v10, 1.0
	v_fmac_f32_e32 v10, v15, v10
	v_mul_f32_e32 v15, v11, v10
	v_fma_f32 v16, -v8, v15, v11
	v_fmac_f32_e32 v15, v16, v10
	v_fma_f32 v8, -v8, v15, v11
	v_div_fmas_f32 v8, v8, v10, v15
	v_div_fixup_f32 v2, v8, s47, v2
	v_cvt_f16_f32_e32 v2, v2
	v_cvt_f32_f16_e32 v8, v2
	v_and_b32_sdwa v10, v8, s56 dst_sel:DWORD dst_unused:UNUSED_PAD src0_sel:BYTE_3 src1_sel:DWORD
	v_and_b32_e32 v16, 0x7f800000, v8
	v_and_b32_e32 v2, 0x7fffff, v8
	v_or_b32_e32 v9, 0x7e, v10
	v_cmp_ne_u64_e32 vcc, s[16:17], v[16:17]
	s_and_saveexec_b64 s[0:1], vcc
	s_xor_b64 s[34:35], exec, s[0:1]
	s_cbranch_execz .LBB88_40
; %bb.27:                               ;   in Loop: Header=BB88_10 Depth=1
	v_and_b32_e32 v16, 0x7fffffff, v8
	v_mov_b32_e32 v17, v3
	v_cmp_gt_u64_e32 vcc, s[28:29], v[16:17]
	s_and_saveexec_b64 s[0:1], vcc
	s_xor_b64 s[36:37], exec, s[0:1]
	s_cbranch_execz .LBB88_39
; %bb.28:                               ;   in Loop: Header=BB88_10 Depth=1
	v_cmp_ne_u32_e32 vcc, 0, v8
	v_mov_b32_e32 v9, 0
	s_and_saveexec_b64 s[38:39], vcc
	s_cbranch_execz .LBB88_38
; %bb.29:                               ;   in Loop: Header=BB88_10 Depth=1
	v_bfe_u32 v8, v8, 23, 8
	v_sub_u32_e32 v11, 0x79, v8
	v_cmp_gt_u32_e32 vcc, s57, v8
	v_cndmask_b32_e32 v11, 0, v11, vcc
	v_cmp_eq_u32_e32 vcc, 0, v8
	v_cndmask_b32_e32 v11, v11, v13, vcc
	v_add_u32_e32 v9, 0xffffff81, v8
	v_or_b32_e32 v15, 0x800000, v2
	v_add_u32_e32 v8, 20, v11
	v_cndmask_b32_e32 v20, v9, v12, vcc
	v_cndmask_b32_e32 v2, v15, v2, vcc
	v_lshlrev_b64 v[8:9], v8, -1
	v_not_b32_e32 v8, v8
	v_lshrrev_b64 v[18:19], v11, v[2:3]
	v_not_b32_e32 v9, v9
	v_and_b32_e32 v8, v2, v8
	v_add_u32_e32 v15, 19, v11
	v_lshrrev_b32_e32 v2, 23, v18
	v_and_b32_e32 v9, 0, v9
	v_lshlrev_b64 v[16:17], v15, 1
	v_add3_u32 v15, v11, v20, v2
	v_bfe_u32 v2, v18, 20, 1
	v_add_u32_e32 v2, -1, v2
	v_cmp_eq_u64_e32 vcc, v[8:9], v[16:17]
	v_cndmask_b32_e32 v2, 0, v2, vcc
	v_add_u32_e32 v2, v2, v18
	v_and_b32_e32 v2, 0xfffff, v2
	v_add_co_u32_e32 v8, vcc, v2, v18
	v_add_u32_e32 v11, 6, v15
	v_addc_co_u32_e32 v9, vcc, 0, v19, vcc
	v_cmp_ne_u32_e32 vcc, 0, v11
                                        ; implicit-def: $vgpr2
	s_and_saveexec_b64 s[0:1], vcc
	s_xor_b64 s[0:1], exec, s[0:1]
; %bb.30:                               ;   in Loop: Header=BB88_10 Depth=1
	v_add_u32_e32 v2, 7, v15
	v_cmp_lt_u64_e32 vcc, s[30:31], v[8:9]
	v_cndmask_b32_e32 v2, v11, v2, vcc
	v_cndmask_b32_e64 v11, 0, 1, vcc
	v_lshrrev_b64 v[8:9], v11, v[8:9]
; %bb.31:                               ;   in Loop: Header=BB88_10 Depth=1
	s_andn2_saveexec_b64 s[0:1], s[0:1]
; %bb.32:                               ;   in Loop: Header=BB88_10 Depth=1
	v_bfe_u32 v2, v8, 23, 1
; %bb.33:                               ;   in Loop: Header=BB88_10 Depth=1
	s_or_b64 exec, exec, s[0:1]
	v_lshrrev_b64 v[8:9], 20, v[8:9]
	v_cmp_gt_i32_e32 vcc, 16, v2
	v_cndmask_b32_e32 v9, 0, v9, vcc
	v_cndmask_b32_e32 v8, 7, v8, vcc
	v_cmp_ne_u32_e32 vcc, 0, v2
	v_cmp_ne_u64_e64 s[0:1], 0, v[8:9]
	s_or_b64 s[0:1], vcc, s[0:1]
                                        ; implicit-def: $vgpr9
	s_and_saveexec_b64 s[60:61], s[0:1]
	s_xor_b64 s[0:1], exec, s[60:61]
; %bb.34:                               ;   in Loop: Header=BB88_10 Depth=1
	v_min_i32_e32 v2, 15, v2
	v_lshl_or_b32 v2, v2, 3, v10
	v_and_or_b32 v9, v8, 7, v2
                                        ; implicit-def: $vgpr10
; %bb.35:                               ;   in Loop: Header=BB88_10 Depth=1
	s_andn2_saveexec_b64 s[0:1], s[0:1]
; %bb.36:                               ;   in Loop: Header=BB88_10 Depth=1
	v_mov_b32_e32 v9, v10
; %bb.37:                               ;   in Loop: Header=BB88_10 Depth=1
	s_or_b64 exec, exec, s[0:1]
.LBB88_38:                              ;   in Loop: Header=BB88_10 Depth=1
	s_or_b64 exec, exec, s[38:39]
.LBB88_39:                              ;   in Loop: Header=BB88_10 Depth=1
	s_andn2_saveexec_b64 s[0:1], s[36:37]
	s_or_b64 exec, exec, s[0:1]
                                        ; implicit-def: $vgpr8
.LBB88_40:                              ;   in Loop: Header=BB88_10 Depth=1
	s_andn2_saveexec_b64 s[0:1], s[34:35]
	s_cbranch_execz .LBB88_9
; %bb.41:                               ;   in Loop: Header=BB88_10 Depth=1
	v_or_b32_sdwa v8, v8, s58 dst_sel:DWORD dst_unused:UNUSED_PAD src0_sel:BYTE_3 src1_sel:DWORD
	v_cmp_eq_u64_e32 vcc, 0, v[2:3]
	v_cndmask_b32_e32 v9, v8, v9, vcc
	s_branch .LBB88_9
.LBB88_42:
	s_or_b64 exec, exec, s[26:27]
	v_cmp_gt_i32_e32 vcc, s10, v0
	s_and_saveexec_b64 s[0:1], vcc
	s_cbranch_execz .LBB88_61
; %bb.43:
	s_mul_i32 s0, s6, s15
	s_mul_hi_u32 s1, s6, s14
	s_add_i32 s1, s1, s0
	s_mul_i32 s0, s6, s14
	s_lshl_b64 s[0:1], s[0:1], 1
	s_add_u32 s18, s18, s0
	s_addc_u32 s0, s19, s1
	s_ashr_i32 s1, s8, 31
	s_mul_i32 s1, s2, s1
	s_add_i32 s1, s42, s1
	s_add_i32 s1, s1, s43
	s_add_u32 s2, s20, s44
	s_addc_u32 s1, s21, s1
	s_ashr_i32 s6, s9, 31
	s_load_dword s4, s[4:5], 0x8c
	s_mul_i32 s11, s11, s6
	s_waitcnt lgkmcnt(0)
	s_load_dword s20, s[24:25], 0x0
	s_add_i32 s6, s41, s11
	s_add_i32 s6, s6, s3
	s_add_u32 s11, s2, s40
	s_addc_u32 s19, s1, s6
	s_and_b32 s21, s4, 0xffff
	s_mov_b64 s[2:3], 0
	v_mov_b32_e32 v6, s0
	v_mov_b32_e32 v3, 0
	s_movk_i32 s22, 0x80
	s_mov_b64 s[4:5], 0x7f800000
	s_mov_b64 s[6:7], 0x43e00001
	s_movk_i32 s23, 0x7a
	s_mov_b64 s[8:9], 0xffffff
	s_movk_i32 s24, 0x7f
	v_mov_b32_e32 v7, 0xffffff82
	v_mov_b32_e32 v8, 0x78
	s_branch .LBB88_45
.LBB88_44:                              ;   in Loop: Header=BB88_45 Depth=1
	s_or_b64 exec, exec, s[0:1]
	v_mov_b32_e32 v2, s19
	v_add_co_u32_e32 v10, vcc, s11, v0
	v_addc_co_u32_e32 v11, vcc, v2, v1, vcc
	v_add_u32_e32 v0, s21, v0
	v_cmp_le_i32_e32 vcc, s10, v0
	s_or_b64 s[2:3], vcc, s[2:3]
	global_store_byte v[10:11], v5, off
	s_andn2_b64 exec, exec, s[2:3]
	s_cbranch_execz .LBB88_61
.LBB88_45:                              ; =>This Inner Loop Header: Depth=1
	v_ashrrev_i32_e32 v1, 31, v0
	v_lshlrev_b64 v[4:5], 1, v[0:1]
	v_add_co_u32_e32 v4, vcc, s18, v4
	v_addc_co_u32_e32 v5, vcc, v6, v5, vcc
	global_load_ushort v2, v[4:5], off
	s_waitcnt vmcnt(0)
	v_cvt_f32_f16_e32 v2, v2
	s_waitcnt lgkmcnt(0)
	v_div_scale_f32 v4, s[0:1], s20, s20, v2
	v_rcp_f32_e32 v5, v4
	v_div_scale_f32 v9, vcc, v2, s20, v2
	v_fma_f32 v10, -v4, v5, 1.0
	v_fmac_f32_e32 v5, v10, v5
	v_mul_f32_e32 v10, v9, v5
	v_fma_f32 v11, -v4, v10, v9
	v_fmac_f32_e32 v10, v11, v5
	v_fma_f32 v4, -v4, v10, v9
	v_div_fmas_f32 v4, v4, v5, v10
	v_div_fixup_f32 v2, v4, s20, v2
	v_cvt_f16_f32_e32 v2, v2
	v_mov_b32_e32 v11, v3
	v_cvt_f32_f16_e32 v4, v2
	v_and_b32_sdwa v9, v4, s22 dst_sel:DWORD dst_unused:UNUSED_PAD src0_sel:BYTE_3 src1_sel:DWORD
	v_and_b32_e32 v10, 0x7f800000, v4
	v_and_b32_e32 v2, 0x7fffff, v4
	v_or_b32_e32 v5, 0x7e, v9
	v_cmp_ne_u64_e32 vcc, s[4:5], v[10:11]
	s_and_saveexec_b64 s[0:1], vcc
	s_xor_b64 s[12:13], exec, s[0:1]
	s_cbranch_execz .LBB88_59
; %bb.46:                               ;   in Loop: Header=BB88_45 Depth=1
	v_and_b32_e32 v10, 0x7fffffff, v4
	v_mov_b32_e32 v11, v3
	v_cmp_gt_u64_e32 vcc, s[6:7], v[10:11]
	s_and_saveexec_b64 s[0:1], vcc
	s_xor_b64 s[14:15], exec, s[0:1]
	s_cbranch_execz .LBB88_58
; %bb.47:                               ;   in Loop: Header=BB88_45 Depth=1
	v_cmp_ne_u32_e32 vcc, 0, v4
	v_mov_b32_e32 v5, 0
	s_and_saveexec_b64 s[16:17], vcc
	s_cbranch_execz .LBB88_57
; %bb.48:                               ;   in Loop: Header=BB88_45 Depth=1
	v_bfe_u32 v4, v4, 23, 8
	v_sub_u32_e32 v10, 0x79, v4
	v_cmp_gt_u32_e32 vcc, s23, v4
	v_cndmask_b32_e32 v10, 0, v10, vcc
	v_cmp_eq_u32_e32 vcc, 0, v4
	v_cndmask_b32_e32 v10, v10, v8, vcc
	v_add_u32_e32 v5, 0xffffff81, v4
	v_or_b32_e32 v11, 0x800000, v2
	v_add_u32_e32 v4, 20, v10
	v_cndmask_b32_e32 v16, v5, v7, vcc
	v_cndmask_b32_e32 v2, v11, v2, vcc
	v_lshlrev_b64 v[4:5], v4, -1
	v_not_b32_e32 v4, v4
	v_lshrrev_b64 v[14:15], v10, v[2:3]
	v_not_b32_e32 v5, v5
	v_and_b32_e32 v4, v2, v4
	v_add_u32_e32 v11, 19, v10
	v_lshrrev_b32_e32 v2, 23, v14
	v_and_b32_e32 v5, 0, v5
	v_lshlrev_b64 v[12:13], v11, 1
	v_add3_u32 v11, v10, v16, v2
	v_bfe_u32 v2, v14, 20, 1
	v_add_u32_e32 v2, -1, v2
	v_cmp_eq_u64_e32 vcc, v[4:5], v[12:13]
	v_cndmask_b32_e32 v2, 0, v2, vcc
	v_add_u32_e32 v2, v2, v14
	v_and_b32_e32 v2, 0xfffff, v2
	v_add_co_u32_e32 v4, vcc, v2, v14
	v_add_u32_e32 v10, 6, v11
	v_addc_co_u32_e32 v5, vcc, 0, v15, vcc
	v_cmp_ne_u32_e32 vcc, 0, v10
                                        ; implicit-def: $vgpr2
	s_and_saveexec_b64 s[0:1], vcc
	s_xor_b64 s[0:1], exec, s[0:1]
; %bb.49:                               ;   in Loop: Header=BB88_45 Depth=1
	v_add_u32_e32 v2, 7, v11
	v_cmp_lt_u64_e32 vcc, s[8:9], v[4:5]
	v_cndmask_b32_e32 v2, v10, v2, vcc
	v_cndmask_b32_e64 v10, 0, 1, vcc
	v_lshrrev_b64 v[4:5], v10, v[4:5]
; %bb.50:                               ;   in Loop: Header=BB88_45 Depth=1
	s_andn2_saveexec_b64 s[0:1], s[0:1]
; %bb.51:                               ;   in Loop: Header=BB88_45 Depth=1
	v_bfe_u32 v2, v4, 23, 1
; %bb.52:                               ;   in Loop: Header=BB88_45 Depth=1
	s_or_b64 exec, exec, s[0:1]
	v_lshrrev_b64 v[4:5], 20, v[4:5]
	v_cmp_gt_i32_e32 vcc, 16, v2
	v_cndmask_b32_e32 v5, 0, v5, vcc
	v_cndmask_b32_e32 v4, 7, v4, vcc
	v_cmp_ne_u32_e32 vcc, 0, v2
	v_cmp_ne_u64_e64 s[0:1], 0, v[4:5]
	s_or_b64 s[0:1], vcc, s[0:1]
                                        ; implicit-def: $vgpr5
	s_and_saveexec_b64 s[26:27], s[0:1]
	s_xor_b64 s[0:1], exec, s[26:27]
; %bb.53:                               ;   in Loop: Header=BB88_45 Depth=1
	v_min_i32_e32 v2, 15, v2
	v_lshl_or_b32 v2, v2, 3, v9
	v_and_or_b32 v5, v4, 7, v2
                                        ; implicit-def: $vgpr9
; %bb.54:                               ;   in Loop: Header=BB88_45 Depth=1
	s_andn2_saveexec_b64 s[0:1], s[0:1]
; %bb.55:                               ;   in Loop: Header=BB88_45 Depth=1
	v_mov_b32_e32 v5, v9
; %bb.56:                               ;   in Loop: Header=BB88_45 Depth=1
	s_or_b64 exec, exec, s[0:1]
.LBB88_57:                              ;   in Loop: Header=BB88_45 Depth=1
	s_or_b64 exec, exec, s[16:17]
.LBB88_58:                              ;   in Loop: Header=BB88_45 Depth=1
	s_andn2_saveexec_b64 s[0:1], s[14:15]
	s_or_b64 exec, exec, s[0:1]
                                        ; implicit-def: $vgpr4
.LBB88_59:                              ;   in Loop: Header=BB88_45 Depth=1
	s_andn2_saveexec_b64 s[0:1], s[12:13]
	s_cbranch_execz .LBB88_44
; %bb.60:                               ;   in Loop: Header=BB88_45 Depth=1
	v_or_b32_sdwa v4, v4, s24 dst_sel:DWORD dst_unused:UNUSED_PAD src0_sel:BYTE_3 src1_sel:DWORD
	v_cmp_eq_u64_e32 vcc, 0, v[2:3]
	v_cndmask_b32_e32 v5, v4, v5, vcc
	s_branch .LBB88_44
.LBB88_61:
	s_endpgm
.LBB88_62:
                                        ; implicit-def: $sgpr2_sgpr3
	s_branch .LBB88_6
	.section	.rodata,"a",@progbits
	.p2align	6, 0x0
	.amdhsa_kernel _ZN4vllm38concat_and_cache_mla_rope_fused_kernelIN3c108BFloat16ES2_Lb1EthLNS_18Fp8KVCacheDataTypeE1EEEvPKlPT_S7_PKS6_PKT0_illlliPT3_S5_iiiiPKf
		.amdhsa_group_segment_fixed_size 0
		.amdhsa_private_segment_fixed_size 0
		.amdhsa_kernarg_size 384
		.amdhsa_user_sgpr_count 6
		.amdhsa_user_sgpr_private_segment_buffer 1
		.amdhsa_user_sgpr_dispatch_ptr 0
		.amdhsa_user_sgpr_queue_ptr 0
		.amdhsa_user_sgpr_kernarg_segment_ptr 1
		.amdhsa_user_sgpr_dispatch_id 0
		.amdhsa_user_sgpr_flat_scratch_init 0
		.amdhsa_user_sgpr_kernarg_preload_length 0
		.amdhsa_user_sgpr_kernarg_preload_offset 0
		.amdhsa_user_sgpr_private_segment_size 0
		.amdhsa_uses_dynamic_stack 0
		.amdhsa_system_sgpr_private_segment_wavefront_offset 0
		.amdhsa_system_sgpr_workgroup_id_x 1
		.amdhsa_system_sgpr_workgroup_id_y 0
		.amdhsa_system_sgpr_workgroup_id_z 0
		.amdhsa_system_sgpr_workgroup_info 0
		.amdhsa_system_vgpr_workitem_id 0
		.amdhsa_next_free_vgpr 24
		.amdhsa_next_free_sgpr 62
		.amdhsa_accum_offset 24
		.amdhsa_reserve_vcc 1
		.amdhsa_reserve_flat_scratch 0
		.amdhsa_float_round_mode_32 0
		.amdhsa_float_round_mode_16_64 0
		.amdhsa_float_denorm_mode_32 3
		.amdhsa_float_denorm_mode_16_64 3
		.amdhsa_dx10_clamp 1
		.amdhsa_ieee_mode 1
		.amdhsa_fp16_overflow 0
		.amdhsa_tg_split 0
		.amdhsa_exception_fp_ieee_invalid_op 0
		.amdhsa_exception_fp_denorm_src 0
		.amdhsa_exception_fp_ieee_div_zero 0
		.amdhsa_exception_fp_ieee_overflow 0
		.amdhsa_exception_fp_ieee_underflow 0
		.amdhsa_exception_fp_ieee_inexact 0
		.amdhsa_exception_int_div_zero 0
	.end_amdhsa_kernel
	.section	.text._ZN4vllm38concat_and_cache_mla_rope_fused_kernelIN3c108BFloat16ES2_Lb1EthLNS_18Fp8KVCacheDataTypeE1EEEvPKlPT_S7_PKS6_PKT0_illlliPT3_S5_iiiiPKf,"axG",@progbits,_ZN4vllm38concat_and_cache_mla_rope_fused_kernelIN3c108BFloat16ES2_Lb1EthLNS_18Fp8KVCacheDataTypeE1EEEvPKlPT_S7_PKS6_PKT0_illlliPT3_S5_iiiiPKf,comdat
.Lfunc_end88:
	.size	_ZN4vllm38concat_and_cache_mla_rope_fused_kernelIN3c108BFloat16ES2_Lb1EthLNS_18Fp8KVCacheDataTypeE1EEEvPKlPT_S7_PKS6_PKT0_illlliPT3_S5_iiiiPKf, .Lfunc_end88-_ZN4vllm38concat_and_cache_mla_rope_fused_kernelIN3c108BFloat16ES2_Lb1EthLNS_18Fp8KVCacheDataTypeE1EEEvPKlPT_S7_PKS6_PKT0_illlliPT3_S5_iiiiPKf
                                        ; -- End function
	.section	.AMDGPU.csdata,"",@progbits
; Kernel info:
; codeLenInByte = 4168
; NumSgprs: 66
; NumVgprs: 24
; NumAgprs: 0
; TotalNumVgprs: 24
; ScratchSize: 0
; MemoryBound: 0
; FloatMode: 240
; IeeeMode: 1
; LDSByteSize: 0 bytes/workgroup (compile time only)
; SGPRBlocks: 8
; VGPRBlocks: 2
; NumSGPRsForWavesPerEU: 66
; NumVGPRsForWavesPerEU: 24
; AccumOffset: 24
; Occupancy: 8
; WaveLimiterHint : 1
; COMPUTE_PGM_RSRC2:SCRATCH_EN: 0
; COMPUTE_PGM_RSRC2:USER_SGPR: 6
; COMPUTE_PGM_RSRC2:TRAP_HANDLER: 0
; COMPUTE_PGM_RSRC2:TGID_X_EN: 1
; COMPUTE_PGM_RSRC2:TGID_Y_EN: 0
; COMPUTE_PGM_RSRC2:TGID_Z_EN: 0
; COMPUTE_PGM_RSRC2:TIDIG_COMP_CNT: 0
; COMPUTE_PGM_RSRC3_GFX90A:ACCUM_OFFSET: 5
; COMPUTE_PGM_RSRC3_GFX90A:TG_SPLIT: 0
	.section	.text._ZN4vllm38concat_and_cache_mla_rope_fused_kernelIN3c108BFloat16ES2_Lb0EthLNS_18Fp8KVCacheDataTypeE1EEEvPKlPT_S7_PKS6_PKT0_illlliPT3_S5_iiiiPKf,"axG",@progbits,_ZN4vllm38concat_and_cache_mla_rope_fused_kernelIN3c108BFloat16ES2_Lb0EthLNS_18Fp8KVCacheDataTypeE1EEEvPKlPT_S7_PKS6_PKT0_illlliPT3_S5_iiiiPKf,comdat
	.protected	_ZN4vllm38concat_and_cache_mla_rope_fused_kernelIN3c108BFloat16ES2_Lb0EthLNS_18Fp8KVCacheDataTypeE1EEEvPKlPT_S7_PKS6_PKT0_illlliPT3_S5_iiiiPKf ; -- Begin function _ZN4vllm38concat_and_cache_mla_rope_fused_kernelIN3c108BFloat16ES2_Lb0EthLNS_18Fp8KVCacheDataTypeE1EEEvPKlPT_S7_PKS6_PKT0_illlliPT3_S5_iiiiPKf
	.globl	_ZN4vllm38concat_and_cache_mla_rope_fused_kernelIN3c108BFloat16ES2_Lb0EthLNS_18Fp8KVCacheDataTypeE1EEEvPKlPT_S7_PKS6_PKT0_illlliPT3_S5_iiiiPKf
	.p2align	8
	.type	_ZN4vllm38concat_and_cache_mla_rope_fused_kernelIN3c108BFloat16ES2_Lb0EthLNS_18Fp8KVCacheDataTypeE1EEEvPKlPT_S7_PKS6_PKT0_illlliPT3_S5_iiiiPKf,@function
_ZN4vllm38concat_and_cache_mla_rope_fused_kernelIN3c108BFloat16ES2_Lb0EthLNS_18Fp8KVCacheDataTypeE1EEEvPKlPT_S7_PKS6_PKT0_illlliPT3_S5_iiiiPKf: ; @_ZN4vllm38concat_and_cache_mla_rope_fused_kernelIN3c108BFloat16ES2_Lb0EthLNS_18Fp8KVCacheDataTypeE1EEEvPKlPT_S7_PKS6_PKT0_illlliPT3_S5_iiiiPKf
; %bb.0:
	s_load_dwordx2 s[2:3], s[4:5], 0x60
	s_mov_b32 s7, 0
	s_lshl_b64 s[0:1], s[6:7], 3
	s_waitcnt lgkmcnt(0)
	s_add_u32 s2, s2, s0
	s_addc_u32 s3, s3, s1
	s_load_dwordx2 s[26:27], s[2:3], 0x0
	s_waitcnt lgkmcnt(0)
	v_cmp_lt_i64_e64 s[2:3], s[26:27], 0
	s_and_b64 vcc, exec, s[2:3]
	s_cbranch_vccnz .LBB89_61
; %bb.1:
	s_load_dword s7, s[4:5], 0x28
	s_load_dwordx2 s[2:3], s[4:5], 0x0
	s_load_dwordx4 s[16:19], s[4:5], 0x10
	v_lshlrev_b32_e32 v1, 1, v0
	s_waitcnt lgkmcnt(0)
	s_ashr_i32 s22, s7, 31
	s_add_u32 s0, s2, s0
	s_addc_u32 s1, s3, s1
	s_load_dwordx2 s[20:21], s[0:1], 0x0
	s_load_dwordx2 s[28:29], s[4:5], 0x20
	s_load_dwordx8 s[8:15], s[4:5], 0x30
	s_load_dwordx2 s[2:3], s[4:5], 0x58
	s_load_dword s23, s[4:5], 0x50
	s_waitcnt lgkmcnt(0)
	s_mul_i32 s0, s20, s22
	s_mul_hi_u32 s1, s20, s7
	s_mul_i32 s21, s21, s7
	s_add_i32 s0, s1, s0
	s_add_i32 s31, s0, s21
	s_lshr_b32 s0, s7, 31
	s_mul_i32 s30, s20, s7
	s_add_i32 s7, s7, s0
	s_ashr_i32 s20, s7, 1
	s_mul_i32 s7, s20, s23
	v_cmp_gt_i32_e32 vcc, s7, v0
	s_and_saveexec_b64 s[22:23], vcc
	s_cbranch_execz .LBB89_4
; %bb.2:
	s_lshl_b64 s[0:1], s[30:31], 1
	s_add_u32 s33, s28, s0
	s_addc_u32 s24, s29, s1
	s_load_dwordx2 s[0:1], s[4:5], 0x8
	s_mul_i32 s9, s6, s9
	s_mul_hi_u32 s25, s6, s8
	s_add_i32 s9, s25, s9
	s_load_dword s25, s[4:5], 0x8c
	s_mul_i32 s8, s6, s8
	s_ashr_i32 s21, s20, 31
	s_lshl_b64 s[8:9], s[8:9], 1
	s_waitcnt lgkmcnt(0)
	s_add_u32 s34, s0, s8
	s_addc_u32 s0, s1, s9
	s_abs_i32 s35, s20
	v_cvt_f32_u32_e32 v2, s35
	s_sub_i32 s1, 0, s35
	s_and_b32 s36, s25, 0xffff
	v_mov_b32_e32 v5, s24
	v_rcp_iflag_f32_e32 v2, v2
	s_lshl_b64 s[24:25], s[20:21], 1
	s_sub_i32 s37, 0, s20
	s_lshl_b32 s39, s36, 1
	v_mul_f32_e32 v2, 0x4f7ffffe, v2
	v_cvt_u32_f32_e32 v2, v2
	s_mov_b64 s[8:9], 0
	v_mov_b32_e32 v6, s25
	v_mov_b32_e32 v7, s0
	v_mul_lo_u32 v3, s1, v2
	v_mul_hi_u32 v3, v2, v3
	s_lshl_b32 s1, s20, 1
	v_add_u32_e32 v3, v2, v3
	s_sub_i32 s38, 0, s1
	s_movk_i32 s25, 0x7fff
	v_mov_b32_e32 v8, 0x7fc00000
	v_mov_b32_e32 v9, 0x7fc0
	s_mov_b32 s40, 0x5040100
	v_mov_b32_e32 v2, v1
	v_mov_b32_e32 v4, v0
.LBB89_3:                               ; =>This Inner Loop Header: Depth=1
	v_sub_u32_e32 v11, 0, v4
	v_max_i32_e32 v11, v4, v11
	v_mul_hi_u32 v12, v11, v3
	v_mul_lo_u32 v13, v12, s35
	v_sub_u32_e32 v11, v11, v13
	v_add_u32_e32 v14, 1, v12
	v_cmp_le_u32_e32 vcc, s35, v11
	v_subrev_u32_e32 v13, s35, v11
	v_cndmask_b32_e32 v12, v12, v14, vcc
	v_cndmask_b32_e32 v11, v11, v13, vcc
	v_ashrrev_i32_e32 v10, 31, v4
	v_add_u32_e32 v13, 1, v12
	v_cmp_le_u32_e32 vcc, s35, v11
	v_xor_b32_e32 v10, s21, v10
	v_cndmask_b32_e32 v11, v12, v13, vcc
	v_xor_b32_e32 v11, v11, v10
	v_sub_u32_e32 v14, v11, v10
	v_mad_u64_u32 v[10:11], s[0:1], s37, v14, v[4:5]
	v_ashrrev_i32_e32 v11, 31, v10
	v_lshlrev_b64 v[10:11], 1, v[10:11]
	v_ashrrev_i32_e32 v16, 31, v14
	v_add_co_u32_e32 v10, vcc, s33, v10
	v_mul_lo_u32 v17, v14, s11
	v_mad_u64_u32 v[12:13], s[0:1], v14, s10, 0
	v_mul_lo_u32 v16, v16, s10
	v_addc_co_u32_e32 v11, vcc, v5, v11, vcc
	v_add3_u32 v13, v13, v17, v16
	v_add_co_u32_e32 v16, vcc, s24, v10
	v_mad_u64_u32 v[14:15], s[0:1], s38, v14, v[2:3]
	v_lshlrev_b64 v[12:13], 1, v[12:13]
	v_addc_co_u32_e32 v17, vcc, v11, v6, vcc
	v_ashrrev_i32_e32 v15, 31, v14
	v_add_co_u32_e32 v12, vcc, s34, v12
	v_lshlrev_b64 v[14:15], 1, v[14:15]
	v_addc_co_u32_e32 v13, vcc, v7, v13, vcc
	global_load_ushort v18, v[10:11], off
	global_load_ushort v19, v[16:17], off
	v_add_co_u32_e32 v10, vcc, v12, v14
	v_addc_co_u32_e32 v11, vcc, v13, v15, vcc
	global_load_dword v12, v[10:11], off
	v_add_u32_e32 v4, s36, v4
	v_cmp_le_i32_e32 vcc, s7, v4
	s_or_b64 s[8:9], vcc, s[8:9]
	v_add_u32_e32 v2, s39, v2
	s_waitcnt vmcnt(2)
	v_lshlrev_b32_e32 v13, 16, v18
	s_waitcnt vmcnt(1)
	v_lshlrev_b32_e32 v15, 16, v19
	v_mov_b32_e32 v16, v13
	s_waitcnt vmcnt(0)
	v_and_b32_e32 v18, 0xffff0000, v12
	v_lshlrev_b32_e32 v14, 16, v12
	v_mov_b32_e32 v12, v15
	v_pk_mul_f32 v[12:13], v[12:13], v[18:19] op_sel_hi:[1,0]
	v_mov_b32_e32 v17, v14
	v_bfe_u32 v18, v12, 16, 1
	v_bfe_u32 v19, v13, 16, 1
	v_pk_mul_f32 v[14:15], v[16:17], v[14:15]
	v_add3_u32 v16, v13, v19, s25
	v_add3_u32 v17, v12, v18, s25
	v_bfe_u32 v18, v14, 16, 1
	v_bfe_u32 v19, v15, 16, 1
	v_and_b32_e32 v17, 0xffff0000, v17
	v_and_b32_e32 v16, 0xffff0000, v16
	v_add3_u32 v19, v15, v19, s25
	v_add3_u32 v18, v14, v18, s25
	v_cmp_o_f32_e32 vcc, v12, v12
	v_cmp_o_f32_e64 s[0:1], v13, v13
	v_and_b32_e32 v18, 0xffff0000, v18
	v_and_b32_e32 v19, 0xffff0000, v19
	v_cndmask_b32_e64 v13, v8, v16, s[0:1]
	v_cndmask_b32_e32 v12, v8, v17, vcc
	v_cmp_o_f32_e32 vcc, v14, v14
	v_cmp_o_f32_e64 s[0:1], v15, v15
	v_cndmask_b32_e64 v15, v8, v19, s[0:1]
	v_cndmask_b32_e32 v14, v8, v18, vcc
	v_pk_add_f32 v[16:17], v[14:15], v[12:13] neg_lo:[0,1] neg_hi:[0,1]
	v_pk_add_f32 v[12:13], v[14:15], v[12:13]
	v_bfe_u32 v12, v16, 16, 1
	v_bfe_u32 v14, v13, 16, 1
	v_add3_u32 v14, v13, v14, s25
	v_add3_u32 v12, v16, v12, s25
	v_lshrrev_b32_e32 v12, 16, v12
	v_lshrrev_b32_e32 v14, 16, v14
	v_cmp_o_f32_e32 vcc, v13, v13
	v_cmp_o_f32_e64 s[0:1], v16, v16
	v_cndmask_b32_e64 v12, v9, v12, s[0:1]
	v_cndmask_b32_e32 v13, v9, v14, vcc
	v_perm_b32 v12, v13, v12, s40
	global_store_dword v[10:11], v12, off
	s_andn2_b64 exec, exec, s[8:9]
	s_cbranch_execnz .LBB89_3
.LBB89_4:
	s_or_b64 exec, exec, s[22:23]
	s_load_dwordx4 s[8:11], s[4:5], 0x68
	s_waitcnt lgkmcnt(0)
	s_ashr_i32 s35, s11, 31
	s_mov_b32 s34, s11
	s_or_b64 s[0:1], s[26:27], s[34:35]
	s_mov_b32 s0, 0
	s_cmp_lg_u64 s[0:1], 0
	s_cbranch_scc0 .LBB89_62
; %bb.5:
	s_add_u32 s0, s34, s35
	s_mov_b32 s22, s35
	s_mov_b32 s23, s35
	s_addc_u32 s1, s35, s35
	s_xor_b64 s[36:37], s[0:1], s[22:23]
	v_cvt_f32_u32_e32 v2, s36
	v_cvt_f32_u32_e32 v3, s37
	s_sub_u32 s0, 0, s36
	s_subb_u32 s1, 0, s37
	v_madmk_f32 v2, v3, 0x4f800000, v2
	v_rcp_f32_e32 v2, v2
	v_mul_f32_e32 v2, 0x5f7ffffc, v2
	v_mul_f32_e32 v3, 0x2f800000, v2
	v_trunc_f32_e32 v3, v3
	v_madmk_f32 v2, v3, 0xcf800000, v2
	v_cvt_u32_f32_e32 v3, v3
	v_cvt_u32_f32_e32 v2, v2
	v_readfirstlane_b32 s7, v3
	v_readfirstlane_b32 s11, v2
	s_mul_i32 s21, s0, s7
	s_mul_hi_u32 s38, s0, s11
	s_mul_i32 s33, s1, s11
	s_add_i32 s21, s38, s21
	s_add_i32 s21, s21, s33
	s_mul_i32 s39, s0, s11
	s_mul_hi_u32 s33, s11, s21
	s_mul_i32 s38, s11, s21
	s_mul_hi_u32 s11, s11, s39
	s_add_u32 s11, s11, s38
	s_addc_u32 s33, 0, s33
	s_mul_hi_u32 s40, s7, s39
	s_mul_i32 s39, s7, s39
	s_add_u32 s11, s11, s39
	s_mul_hi_u32 s38, s7, s21
	s_addc_u32 s11, s33, s40
	s_addc_u32 s33, s38, 0
	s_mul_i32 s21, s7, s21
	s_add_u32 s11, s11, s21
	s_addc_u32 s21, 0, s33
	v_add_co_u32_e32 v2, vcc, s11, v2
	s_cmp_lg_u64 vcc, 0
	s_addc_u32 s7, s7, s21
	v_readfirstlane_b32 s21, v2
	s_mul_i32 s11, s0, s7
	s_mul_hi_u32 s33, s0, s21
	s_add_i32 s11, s33, s11
	s_mul_i32 s1, s1, s21
	s_add_i32 s11, s11, s1
	s_mul_i32 s0, s0, s21
	s_mul_hi_u32 s33, s7, s0
	s_mul_i32 s38, s7, s0
	s_mul_i32 s40, s21, s11
	s_mul_hi_u32 s0, s21, s0
	s_mul_hi_u32 s39, s21, s11
	s_add_u32 s0, s0, s40
	s_addc_u32 s21, 0, s39
	s_add_u32 s0, s0, s38
	s_mul_hi_u32 s1, s7, s11
	s_addc_u32 s0, s21, s33
	s_addc_u32 s1, s1, 0
	s_mul_i32 s11, s7, s11
	s_add_u32 s0, s0, s11
	s_addc_u32 s1, 0, s1
	v_add_co_u32_e32 v2, vcc, s0, v2
	s_cmp_lg_u64 vcc, 0
	s_addc_u32 s7, s7, s1
	s_ashr_i32 s38, s27, 31
	s_add_u32 s0, s26, s38
	s_mov_b32 s39, s38
	s_addc_u32 s1, s27, s38
	s_xor_b64 s[40:41], s[0:1], s[38:39]
	v_readfirstlane_b32 s11, v2
	s_mul_i32 s1, s40, s7
	s_mul_hi_u32 s21, s40, s11
	s_mul_hi_u32 s0, s40, s7
	s_add_u32 s1, s21, s1
	s_addc_u32 s0, 0, s0
	s_mul_hi_u32 s33, s41, s11
	s_mul_i32 s11, s41, s11
	s_add_u32 s1, s1, s11
	s_mul_hi_u32 s21, s41, s7
	s_addc_u32 s0, s0, s33
	s_addc_u32 s1, s21, 0
	s_mul_i32 s7, s41, s7
	s_add_u32 s7, s0, s7
	s_addc_u32 s11, 0, s1
	s_mul_i32 s0, s36, s11
	s_mul_hi_u32 s1, s36, s7
	s_add_i32 s0, s1, s0
	s_mul_i32 s1, s37, s7
	s_add_i32 s21, s0, s1
	s_mul_i32 s1, s36, s7
	v_mov_b32_e32 v2, s1
	s_sub_i32 s0, s41, s21
	v_sub_co_u32_e32 v2, vcc, s40, v2
	s_cmp_lg_u64 vcc, 0
	s_subb_u32 s33, s0, s37
	v_subrev_co_u32_e64 v3, s[0:1], s36, v2
	s_cmp_lg_u64 s[0:1], 0
	s_subb_u32 s0, s33, 0
	s_cmp_ge_u32 s0, s37
	v_readfirstlane_b32 s33, v3
	s_cselect_b32 s1, -1, 0
	s_cmp_ge_u32 s33, s36
	s_cselect_b32 s33, -1, 0
	s_cmp_eq_u32 s0, s37
	s_cselect_b32 s0, s33, s1
	s_add_u32 s1, s7, 1
	s_addc_u32 s33, s11, 0
	s_add_u32 s40, s7, 2
	s_addc_u32 s42, s11, 0
	s_cmp_lg_u32 s0, 0
	s_cselect_b32 s0, s40, s1
	s_cselect_b32 s1, s42, s33
	s_cmp_lg_u64 vcc, 0
	s_subb_u32 s21, s41, s21
	s_cmp_ge_u32 s21, s37
	v_readfirstlane_b32 s40, v2
	s_cselect_b32 s33, -1, 0
	s_cmp_ge_u32 s40, s36
	s_cselect_b32 s36, -1, 0
	s_cmp_eq_u32 s21, s37
	s_cselect_b32 s21, s36, s33
	s_cmp_lg_u32 s21, 0
	s_cselect_b32 s1, s1, s11
	s_cselect_b32 s0, s0, s7
	s_xor_b64 s[22:23], s[38:39], s[22:23]
	s_xor_b64 s[0:1], s[0:1], s[22:23]
	s_sub_u32 s22, s0, s22
	s_subb_u32 s23, s1, s23
	s_cbranch_execnz .LBB89_7
.LBB89_6:
	v_cvt_f32_u32_e32 v2, s34
	s_sub_i32 s0, 0, s34
	s_mov_b32 s23, 0
	v_rcp_iflag_f32_e32 v2, v2
	v_mul_f32_e32 v2, 0x4f7ffffe, v2
	v_cvt_u32_f32_e32 v2, v2
	v_readfirstlane_b32 s1, v2
	s_mul_i32 s0, s0, s1
	s_mul_hi_u32 s0, s1, s0
	s_add_i32 s1, s1, s0
	s_mul_hi_u32 s0, s26, s1
	s_mul_i32 s7, s0, s34
	s_sub_i32 s7, s26, s7
	s_add_i32 s1, s0, 1
	s_sub_i32 s11, s7, s34
	s_cmp_ge_u32 s7, s34
	s_cselect_b32 s0, s1, s0
	s_cselect_b32 s7, s11, s7
	s_add_i32 s1, s0, 1
	s_cmp_ge_u32 s7, s34
	s_cselect_b32 s22, s1, s0
.LBB89_7:
	s_mul_i32 s0, s22, s35
	s_mul_hi_u32 s1, s22, s34
	s_load_dwordx2 s[24:25], s[4:5], 0x78
	s_add_i32 s0, s1, s0
	s_mul_i32 s1, s23, s34
	s_add_i32 s0, s0, s1
	s_mul_i32 s1, s22, s34
	s_sub_u32 s7, s26, s1
	s_subb_u32 s11, s27, s0
	v_cmp_gt_i32_e32 vcc, s20, v0
	s_mul_hi_u32 s42, s22, s8
	s_mul_i32 s43, s23, s8
	s_mul_i32 s44, s22, s8
	s_mul_hi_u32 s33, s7, s9
	s_mul_i32 s11, s11, s9
	s_mul_i32 s23, s7, s9
	s_and_saveexec_b64 s[26:27], vcc
	s_cbranch_execz .LBB89_42
; %bb.8:
	s_ashr_i32 s0, s8, 31
	s_mul_i32 s0, s22, s0
	s_load_dword s1, s[4:5], 0x8c
	s_add_i32 s0, s42, s0
	s_add_i32 s34, s0, s43
	s_ashr_i32 s0, s9, 31
	s_mul_i32 s0, s7, s0
	s_add_i32 s0, s33, s0
	s_ashr_i32 s21, s20, 31
	s_add_i32 s35, s0, s11
	s_ashr_i32 s36, s10, 31
	s_waitcnt lgkmcnt(0)
	s_and_b32 s46, s1, 0xffff
	s_lshl_b64 s[0:1], s[30:31], 1
	s_add_u32 s0, s28, s0
	s_addc_u32 s1, s29, s1
	v_mov_b32_e32 v3, s1
	v_add_co_u32_e32 v2, vcc, s0, v1
	s_mul_i32 s0, s13, s6
	s_mul_hi_u32 s1, s12, s6
	s_add_i32 s1, s1, s0
	s_mul_i32 s0, s12, s6
	s_lshl_b32 s48, s46, 1
	s_lshl_b64 s[28:29], s[20:21], 1
	s_lshl_b64 s[0:1], s[0:1], 1
	s_add_u32 s0, s16, s0
	v_addc_co_u32_e32 v3, vcc, 0, v3, vcc
	v_lshlrev_b32_e32 v4, 2, v0
	s_addc_u32 s1, s17, s1
	s_lshl_b32 s21, s46, 2
	v_add_co_u32_e32 v4, vcc, s0, v4
	s_add_u32 s0, s44, s23
	v_mov_b32_e32 v5, s1
	s_addc_u32 s1, s34, s35
	s_add_u32 s12, s2, s10
	v_addc_co_u32_e32 v5, vcc, 0, v5, vcc
	s_addc_u32 s13, s3, s36
	v_add_co_u32_e32 v4, vcc, 2, v4
	s_add_u32 s0, s12, s0
	s_load_dword s45, s[24:25], 0x0
	v_addc_co_u32_e32 v5, vcc, 0, v5, vcc
	s_addc_u32 s1, s13, s1
	v_mov_b32_e32 v6, s1
	v_add_co_u32_e32 v1, vcc, s0, v1
	v_addc_co_u32_e32 v7, vcc, 0, v6, vcc
	s_mov_b32 s47, 0
	v_add_co_u32_e32 v6, vcc, 1, v1
	s_mov_b32 s49, s47
	v_addc_co_u32_e32 v7, vcc, 0, v7, vcc
	s_mov_b64 s[12:13], 0
	v_mov_b32_e32 v1, s29
	s_movk_i32 s29, 0x7fff
	v_mov_b32_e32 v12, 0x7fc00000
	v_mov_b32_e32 v13, 0x7fc0
	s_mov_b32 s50, 0x5040100
	v_mov_b32_e32 v9, 0
	s_movk_i32 s51, 0x80
	s_mov_b64 s[16:17], 0x7f800000
	s_mov_b64 s[30:31], 0x43e00001
	s_movk_i32 s52, 0x7a
	s_mov_b64 s[34:35], 0xffffff
	s_movk_i32 s53, 0x7f
	v_mov_b32_e32 v14, 0xffffff82
	v_mov_b32_e32 v15, 0x78
	;; [unrolled: 1-line block ×3, first 2 shown]
	s_branch .LBB89_10
.LBB89_9:                               ;   in Loop: Header=BB89_10 Depth=1
	s_or_b64 exec, exec, s[0:1]
	v_mov_b32_e32 v8, s47
	v_add_co_u32_e32 v2, vcc, s48, v2
	v_addc_co_u32_e32 v3, vcc, v3, v8, vcc
	v_mov_b32_e32 v10, s49
	v_add_co_u32_e32 v4, vcc, s21, v4
	v_add_u32_e32 v16, s46, v16
	v_addc_co_u32_e32 v5, vcc, v5, v10, vcc
	v_cmp_le_i32_e32 vcc, s20, v16
	global_store_byte v[6:7], v11, off
	s_or_b64 s[12:13], vcc, s[12:13]
	v_add_co_u32_e32 v6, vcc, s48, v6
	v_addc_co_u32_e32 v7, vcc, v7, v8, vcc
	s_andn2_b64 exec, exec, s[12:13]
	s_cbranch_execz .LBB89_42
.LBB89_10:                              ; =>This Inner Loop Header: Depth=1
	v_add_co_u32_e32 v10, vcc, s28, v2
	global_load_dword v17, v[4:5], off offset:-2
	global_load_ushort v8, v[2:3], off
	v_addc_co_u32_e32 v11, vcc, v3, v1, vcc
	global_load_ushort v10, v[10:11], off
	s_waitcnt vmcnt(2)
	v_lshlrev_b32_e32 v18, 16, v17
	s_waitcnt vmcnt(1)
	v_lshlrev_b32_e32 v11, 16, v8
	v_mov_b32_e32 v20, v11
	v_mov_b32_e32 v21, v18
	s_waitcnt vmcnt(0)
	v_lshlrev_b32_e32 v19, 16, v10
	v_mov_b32_e32 v10, v19
	v_pk_mul_f32 v[18:19], v[20:21], v[18:19]
	v_and_b32_e32 v8, 0xffff0000, v17
	v_bfe_u32 v17, v19, 16, 1
	v_pk_mul_f32 v[10:11], v[10:11], v[8:9] op_sel_hi:[1,0]
	v_bfe_u32 v8, v18, 16, 1
	v_add3_u32 v17, v19, v17, s29
	v_bfe_u32 v21, v11, 16, 1
	v_add3_u32 v8, v18, v8, s29
	v_and_b32_e32 v17, 0xffff0000, v17
	v_cmp_o_f32_e32 vcc, v19, v19
	v_bfe_u32 v20, v10, 16, 1
	v_add3_u32 v21, v11, v21, s29
	v_and_b32_e32 v8, 0xffff0000, v8
	v_cndmask_b32_e32 v19, v12, v17, vcc
	v_cmp_o_f32_e32 vcc, v18, v18
	v_add3_u32 v20, v10, v20, s29
	v_and_b32_e32 v21, 0xffff0000, v21
	v_cndmask_b32_e32 v18, v12, v8, vcc
	v_cmp_o_f32_e32 vcc, v11, v11
	v_and_b32_e32 v20, 0xffff0000, v20
	v_cndmask_b32_e32 v11, v12, v21, vcc
	v_cmp_o_f32_e32 vcc, v10, v10
	v_cndmask_b32_e32 v10, v12, v20, vcc
	v_pk_add_f32 v[20:21], v[18:19], v[10:11] neg_lo:[0,1] neg_hi:[0,1]
	v_bfe_u32 v8, v20, 16, 1
	v_add3_u32 v8, v20, v8, s29
	v_lshrrev_b32_e32 v8, 16, v8
	v_cmp_o_f32_e32 vcc, v20, v20
	v_cndmask_b32_e32 v8, v13, v8, vcc
	v_cvt_f32_f16_e32 v17, v8
	v_pk_add_f32 v[10:11], v[18:19], v[10:11]
	v_mov_b32_e32 v21, v9
	s_waitcnt lgkmcnt(0)
	v_div_scale_f32 v20, s[0:1], s45, s45, v17
	v_rcp_f32_e32 v22, v20
	v_div_scale_f32 v10, vcc, v17, s45, v17
	v_fma_f32 v18, -v20, v22, 1.0
	v_fmac_f32_e32 v22, v18, v22
	v_mul_f32_e32 v18, v10, v22
	v_fma_f32 v19, -v20, v18, v10
	v_fmac_f32_e32 v18, v19, v22
	v_fma_f32 v10, -v20, v18, v10
	v_div_fmas_f32 v10, v10, v22, v18
	v_div_fixup_f32 v10, v10, s45, v17
	v_cvt_f16_f32_e32 v10, v10
	v_bfe_u32 v17, v11, 16, 1
	v_add3_u32 v17, v11, v17, s29
	v_lshrrev_b32_e32 v17, 16, v17
	v_cvt_f32_f16_e32 v10, v10
	v_cmp_o_f32_e32 vcc, v11, v11
	v_cndmask_b32_e32 v11, v13, v17, vcc
	v_perm_b32 v17, v11, v8, s50
	v_and_b32_sdwa v18, v10, s51 dst_sel:DWORD dst_unused:UNUSED_PAD src0_sel:BYTE_3 src1_sel:DWORD
	v_and_b32_e32 v20, 0x7f800000, v10
	v_and_b32_e32 v8, 0x7fffff, v10
	v_or_b32_e32 v11, 0x7e, v18
	v_cmp_ne_u64_e32 vcc, s[16:17], v[20:21]
	global_store_dword v[4:5], v17, off offset:-2
	s_and_saveexec_b64 s[0:1], vcc
	s_xor_b64 s[36:37], exec, s[0:1]
	s_cbranch_execz .LBB89_24
; %bb.11:                               ;   in Loop: Header=BB89_10 Depth=1
	v_and_b32_e32 v20, 0x7fffffff, v10
	v_mov_b32_e32 v21, v9
	v_cmp_gt_u64_e32 vcc, s[30:31], v[20:21]
	s_and_saveexec_b64 s[0:1], vcc
	s_xor_b64 s[38:39], exec, s[0:1]
	s_cbranch_execz .LBB89_23
; %bb.12:                               ;   in Loop: Header=BB89_10 Depth=1
	v_cmp_ne_u32_e32 vcc, 0, v10
	v_mov_b32_e32 v11, 0
	s_and_saveexec_b64 s[40:41], vcc
	s_cbranch_execz .LBB89_22
; %bb.13:                               ;   in Loop: Header=BB89_10 Depth=1
	v_bfe_u32 v10, v10, 23, 8
	v_sub_u32_e32 v19, 0x79, v10
	v_cmp_gt_u32_e32 vcc, s52, v10
	v_cndmask_b32_e32 v19, 0, v19, vcc
	v_cmp_eq_u32_e32 vcc, 0, v10
	v_cndmask_b32_e32 v19, v19, v15, vcc
	v_add_u32_e32 v11, 0xffffff81, v10
	v_or_b32_e32 v20, 0x800000, v8
	v_add_u32_e32 v10, 20, v19
	v_cndmask_b32_e32 v21, v11, v14, vcc
	v_cndmask_b32_e32 v8, v20, v8, vcc
	v_lshlrev_b64 v[10:11], v10, -1
	v_not_b32_e32 v10, v10
	v_lshrrev_b64 v[24:25], v19, v[8:9]
	v_not_b32_e32 v11, v11
	v_and_b32_e32 v10, v8, v10
	v_add_u32_e32 v20, 19, v19
	v_lshrrev_b32_e32 v8, 23, v24
	v_and_b32_e32 v11, 0, v11
	v_lshlrev_b64 v[22:23], v20, 1
	v_add3_u32 v20, v19, v21, v8
	v_bfe_u32 v8, v24, 20, 1
	v_add_u32_e32 v8, -1, v8
	v_cmp_eq_u64_e32 vcc, v[10:11], v[22:23]
	v_cndmask_b32_e32 v8, 0, v8, vcc
	v_add_u32_e32 v8, v8, v24
	v_and_b32_e32 v8, 0xfffff, v8
	v_add_co_u32_e32 v10, vcc, v8, v24
	v_add_u32_e32 v19, 6, v20
	v_addc_co_u32_e32 v11, vcc, 0, v25, vcc
	v_cmp_ne_u32_e32 vcc, 0, v19
                                        ; implicit-def: $vgpr8
	s_and_saveexec_b64 s[0:1], vcc
	s_xor_b64 s[0:1], exec, s[0:1]
; %bb.14:                               ;   in Loop: Header=BB89_10 Depth=1
	v_add_u32_e32 v8, 7, v20
	v_cmp_lt_u64_e32 vcc, s[34:35], v[10:11]
	v_cndmask_b32_e32 v8, v19, v8, vcc
	v_cndmask_b32_e64 v19, 0, 1, vcc
	v_lshrrev_b64 v[10:11], v19, v[10:11]
; %bb.15:                               ;   in Loop: Header=BB89_10 Depth=1
	s_andn2_saveexec_b64 s[0:1], s[0:1]
; %bb.16:                               ;   in Loop: Header=BB89_10 Depth=1
	v_bfe_u32 v8, v10, 23, 1
; %bb.17:                               ;   in Loop: Header=BB89_10 Depth=1
	s_or_b64 exec, exec, s[0:1]
	v_lshrrev_b64 v[10:11], 20, v[10:11]
	v_cmp_gt_i32_e32 vcc, 16, v8
	v_cndmask_b32_e32 v11, 0, v11, vcc
	v_cndmask_b32_e32 v10, 7, v10, vcc
	v_cmp_ne_u32_e32 vcc, 0, v8
	v_cmp_ne_u64_e64 s[0:1], 0, v[10:11]
	s_or_b64 s[0:1], vcc, s[0:1]
                                        ; implicit-def: $vgpr11
	s_and_saveexec_b64 s[54:55], s[0:1]
	s_xor_b64 s[0:1], exec, s[54:55]
; %bb.18:                               ;   in Loop: Header=BB89_10 Depth=1
	v_min_i32_e32 v8, 15, v8
	v_lshl_or_b32 v8, v8, 3, v18
	v_and_or_b32 v11, v10, 7, v8
                                        ; implicit-def: $vgpr18
; %bb.19:                               ;   in Loop: Header=BB89_10 Depth=1
	s_andn2_saveexec_b64 s[0:1], s[0:1]
; %bb.20:                               ;   in Loop: Header=BB89_10 Depth=1
	v_mov_b32_e32 v11, v18
; %bb.21:                               ;   in Loop: Header=BB89_10 Depth=1
	s_or_b64 exec, exec, s[0:1]
.LBB89_22:                              ;   in Loop: Header=BB89_10 Depth=1
	s_or_b64 exec, exec, s[40:41]
.LBB89_23:                              ;   in Loop: Header=BB89_10 Depth=1
	s_andn2_saveexec_b64 s[0:1], s[38:39]
	s_or_b64 exec, exec, s[0:1]
                                        ; implicit-def: $vgpr10
.LBB89_24:                              ;   in Loop: Header=BB89_10 Depth=1
	s_andn2_saveexec_b64 s[0:1], s[36:37]
; %bb.25:                               ;   in Loop: Header=BB89_10 Depth=1
	v_or_b32_sdwa v10, v10, s53 dst_sel:DWORD dst_unused:UNUSED_PAD src0_sel:BYTE_3 src1_sel:DWORD
	v_cmp_eq_u64_e32 vcc, 0, v[8:9]
	v_cndmask_b32_e32 v11, v10, v11, vcc
; %bb.26:                               ;   in Loop: Header=BB89_10 Depth=1
	s_or_b64 exec, exec, s[0:1]
	v_cvt_f32_f16_sdwa v8, v17 dst_sel:DWORD dst_unused:UNUSED_PAD src0_sel:WORD_1
	global_store_byte v[6:7], v11, off offset:-1
	v_div_scale_f32 v10, s[0:1], s45, s45, v8
	v_rcp_f32_e32 v17, v10
	v_div_scale_f32 v18, vcc, v8, s45, v8
	v_fma_f32 v19, -v10, v17, 1.0
	v_fmac_f32_e32 v17, v19, v17
	v_mul_f32_e32 v19, v18, v17
	v_fma_f32 v20, -v10, v19, v18
	v_fmac_f32_e32 v19, v20, v17
	v_fma_f32 v10, -v10, v19, v18
	v_div_fmas_f32 v10, v10, v17, v19
	v_div_fixup_f32 v8, v10, s45, v8
	v_cvt_f16_f32_e32 v8, v8
	v_mov_b32_e32 v19, v9
	v_cvt_f32_f16_e32 v10, v8
	v_and_b32_sdwa v17, v10, s51 dst_sel:DWORD dst_unused:UNUSED_PAD src0_sel:BYTE_3 src1_sel:DWORD
	v_and_b32_e32 v18, 0x7f800000, v10
	v_and_b32_e32 v8, 0x7fffff, v10
	v_or_b32_e32 v11, 0x7e, v17
	v_cmp_ne_u64_e32 vcc, s[16:17], v[18:19]
	s_and_saveexec_b64 s[0:1], vcc
	s_xor_b64 s[36:37], exec, s[0:1]
	s_cbranch_execz .LBB89_40
; %bb.27:                               ;   in Loop: Header=BB89_10 Depth=1
	v_and_b32_e32 v18, 0x7fffffff, v10
	v_mov_b32_e32 v19, v9
	v_cmp_gt_u64_e32 vcc, s[30:31], v[18:19]
	s_and_saveexec_b64 s[0:1], vcc
	s_xor_b64 s[38:39], exec, s[0:1]
	s_cbranch_execz .LBB89_39
; %bb.28:                               ;   in Loop: Header=BB89_10 Depth=1
	v_cmp_ne_u32_e32 vcc, 0, v10
	v_mov_b32_e32 v11, 0
	s_and_saveexec_b64 s[40:41], vcc
	s_cbranch_execz .LBB89_38
; %bb.29:                               ;   in Loop: Header=BB89_10 Depth=1
	v_bfe_u32 v10, v10, 23, 8
	v_sub_u32_e32 v18, 0x79, v10
	v_cmp_gt_u32_e32 vcc, s52, v10
	v_cndmask_b32_e32 v18, 0, v18, vcc
	v_cmp_eq_u32_e32 vcc, 0, v10
	v_cndmask_b32_e32 v18, v18, v15, vcc
	v_add_u32_e32 v11, 0xffffff81, v10
	v_or_b32_e32 v19, 0x800000, v8
	v_add_u32_e32 v10, 20, v18
	v_cndmask_b32_e32 v24, v11, v14, vcc
	v_cndmask_b32_e32 v8, v19, v8, vcc
	v_lshlrev_b64 v[10:11], v10, -1
	v_not_b32_e32 v10, v10
	v_lshrrev_b64 v[22:23], v18, v[8:9]
	v_not_b32_e32 v11, v11
	v_and_b32_e32 v10, v8, v10
	v_add_u32_e32 v19, 19, v18
	v_lshrrev_b32_e32 v8, 23, v22
	v_and_b32_e32 v11, 0, v11
	v_lshlrev_b64 v[20:21], v19, 1
	v_add3_u32 v19, v18, v24, v8
	v_bfe_u32 v8, v22, 20, 1
	v_add_u32_e32 v8, -1, v8
	v_cmp_eq_u64_e32 vcc, v[10:11], v[20:21]
	v_cndmask_b32_e32 v8, 0, v8, vcc
	v_add_u32_e32 v8, v8, v22
	v_and_b32_e32 v8, 0xfffff, v8
	v_add_co_u32_e32 v10, vcc, v8, v22
	v_add_u32_e32 v18, 6, v19
	v_addc_co_u32_e32 v11, vcc, 0, v23, vcc
	v_cmp_ne_u32_e32 vcc, 0, v18
                                        ; implicit-def: $vgpr8
	s_and_saveexec_b64 s[0:1], vcc
	s_xor_b64 s[0:1], exec, s[0:1]
; %bb.30:                               ;   in Loop: Header=BB89_10 Depth=1
	v_add_u32_e32 v8, 7, v19
	v_cmp_lt_u64_e32 vcc, s[34:35], v[10:11]
	v_cndmask_b32_e32 v8, v18, v8, vcc
	v_cndmask_b32_e64 v18, 0, 1, vcc
	v_lshrrev_b64 v[10:11], v18, v[10:11]
; %bb.31:                               ;   in Loop: Header=BB89_10 Depth=1
	s_andn2_saveexec_b64 s[0:1], s[0:1]
; %bb.32:                               ;   in Loop: Header=BB89_10 Depth=1
	v_bfe_u32 v8, v10, 23, 1
; %bb.33:                               ;   in Loop: Header=BB89_10 Depth=1
	s_or_b64 exec, exec, s[0:1]
	v_lshrrev_b64 v[10:11], 20, v[10:11]
	v_cmp_gt_i32_e32 vcc, 16, v8
	v_cndmask_b32_e32 v11, 0, v11, vcc
	v_cndmask_b32_e32 v10, 7, v10, vcc
	v_cmp_ne_u32_e32 vcc, 0, v8
	v_cmp_ne_u64_e64 s[0:1], 0, v[10:11]
	s_or_b64 s[0:1], vcc, s[0:1]
                                        ; implicit-def: $vgpr11
	s_and_saveexec_b64 s[54:55], s[0:1]
	s_xor_b64 s[0:1], exec, s[54:55]
; %bb.34:                               ;   in Loop: Header=BB89_10 Depth=1
	v_min_i32_e32 v8, 15, v8
	v_lshl_or_b32 v8, v8, 3, v17
	v_and_or_b32 v11, v10, 7, v8
                                        ; implicit-def: $vgpr17
; %bb.35:                               ;   in Loop: Header=BB89_10 Depth=1
	s_andn2_saveexec_b64 s[0:1], s[0:1]
; %bb.36:                               ;   in Loop: Header=BB89_10 Depth=1
	v_mov_b32_e32 v11, v17
; %bb.37:                               ;   in Loop: Header=BB89_10 Depth=1
	s_or_b64 exec, exec, s[0:1]
.LBB89_38:                              ;   in Loop: Header=BB89_10 Depth=1
	s_or_b64 exec, exec, s[40:41]
.LBB89_39:                              ;   in Loop: Header=BB89_10 Depth=1
	s_andn2_saveexec_b64 s[0:1], s[38:39]
	s_or_b64 exec, exec, s[0:1]
                                        ; implicit-def: $vgpr10
.LBB89_40:                              ;   in Loop: Header=BB89_10 Depth=1
	s_andn2_saveexec_b64 s[0:1], s[36:37]
	s_cbranch_execz .LBB89_9
; %bb.41:                               ;   in Loop: Header=BB89_10 Depth=1
	v_or_b32_sdwa v10, v10, s53 dst_sel:DWORD dst_unused:UNUSED_PAD src0_sel:BYTE_3 src1_sel:DWORD
	v_cmp_eq_u64_e32 vcc, 0, v[8:9]
	v_cndmask_b32_e32 v11, v10, v11, vcc
	s_branch .LBB89_9
.LBB89_42:
	s_or_b64 exec, exec, s[26:27]
	v_cmp_gt_i32_e32 vcc, s10, v0
	s_and_saveexec_b64 s[0:1], vcc
	s_cbranch_execz .LBB89_61
; %bb.43:
	s_mul_i32 s0, s6, s15
	s_mul_hi_u32 s1, s6, s14
	s_add_i32 s1, s1, s0
	s_mul_i32 s0, s6, s14
	s_lshl_b64 s[0:1], s[0:1], 1
	s_add_u32 s18, s18, s0
	s_addc_u32 s0, s19, s1
	s_ashr_i32 s1, s8, 31
	s_mul_i32 s1, s22, s1
	s_add_i32 s1, s42, s1
	s_add_i32 s1, s1, s43
	s_add_u32 s2, s2, s44
	s_addc_u32 s1, s3, s1
	s_ashr_i32 s3, s9, 31
	s_load_dword s4, s[4:5], 0x8c
	s_mul_i32 s7, s7, s3
	s_waitcnt lgkmcnt(0)
	s_load_dword s20, s[24:25], 0x0
	s_add_i32 s3, s33, s7
	s_add_i32 s3, s3, s11
	s_add_u32 s11, s2, s23
	s_addc_u32 s19, s1, s3
	s_and_b32 s21, s4, 0xffff
	s_mov_b64 s[2:3], 0
	v_mov_b32_e32 v6, s0
	v_mov_b32_e32 v3, 0
	s_movk_i32 s22, 0x80
	s_mov_b64 s[4:5], 0x7f800000
	s_mov_b64 s[6:7], 0x43e00001
	s_movk_i32 s23, 0x7a
	s_mov_b64 s[8:9], 0xffffff
	s_movk_i32 s24, 0x7f
	v_mov_b32_e32 v7, 0xffffff82
	v_mov_b32_e32 v8, 0x78
	s_branch .LBB89_45
.LBB89_44:                              ;   in Loop: Header=BB89_45 Depth=1
	s_or_b64 exec, exec, s[0:1]
	v_mov_b32_e32 v2, s19
	v_add_co_u32_e32 v10, vcc, s11, v0
	v_addc_co_u32_e32 v11, vcc, v2, v1, vcc
	v_add_u32_e32 v0, s21, v0
	v_cmp_le_i32_e32 vcc, s10, v0
	s_or_b64 s[2:3], vcc, s[2:3]
	global_store_byte v[10:11], v5, off
	s_andn2_b64 exec, exec, s[2:3]
	s_cbranch_execz .LBB89_61
.LBB89_45:                              ; =>This Inner Loop Header: Depth=1
	v_ashrrev_i32_e32 v1, 31, v0
	v_lshlrev_b64 v[4:5], 1, v[0:1]
	v_add_co_u32_e32 v4, vcc, s18, v4
	v_addc_co_u32_e32 v5, vcc, v6, v5, vcc
	global_load_ushort v2, v[4:5], off
	s_waitcnt vmcnt(0)
	v_cvt_f32_f16_e32 v2, v2
	s_waitcnt lgkmcnt(0)
	v_div_scale_f32 v4, s[0:1], s20, s20, v2
	v_rcp_f32_e32 v5, v4
	v_div_scale_f32 v9, vcc, v2, s20, v2
	v_fma_f32 v10, -v4, v5, 1.0
	v_fmac_f32_e32 v5, v10, v5
	v_mul_f32_e32 v10, v9, v5
	v_fma_f32 v11, -v4, v10, v9
	v_fmac_f32_e32 v10, v11, v5
	v_fma_f32 v4, -v4, v10, v9
	v_div_fmas_f32 v4, v4, v5, v10
	v_div_fixup_f32 v2, v4, s20, v2
	v_cvt_f16_f32_e32 v2, v2
	v_mov_b32_e32 v11, v3
	v_cvt_f32_f16_e32 v4, v2
	v_and_b32_sdwa v9, v4, s22 dst_sel:DWORD dst_unused:UNUSED_PAD src0_sel:BYTE_3 src1_sel:DWORD
	v_and_b32_e32 v10, 0x7f800000, v4
	v_and_b32_e32 v2, 0x7fffff, v4
	v_or_b32_e32 v5, 0x7e, v9
	v_cmp_ne_u64_e32 vcc, s[4:5], v[10:11]
	s_and_saveexec_b64 s[0:1], vcc
	s_xor_b64 s[12:13], exec, s[0:1]
	s_cbranch_execz .LBB89_59
; %bb.46:                               ;   in Loop: Header=BB89_45 Depth=1
	v_and_b32_e32 v10, 0x7fffffff, v4
	v_mov_b32_e32 v11, v3
	v_cmp_gt_u64_e32 vcc, s[6:7], v[10:11]
	s_and_saveexec_b64 s[0:1], vcc
	s_xor_b64 s[14:15], exec, s[0:1]
	s_cbranch_execz .LBB89_58
; %bb.47:                               ;   in Loop: Header=BB89_45 Depth=1
	v_cmp_ne_u32_e32 vcc, 0, v4
	v_mov_b32_e32 v5, 0
	s_and_saveexec_b64 s[16:17], vcc
	s_cbranch_execz .LBB89_57
; %bb.48:                               ;   in Loop: Header=BB89_45 Depth=1
	v_bfe_u32 v4, v4, 23, 8
	v_sub_u32_e32 v10, 0x79, v4
	v_cmp_gt_u32_e32 vcc, s23, v4
	v_cndmask_b32_e32 v10, 0, v10, vcc
	v_cmp_eq_u32_e32 vcc, 0, v4
	v_cndmask_b32_e32 v10, v10, v8, vcc
	v_add_u32_e32 v5, 0xffffff81, v4
	v_or_b32_e32 v11, 0x800000, v2
	v_add_u32_e32 v4, 20, v10
	v_cndmask_b32_e32 v16, v5, v7, vcc
	v_cndmask_b32_e32 v2, v11, v2, vcc
	v_lshlrev_b64 v[4:5], v4, -1
	v_not_b32_e32 v4, v4
	v_lshrrev_b64 v[14:15], v10, v[2:3]
	v_not_b32_e32 v5, v5
	v_and_b32_e32 v4, v2, v4
	v_add_u32_e32 v11, 19, v10
	v_lshrrev_b32_e32 v2, 23, v14
	v_and_b32_e32 v5, 0, v5
	v_lshlrev_b64 v[12:13], v11, 1
	v_add3_u32 v11, v10, v16, v2
	v_bfe_u32 v2, v14, 20, 1
	v_add_u32_e32 v2, -1, v2
	v_cmp_eq_u64_e32 vcc, v[4:5], v[12:13]
	v_cndmask_b32_e32 v2, 0, v2, vcc
	v_add_u32_e32 v2, v2, v14
	v_and_b32_e32 v2, 0xfffff, v2
	v_add_co_u32_e32 v4, vcc, v2, v14
	v_add_u32_e32 v10, 6, v11
	v_addc_co_u32_e32 v5, vcc, 0, v15, vcc
	v_cmp_ne_u32_e32 vcc, 0, v10
                                        ; implicit-def: $vgpr2
	s_and_saveexec_b64 s[0:1], vcc
	s_xor_b64 s[0:1], exec, s[0:1]
; %bb.49:                               ;   in Loop: Header=BB89_45 Depth=1
	v_add_u32_e32 v2, 7, v11
	v_cmp_lt_u64_e32 vcc, s[8:9], v[4:5]
	v_cndmask_b32_e32 v2, v10, v2, vcc
	v_cndmask_b32_e64 v10, 0, 1, vcc
	v_lshrrev_b64 v[4:5], v10, v[4:5]
; %bb.50:                               ;   in Loop: Header=BB89_45 Depth=1
	s_andn2_saveexec_b64 s[0:1], s[0:1]
; %bb.51:                               ;   in Loop: Header=BB89_45 Depth=1
	v_bfe_u32 v2, v4, 23, 1
; %bb.52:                               ;   in Loop: Header=BB89_45 Depth=1
	s_or_b64 exec, exec, s[0:1]
	v_lshrrev_b64 v[4:5], 20, v[4:5]
	v_cmp_gt_i32_e32 vcc, 16, v2
	v_cndmask_b32_e32 v5, 0, v5, vcc
	v_cndmask_b32_e32 v4, 7, v4, vcc
	v_cmp_ne_u32_e32 vcc, 0, v2
	v_cmp_ne_u64_e64 s[0:1], 0, v[4:5]
	s_or_b64 s[0:1], vcc, s[0:1]
                                        ; implicit-def: $vgpr5
	s_and_saveexec_b64 s[26:27], s[0:1]
	s_xor_b64 s[0:1], exec, s[26:27]
; %bb.53:                               ;   in Loop: Header=BB89_45 Depth=1
	v_min_i32_e32 v2, 15, v2
	v_lshl_or_b32 v2, v2, 3, v9
	v_and_or_b32 v5, v4, 7, v2
                                        ; implicit-def: $vgpr9
; %bb.54:                               ;   in Loop: Header=BB89_45 Depth=1
	s_andn2_saveexec_b64 s[0:1], s[0:1]
; %bb.55:                               ;   in Loop: Header=BB89_45 Depth=1
	v_mov_b32_e32 v5, v9
; %bb.56:                               ;   in Loop: Header=BB89_45 Depth=1
	s_or_b64 exec, exec, s[0:1]
.LBB89_57:                              ;   in Loop: Header=BB89_45 Depth=1
	s_or_b64 exec, exec, s[16:17]
.LBB89_58:                              ;   in Loop: Header=BB89_45 Depth=1
	s_andn2_saveexec_b64 s[0:1], s[14:15]
	s_or_b64 exec, exec, s[0:1]
                                        ; implicit-def: $vgpr4
.LBB89_59:                              ;   in Loop: Header=BB89_45 Depth=1
	s_andn2_saveexec_b64 s[0:1], s[12:13]
	s_cbranch_execz .LBB89_44
; %bb.60:                               ;   in Loop: Header=BB89_45 Depth=1
	v_or_b32_sdwa v4, v4, s24 dst_sel:DWORD dst_unused:UNUSED_PAD src0_sel:BYTE_3 src1_sel:DWORD
	v_cmp_eq_u64_e32 vcc, 0, v[2:3]
	v_cndmask_b32_e32 v5, v4, v5, vcc
	s_branch .LBB89_44
.LBB89_61:
	s_endpgm
.LBB89_62:
                                        ; implicit-def: $sgpr22_sgpr23
	s_branch .LBB89_6
	.section	.rodata,"a",@progbits
	.p2align	6, 0x0
	.amdhsa_kernel _ZN4vllm38concat_and_cache_mla_rope_fused_kernelIN3c108BFloat16ES2_Lb0EthLNS_18Fp8KVCacheDataTypeE1EEEvPKlPT_S7_PKS6_PKT0_illlliPT3_S5_iiiiPKf
		.amdhsa_group_segment_fixed_size 0
		.amdhsa_private_segment_fixed_size 0
		.amdhsa_kernarg_size 384
		.amdhsa_user_sgpr_count 6
		.amdhsa_user_sgpr_private_segment_buffer 1
		.amdhsa_user_sgpr_dispatch_ptr 0
		.amdhsa_user_sgpr_queue_ptr 0
		.amdhsa_user_sgpr_kernarg_segment_ptr 1
		.amdhsa_user_sgpr_dispatch_id 0
		.amdhsa_user_sgpr_flat_scratch_init 0
		.amdhsa_user_sgpr_kernarg_preload_length 0
		.amdhsa_user_sgpr_kernarg_preload_offset 0
		.amdhsa_user_sgpr_private_segment_size 0
		.amdhsa_uses_dynamic_stack 0
		.amdhsa_system_sgpr_private_segment_wavefront_offset 0
		.amdhsa_system_sgpr_workgroup_id_x 1
		.amdhsa_system_sgpr_workgroup_id_y 0
		.amdhsa_system_sgpr_workgroup_id_z 0
		.amdhsa_system_sgpr_workgroup_info 0
		.amdhsa_system_vgpr_workitem_id 0
		.amdhsa_next_free_vgpr 26
		.amdhsa_next_free_sgpr 56
		.amdhsa_accum_offset 28
		.amdhsa_reserve_vcc 1
		.amdhsa_reserve_flat_scratch 0
		.amdhsa_float_round_mode_32 0
		.amdhsa_float_round_mode_16_64 0
		.amdhsa_float_denorm_mode_32 3
		.amdhsa_float_denorm_mode_16_64 3
		.amdhsa_dx10_clamp 1
		.amdhsa_ieee_mode 1
		.amdhsa_fp16_overflow 0
		.amdhsa_tg_split 0
		.amdhsa_exception_fp_ieee_invalid_op 0
		.amdhsa_exception_fp_denorm_src 0
		.amdhsa_exception_fp_ieee_div_zero 0
		.amdhsa_exception_fp_ieee_overflow 0
		.amdhsa_exception_fp_ieee_underflow 0
		.amdhsa_exception_fp_ieee_inexact 0
		.amdhsa_exception_int_div_zero 0
	.end_amdhsa_kernel
	.section	.text._ZN4vllm38concat_and_cache_mla_rope_fused_kernelIN3c108BFloat16ES2_Lb0EthLNS_18Fp8KVCacheDataTypeE1EEEvPKlPT_S7_PKS6_PKT0_illlliPT3_S5_iiiiPKf,"axG",@progbits,_ZN4vllm38concat_and_cache_mla_rope_fused_kernelIN3c108BFloat16ES2_Lb0EthLNS_18Fp8KVCacheDataTypeE1EEEvPKlPT_S7_PKS6_PKT0_illlliPT3_S5_iiiiPKf,comdat
.Lfunc_end89:
	.size	_ZN4vllm38concat_and_cache_mla_rope_fused_kernelIN3c108BFloat16ES2_Lb0EthLNS_18Fp8KVCacheDataTypeE1EEEvPKlPT_S7_PKS6_PKT0_illlliPT3_S5_iiiiPKf, .Lfunc_end89-_ZN4vllm38concat_and_cache_mla_rope_fused_kernelIN3c108BFloat16ES2_Lb0EthLNS_18Fp8KVCacheDataTypeE1EEEvPKlPT_S7_PKS6_PKT0_illlliPT3_S5_iiiiPKf
                                        ; -- End function
	.section	.AMDGPU.csdata,"",@progbits
; Kernel info:
; codeLenInByte = 4188
; NumSgprs: 60
; NumVgprs: 26
; NumAgprs: 0
; TotalNumVgprs: 26
; ScratchSize: 0
; MemoryBound: 0
; FloatMode: 240
; IeeeMode: 1
; LDSByteSize: 0 bytes/workgroup (compile time only)
; SGPRBlocks: 7
; VGPRBlocks: 3
; NumSGPRsForWavesPerEU: 60
; NumVGPRsForWavesPerEU: 26
; AccumOffset: 28
; Occupancy: 8
; WaveLimiterHint : 1
; COMPUTE_PGM_RSRC2:SCRATCH_EN: 0
; COMPUTE_PGM_RSRC2:USER_SGPR: 6
; COMPUTE_PGM_RSRC2:TRAP_HANDLER: 0
; COMPUTE_PGM_RSRC2:TGID_X_EN: 1
; COMPUTE_PGM_RSRC2:TGID_Y_EN: 0
; COMPUTE_PGM_RSRC2:TGID_Z_EN: 0
; COMPUTE_PGM_RSRC2:TIDIG_COMP_CNT: 0
; COMPUTE_PGM_RSRC3_GFX90A:ACCUM_OFFSET: 6
; COMPUTE_PGM_RSRC3_GFX90A:TG_SPLIT: 0
	.section	.text._ZN4vllm38concat_and_cache_mla_rope_fused_kernelIffLb1E14__hip_bfloat16hLNS_18Fp8KVCacheDataTypeE1EEEvPKlPT_S6_PKS5_PKT0_illlliPT3_S4_iiiiPKf,"axG",@progbits,_ZN4vllm38concat_and_cache_mla_rope_fused_kernelIffLb1E14__hip_bfloat16hLNS_18Fp8KVCacheDataTypeE1EEEvPKlPT_S6_PKS5_PKT0_illlliPT3_S4_iiiiPKf,comdat
	.protected	_ZN4vllm38concat_and_cache_mla_rope_fused_kernelIffLb1E14__hip_bfloat16hLNS_18Fp8KVCacheDataTypeE1EEEvPKlPT_S6_PKS5_PKT0_illlliPT3_S4_iiiiPKf ; -- Begin function _ZN4vllm38concat_and_cache_mla_rope_fused_kernelIffLb1E14__hip_bfloat16hLNS_18Fp8KVCacheDataTypeE1EEEvPKlPT_S6_PKS5_PKT0_illlliPT3_S4_iiiiPKf
	.globl	_ZN4vllm38concat_and_cache_mla_rope_fused_kernelIffLb1E14__hip_bfloat16hLNS_18Fp8KVCacheDataTypeE1EEEvPKlPT_S6_PKS5_PKT0_illlliPT3_S4_iiiiPKf
	.p2align	8
	.type	_ZN4vllm38concat_and_cache_mla_rope_fused_kernelIffLb1E14__hip_bfloat16hLNS_18Fp8KVCacheDataTypeE1EEEvPKlPT_S6_PKS5_PKT0_illlliPT3_S4_iiiiPKf,@function
_ZN4vllm38concat_and_cache_mla_rope_fused_kernelIffLb1E14__hip_bfloat16hLNS_18Fp8KVCacheDataTypeE1EEEvPKlPT_S6_PKS5_PKT0_illlliPT3_S4_iiiiPKf: ; @_ZN4vllm38concat_and_cache_mla_rope_fused_kernelIffLb1E14__hip_bfloat16hLNS_18Fp8KVCacheDataTypeE1EEEvPKlPT_S6_PKS5_PKT0_illlliPT3_S4_iiiiPKf
; %bb.0:
	s_load_dwordx2 s[2:3], s[4:5], 0x60
	s_mov_b32 s7, 0
	s_lshl_b64 s[0:1], s[6:7], 3
	s_waitcnt lgkmcnt(0)
	s_add_u32 s2, s2, s0
	s_addc_u32 s3, s3, s1
	s_load_dwordx2 s[26:27], s[2:3], 0x0
	s_waitcnt lgkmcnt(0)
	v_cmp_lt_i64_e64 s[2:3], s[26:27], 0
	s_and_b64 vcc, exec, s[2:3]
	s_cbranch_vccnz .LBB90_61
; %bb.1:
	s_load_dword s22, s[4:5], 0x28
	s_load_dwordx2 s[2:3], s[4:5], 0x0
	s_load_dwordx4 s[16:19], s[4:5], 0x10
	s_waitcnt lgkmcnt(0)
	s_ashr_i32 s7, s22, 31
	s_add_u32 s0, s2, s0
	s_addc_u32 s1, s3, s1
	s_load_dwordx2 s[20:21], s[0:1], 0x0
	s_load_dwordx2 s[28:29], s[4:5], 0x20
	s_load_dwordx8 s[8:15], s[4:5], 0x30
	s_load_dwordx2 s[2:3], s[4:5], 0x58
	s_load_dword s23, s[4:5], 0x50
	s_waitcnt lgkmcnt(0)
	s_mul_i32 s0, s20, s7
	s_mul_hi_u32 s1, s20, s22
	s_mul_i32 s7, s21, s22
	s_add_i32 s0, s1, s0
	s_add_i32 s1, s0, s7
	s_mul_i32 s0, s20, s22
	s_lshl_b64 s[30:31], s[0:1], 2
	s_add_u32 s7, s28, s30
	s_addc_u32 s33, s29, s31
	s_lshr_b32 s0, s22, 31
	s_add_i32 s22, s22, s0
	s_ashr_i32 s20, s22, 1
	s_mul_i32 s24, s20, s23
	v_cmp_gt_i32_e32 vcc, s24, v0
	s_and_saveexec_b64 s[0:1], vcc
	s_cbranch_execz .LBB90_4
; %bb.2:
	s_load_dwordx2 s[22:23], s[4:5], 0x8
	s_load_dword s35, s[4:5], 0x8c
	s_mul_i32 s9, s6, s9
	s_mul_hi_u32 s25, s6, s8
	s_add_i32 s9, s25, s9
	s_mul_i32 s8, s6, s8
	s_ashr_i32 s21, s20, 31
	s_lshl_b64 s[8:9], s[8:9], 2
	s_waitcnt lgkmcnt(0)
	s_add_u32 s25, s22, s8
	s_addc_u32 s37, s23, s9
	s_abs_i32 s34, s20
	v_cvt_f32_u32_e32 v1, s34
	s_sub_i32 s22, 0, s34
	s_mov_b64 s[8:9], 0
	s_and_b32 s35, s35, 0xffff
	v_rcp_iflag_f32_e32 v2, v1
	v_mov_b32_e32 v1, s33
	s_sub_i32 s36, 0, s20
	v_mov_b32_e32 v5, s37
	v_mul_f32_e32 v2, 0x4f7ffffe, v2
	v_cvt_u32_f32_e32 v2, v2
	v_mul_lo_u32 v3, s22, v2
	v_mul_hi_u32 v3, v2, v3
	s_lshl_b64 s[22:23], s[20:21], 2
	v_add_u32_e32 v3, v2, v3
	v_mov_b32_e32 v4, s23
	v_mov_b32_e32 v2, v0
.LBB90_3:                               ; =>This Inner Loop Header: Depth=1
	v_sub_u32_e32 v7, 0, v2
	v_max_i32_e32 v7, v2, v7
	v_mul_hi_u32 v8, v7, v3
	v_mul_lo_u32 v9, v8, s34
	v_sub_u32_e32 v7, v7, v9
	v_add_u32_e32 v10, 1, v8
	v_cmp_le_u32_e32 vcc, s34, v7
	v_subrev_u32_e32 v9, s34, v7
	v_cndmask_b32_e32 v8, v8, v10, vcc
	v_cndmask_b32_e32 v7, v7, v9, vcc
	v_ashrrev_i32_e32 v6, 31, v2
	v_add_u32_e32 v9, 1, v8
	v_cmp_le_u32_e32 vcc, s34, v7
	v_xor_b32_e32 v6, s21, v6
	v_cndmask_b32_e32 v7, v8, v9, vcc
	v_xor_b32_e32 v7, v7, v6
	v_sub_u32_e32 v8, v7, v6
	v_mad_u64_u32 v[6:7], s[38:39], s36, v8, v[2:3]
	v_ashrrev_i32_e32 v10, 31, v8
	v_ashrrev_i32_e32 v7, 31, v6
	v_mul_lo_u32 v11, v8, s11
	v_mad_u64_u32 v[8:9], s[38:39], v8, s10, 0
	v_mul_lo_u32 v10, v10, s10
	v_lshlrev_b64 v[6:7], 2, v[6:7]
	v_add3_u32 v9, v9, v11, v10
	v_add_co_u32_e32 v10, vcc, s7, v6
	v_addc_co_u32_e32 v11, vcc, v1, v7, vcc
	v_add_co_u32_e32 v12, vcc, s22, v10
	v_lshlrev_b64 v[8:9], 2, v[8:9]
	v_addc_co_u32_e32 v13, vcc, v11, v4, vcc
	v_add_co_u32_e32 v8, vcc, s25, v8
	v_addc_co_u32_e32 v9, vcc, v5, v9, vcc
	v_add_co_u32_e32 v6, vcc, v8, v6
	v_addc_co_u32_e32 v7, vcc, v9, v7, vcc
	v_add_co_u32_e32 v8, vcc, s22, v6
	global_load_dword v14, v[10:11], off
	global_load_dword v15, v[12:13], off
	v_addc_co_u32_e32 v9, vcc, v7, v4, vcc
	global_load_dword v10, v[6:7], off
	global_load_dword v11, v[8:9], off
	v_add_u32_e32 v2, s35, v2
	v_cmp_le_i32_e32 vcc, s24, v2
	s_or_b64 s[8:9], vcc, s[8:9]
	s_waitcnt vmcnt(0)
	v_mul_f32_e32 v12, v15, v11
	v_mul_f32_e32 v11, v14, v11
	v_fma_f32 v12, v14, v10, -v12
	v_fmac_f32_e32 v11, v15, v10
	global_store_dword v[6:7], v12, off
	global_store_dword v[8:9], v11, off
	s_andn2_b64 exec, exec, s[8:9]
	s_cbranch_execnz .LBB90_3
.LBB90_4:
	s_or_b64 exec, exec, s[0:1]
	s_load_dwordx4 s[8:11], s[4:5], 0x68
	s_waitcnt lgkmcnt(0)
	s_ashr_i32 s35, s11, 31
	s_mov_b32 s34, s11
	s_or_b64 s[0:1], s[26:27], s[34:35]
	s_mov_b32 s0, 0
	s_cmp_lg_u64 s[0:1], 0
	s_cbranch_scc0 .LBB90_62
; %bb.5:
	s_add_u32 s0, s34, s35
	s_mov_b32 s22, s35
	s_mov_b32 s23, s35
	s_addc_u32 s1, s35, s35
	s_xor_b64 s[36:37], s[0:1], s[22:23]
	v_cvt_f32_u32_e32 v1, s36
	v_cvt_f32_u32_e32 v2, s37
	s_sub_u32 s0, 0, s36
	s_subb_u32 s1, 0, s37
	v_madmk_f32 v1, v2, 0x4f800000, v1
	v_rcp_f32_e32 v1, v1
	v_mul_f32_e32 v1, 0x5f7ffffc, v1
	v_mul_f32_e32 v2, 0x2f800000, v1
	v_trunc_f32_e32 v2, v2
	v_madmk_f32 v1, v2, 0xcf800000, v1
	v_cvt_u32_f32_e32 v2, v2
	v_cvt_u32_f32_e32 v1, v1
	v_readfirstlane_b32 s11, v2
	v_readfirstlane_b32 s21, v1
	s_mul_i32 s38, s0, s11
	s_mul_hi_u32 s40, s0, s21
	s_mul_i32 s39, s1, s21
	s_add_i32 s38, s40, s38
	s_add_i32 s38, s38, s39
	s_mul_i32 s41, s0, s21
	s_mul_hi_u32 s39, s21, s38
	s_mul_i32 s40, s21, s38
	s_mul_hi_u32 s21, s21, s41
	s_add_u32 s21, s21, s40
	s_addc_u32 s39, 0, s39
	s_mul_hi_u32 s42, s11, s41
	s_mul_i32 s41, s11, s41
	s_add_u32 s21, s21, s41
	s_mul_hi_u32 s40, s11, s38
	s_addc_u32 s21, s39, s42
	s_addc_u32 s39, s40, 0
	s_mul_i32 s38, s11, s38
	s_add_u32 s21, s21, s38
	s_addc_u32 s38, 0, s39
	v_add_co_u32_e32 v1, vcc, s21, v1
	s_cmp_lg_u64 vcc, 0
	s_addc_u32 s11, s11, s38
	v_readfirstlane_b32 s38, v1
	s_mul_i32 s21, s0, s11
	s_mul_hi_u32 s39, s0, s38
	s_add_i32 s21, s39, s21
	s_mul_i32 s1, s1, s38
	s_add_i32 s21, s21, s1
	s_mul_i32 s0, s0, s38
	s_mul_hi_u32 s39, s11, s0
	s_mul_i32 s40, s11, s0
	s_mul_i32 s42, s38, s21
	s_mul_hi_u32 s0, s38, s0
	s_mul_hi_u32 s41, s38, s21
	s_add_u32 s0, s0, s42
	s_addc_u32 s38, 0, s41
	s_add_u32 s0, s0, s40
	s_mul_hi_u32 s1, s11, s21
	s_addc_u32 s0, s38, s39
	s_addc_u32 s1, s1, 0
	s_mul_i32 s21, s11, s21
	s_add_u32 s0, s0, s21
	s_addc_u32 s1, 0, s1
	v_add_co_u32_e32 v1, vcc, s0, v1
	s_cmp_lg_u64 vcc, 0
	s_addc_u32 s11, s11, s1
	s_ashr_i32 s38, s27, 31
	s_add_u32 s0, s26, s38
	s_mov_b32 s39, s38
	s_addc_u32 s1, s27, s38
	s_xor_b64 s[40:41], s[0:1], s[38:39]
	v_readfirstlane_b32 s21, v1
	s_mul_i32 s1, s40, s11
	s_mul_hi_u32 s42, s40, s21
	s_mul_hi_u32 s0, s40, s11
	s_add_u32 s1, s42, s1
	s_addc_u32 s0, 0, s0
	s_mul_hi_u32 s43, s41, s21
	s_mul_i32 s21, s41, s21
	s_add_u32 s1, s1, s21
	s_mul_hi_u32 s42, s41, s11
	s_addc_u32 s0, s0, s43
	s_addc_u32 s1, s42, 0
	s_mul_i32 s11, s41, s11
	s_add_u32 s11, s0, s11
	s_addc_u32 s21, 0, s1
	s_mul_i32 s0, s36, s21
	s_mul_hi_u32 s1, s36, s11
	s_add_i32 s0, s1, s0
	s_mul_i32 s1, s37, s11
	s_add_i32 s42, s0, s1
	s_mul_i32 s1, s36, s11
	v_mov_b32_e32 v1, s1
	s_sub_i32 s0, s41, s42
	v_sub_co_u32_e32 v1, vcc, s40, v1
	s_cmp_lg_u64 vcc, 0
	s_subb_u32 s40, s0, s37
	v_subrev_co_u32_e64 v2, s[0:1], s36, v1
	s_cmp_lg_u64 s[0:1], 0
	s_subb_u32 s0, s40, 0
	s_cmp_ge_u32 s0, s37
	v_readfirstlane_b32 s40, v2
	s_cselect_b32 s1, -1, 0
	s_cmp_ge_u32 s40, s36
	s_cselect_b32 s40, -1, 0
	s_cmp_eq_u32 s0, s37
	s_cselect_b32 s0, s40, s1
	s_add_u32 s1, s11, 1
	s_addc_u32 s40, s21, 0
	s_add_u32 s43, s11, 2
	s_addc_u32 s44, s21, 0
	s_cmp_lg_u32 s0, 0
	s_cselect_b32 s0, s43, s1
	s_cselect_b32 s1, s44, s40
	s_cmp_lg_u64 vcc, 0
	s_subb_u32 s40, s41, s42
	s_cmp_ge_u32 s40, s37
	v_readfirstlane_b32 s42, v1
	s_cselect_b32 s41, -1, 0
	s_cmp_ge_u32 s42, s36
	s_cselect_b32 s36, -1, 0
	s_cmp_eq_u32 s40, s37
	s_cselect_b32 s36, s36, s41
	s_cmp_lg_u32 s36, 0
	s_cselect_b32 s1, s1, s21
	s_cselect_b32 s0, s0, s11
	s_xor_b64 s[22:23], s[38:39], s[22:23]
	s_xor_b64 s[0:1], s[0:1], s[22:23]
	s_sub_u32 s22, s0, s22
	s_subb_u32 s23, s1, s23
	s_cbranch_execnz .LBB90_7
.LBB90_6:
	v_cvt_f32_u32_e32 v1, s34
	s_sub_i32 s0, 0, s34
	s_mov_b32 s23, 0
	v_rcp_iflag_f32_e32 v1, v1
	v_mul_f32_e32 v1, 0x4f7ffffe, v1
	v_cvt_u32_f32_e32 v1, v1
	v_readfirstlane_b32 s1, v1
	s_mul_i32 s0, s0, s1
	s_mul_hi_u32 s0, s1, s0
	s_add_i32 s1, s1, s0
	s_mul_hi_u32 s0, s26, s1
	s_mul_i32 s11, s0, s34
	s_sub_i32 s11, s26, s11
	s_add_i32 s1, s0, 1
	s_sub_i32 s21, s11, s34
	s_cmp_ge_u32 s11, s34
	s_cselect_b32 s0, s1, s0
	s_cselect_b32 s11, s21, s11
	s_add_i32 s1, s0, 1
	s_cmp_ge_u32 s11, s34
	s_cselect_b32 s22, s1, s0
.LBB90_7:
	s_mul_i32 s0, s22, s35
	s_mul_hi_u32 s1, s22, s34
	s_load_dwordx2 s[24:25], s[4:5], 0x78
	s_add_i32 s0, s1, s0
	s_mul_i32 s1, s23, s34
	s_add_i32 s0, s0, s1
	s_mul_i32 s1, s22, s34
	s_sub_u32 s11, s26, s1
	s_subb_u32 s0, s27, s0
	v_cmp_gt_i32_e32 vcc, s20, v0
	s_mul_hi_u32 s42, s22, s8
	s_mul_i32 s43, s23, s8
	s_mul_i32 s44, s22, s8
	s_mul_hi_u32 s41, s11, s9
	s_mul_i32 s23, s0, s9
	s_mul_i32 s40, s11, s9
	s_and_saveexec_b64 s[26:27], vcc
	s_cbranch_execz .LBB90_42
; %bb.8:
	s_mul_i32 s0, s6, s13
	s_mul_hi_u32 s1, s6, s12
	s_add_i32 s1, s1, s0
	s_mul_i32 s0, s6, s12
	s_ashr_i32 s21, s20, 31
	s_lshl_b64 s[0:1], s[0:1], 2
	s_add_u32 s45, s16, s0
	s_addc_u32 s46, s17, s1
	s_ashr_i32 s12, s8, 31
	s_load_dword s13, s[4:5], 0x8c
	s_mul_i32 s12, s22, s12
	s_add_i32 s12, s42, s12
	s_add_i32 s34, s12, s43
	s_ashr_i32 s12, s9, 31
	s_mul_i32 s12, s11, s12
	s_add_i32 s12, s41, s12
	s_waitcnt lgkmcnt(0)
	s_and_b32 s48, s13, 0xffff
	s_add_i32 s35, s12, s23
	s_ashr_i32 s36, s10, 31
	s_lshl_b32 s50, s48, 2
	s_lshl_b64 s[12:13], s[20:21], 2
	s_add_u32 s30, s30, s12
	s_addc_u32 s31, s31, s13
	s_add_u32 s51, s28, s30
	s_addc_u32 s52, s29, s31
	;; [unrolled: 2-line block ×5, first 2 shown]
	s_add_u32 s0, s0, s10
	s_load_dword s47, s[24:25], 0x0
	s_addc_u32 s1, s1, s36
	s_add_u32 s0, s2, s0
	s_addc_u32 s1, s3, s1
	v_mov_b32_e32 v1, s1
	v_add_co_u32_e32 v6, vcc, s0, v0
	s_mov_b32 s49, 0
	v_mov_b32_e32 v3, 0
	v_lshlrev_b32_e32 v4, 2, v0
	v_addc_co_u32_e32 v7, vcc, 0, v1, vcc
	s_mov_b64 s[12:13], 0
	s_movk_i32 s55, 0x80
	s_mov_b64 s[16:17], 0x7f800000
	s_mov_b64 s[28:29], 0x43e00001
	s_movk_i32 s56, 0x7a
	s_mov_b64 s[30:31], 0xffffff
	s_movk_i32 s57, 0x7f
	v_mov_b32_e32 v1, 0xffffff82
	v_mov_b32_e32 v5, 0x78
	;; [unrolled: 1-line block ×3, first 2 shown]
	s_branch .LBB90_10
.LBB90_9:                               ;   in Loop: Header=BB90_10 Depth=1
	s_or_b64 exec, exec, s[0:1]
	s_add_u32 s7, s7, s50
	s_addc_u32 s33, s33, 0
	s_add_u32 s51, s51, s50
	s_addc_u32 s52, s52, 0
	s_add_u32 s53, s53, s50
	v_mov_b32_e32 v2, s21
	v_add_co_u32_e32 v12, vcc, s20, v6
	s_addc_u32 s54, s54, 0
	v_addc_co_u32_e32 v13, vcc, v7, v2, vcc
	v_add_u32_e32 v10, s48, v10
	s_add_u32 s45, s45, s50
	s_addc_u32 s46, s46, 0
	v_cmp_le_i32_e32 vcc, s20, v10
	v_mov_b32_e32 v2, s49
	s_or_b64 s[12:13], vcc, s[12:13]
	v_add_co_u32_e32 v6, vcc, s48, v6
	v_addc_co_u32_e32 v7, vcc, v7, v2, vcc
	global_store_byte v[12:13], v9, off
	s_andn2_b64 exec, exec, s[12:13]
	s_cbranch_execz .LBB90_42
.LBB90_10:                              ; =>This Inner Loop Header: Depth=1
	v_mov_b32_e32 v2, s33
	v_add_co_u32_e32 v8, vcc, s7, v4
	v_addc_co_u32_e32 v9, vcc, 0, v2, vcc
	global_load_dword v2, v[8:9], off
	v_mov_b32_e32 v9, s52
	v_add_co_u32_e32 v8, vcc, s51, v4
	v_addc_co_u32_e32 v9, vcc, 0, v9, vcc
	global_load_dword v14, v[8:9], off
	v_mov_b32_e32 v9, s54
	v_add_co_u32_e32 v8, vcc, s53, v4
	v_addc_co_u32_e32 v9, vcc, 0, v9, vcc
	v_mov_b32_e32 v11, s46
	v_add_co_u32_e32 v12, vcc, s45, v4
	global_load_dword v16, v[8:9], off
	v_addc_co_u32_e32 v13, vcc, 0, v11, vcc
	global_load_dword v17, v[12:13], off
	v_mov_b32_e32 v15, v3
	s_waitcnt vmcnt(1)
	v_mul_f32_e32 v18, v14, v16
	v_mul_f32_e32 v11, v2, v16
	s_waitcnt vmcnt(0)
	v_fma_f32 v2, v2, v17, -v18
	global_store_dword v[12:13], v2, off
	v_lshlrev_b32_e32 v2, 16, v2
	s_waitcnt lgkmcnt(0)
	v_div_scale_f32 v12, s[0:1], s47, s47, v2
	v_rcp_f32_e32 v13, v12
	v_fmac_f32_e32 v11, v14, v17
	global_store_dword v[8:9], v11, off
	v_div_scale_f32 v8, vcc, v2, s47, v2
	v_fma_f32 v9, -v12, v13, 1.0
	v_fmac_f32_e32 v13, v9, v13
	v_mul_f32_e32 v9, v8, v13
	v_fma_f32 v14, -v12, v9, v8
	v_fmac_f32_e32 v9, v14, v13
	v_fma_f32 v8, -v12, v9, v8
	v_div_fmas_f32 v8, v8, v13, v9
	v_div_fixup_f32 v8, v8, s47, v2
	v_and_b32_sdwa v12, v8, s55 dst_sel:DWORD dst_unused:UNUSED_PAD src0_sel:BYTE_3 src1_sel:DWORD
	v_and_b32_e32 v14, 0x7f800000, v8
	v_and_b32_e32 v2, 0x7fffff, v8
	v_or_b32_e32 v9, 0x7e, v12
	v_cmp_ne_u64_e32 vcc, s[16:17], v[14:15]
	s_and_saveexec_b64 s[0:1], vcc
	s_xor_b64 s[34:35], exec, s[0:1]
	s_cbranch_execz .LBB90_24
; %bb.11:                               ;   in Loop: Header=BB90_10 Depth=1
	v_and_b32_e32 v14, 0x7fffffff, v8
	v_mov_b32_e32 v15, v3
	v_cmp_gt_u64_e32 vcc, s[28:29], v[14:15]
	s_and_saveexec_b64 s[0:1], vcc
	s_xor_b64 s[36:37], exec, s[0:1]
	s_cbranch_execz .LBB90_23
; %bb.12:                               ;   in Loop: Header=BB90_10 Depth=1
	v_cmp_ne_u32_e32 vcc, 0, v8
	v_mov_b32_e32 v9, 0
	s_and_saveexec_b64 s[38:39], vcc
	s_cbranch_execz .LBB90_22
; %bb.13:                               ;   in Loop: Header=BB90_10 Depth=1
	v_bfe_u32 v8, v8, 23, 8
	v_sub_u32_e32 v13, 0x79, v8
	v_cmp_gt_u32_e32 vcc, s56, v8
	v_cndmask_b32_e32 v13, 0, v13, vcc
	v_cmp_eq_u32_e32 vcc, 0, v8
	v_cndmask_b32_e32 v13, v13, v5, vcc
	v_add_u32_e32 v9, 0xffffff81, v8
	v_or_b32_e32 v14, 0x800000, v2
	v_add_u32_e32 v8, 20, v13
	v_cndmask_b32_e32 v15, v9, v1, vcc
	v_cndmask_b32_e32 v2, v14, v2, vcc
	v_lshlrev_b64 v[8:9], v8, -1
	v_not_b32_e32 v8, v8
	v_lshrrev_b64 v[18:19], v13, v[2:3]
	v_not_b32_e32 v9, v9
	v_and_b32_e32 v8, v2, v8
	v_add_u32_e32 v14, 19, v13
	v_lshrrev_b32_e32 v2, 23, v18
	v_and_b32_e32 v9, 0, v9
	v_lshlrev_b64 v[16:17], v14, 1
	v_add3_u32 v14, v13, v15, v2
	v_bfe_u32 v2, v18, 20, 1
	v_add_u32_e32 v2, -1, v2
	v_cmp_eq_u64_e32 vcc, v[8:9], v[16:17]
	v_cndmask_b32_e32 v2, 0, v2, vcc
	v_add_u32_e32 v2, v2, v18
	v_and_b32_e32 v2, 0xfffff, v2
	v_add_co_u32_e32 v8, vcc, v2, v18
	v_add_u32_e32 v13, 6, v14
	v_addc_co_u32_e32 v9, vcc, 0, v19, vcc
	v_cmp_ne_u32_e32 vcc, 0, v13
                                        ; implicit-def: $vgpr2
	s_and_saveexec_b64 s[0:1], vcc
	s_xor_b64 s[0:1], exec, s[0:1]
; %bb.14:                               ;   in Loop: Header=BB90_10 Depth=1
	v_add_u32_e32 v2, 7, v14
	v_cmp_lt_u64_e32 vcc, s[30:31], v[8:9]
	v_cndmask_b32_e32 v2, v13, v2, vcc
	v_cndmask_b32_e64 v13, 0, 1, vcc
	v_lshrrev_b64 v[8:9], v13, v[8:9]
; %bb.15:                               ;   in Loop: Header=BB90_10 Depth=1
	s_andn2_saveexec_b64 s[0:1], s[0:1]
; %bb.16:                               ;   in Loop: Header=BB90_10 Depth=1
	v_bfe_u32 v2, v8, 23, 1
; %bb.17:                               ;   in Loop: Header=BB90_10 Depth=1
	s_or_b64 exec, exec, s[0:1]
	v_lshrrev_b64 v[8:9], 20, v[8:9]
	v_cmp_gt_i32_e32 vcc, 16, v2
	v_cndmask_b32_e32 v9, 0, v9, vcc
	v_cndmask_b32_e32 v8, 7, v8, vcc
	v_cmp_ne_u32_e32 vcc, 0, v2
	v_cmp_ne_u64_e64 s[0:1], 0, v[8:9]
	s_or_b64 s[0:1], vcc, s[0:1]
                                        ; implicit-def: $vgpr9
	s_and_saveexec_b64 s[58:59], s[0:1]
	s_xor_b64 s[0:1], exec, s[58:59]
; %bb.18:                               ;   in Loop: Header=BB90_10 Depth=1
	v_min_i32_e32 v2, 15, v2
	v_lshl_or_b32 v2, v2, 3, v12
	v_and_or_b32 v9, v8, 7, v2
                                        ; implicit-def: $vgpr12
; %bb.19:                               ;   in Loop: Header=BB90_10 Depth=1
	s_andn2_saveexec_b64 s[0:1], s[0:1]
; %bb.20:                               ;   in Loop: Header=BB90_10 Depth=1
	v_mov_b32_e32 v9, v12
; %bb.21:                               ;   in Loop: Header=BB90_10 Depth=1
	s_or_b64 exec, exec, s[0:1]
.LBB90_22:                              ;   in Loop: Header=BB90_10 Depth=1
	s_or_b64 exec, exec, s[38:39]
.LBB90_23:                              ;   in Loop: Header=BB90_10 Depth=1
	s_andn2_saveexec_b64 s[0:1], s[36:37]
	s_or_b64 exec, exec, s[0:1]
                                        ; implicit-def: $vgpr8
.LBB90_24:                              ;   in Loop: Header=BB90_10 Depth=1
	s_andn2_saveexec_b64 s[0:1], s[34:35]
; %bb.25:                               ;   in Loop: Header=BB90_10 Depth=1
	v_or_b32_sdwa v8, v8, s57 dst_sel:DWORD dst_unused:UNUSED_PAD src0_sel:BYTE_3 src1_sel:DWORD
	v_cmp_eq_u64_e32 vcc, 0, v[2:3]
	v_cndmask_b32_e32 v9, v8, v9, vcc
; %bb.26:                               ;   in Loop: Header=BB90_10 Depth=1
	s_or_b64 exec, exec, s[0:1]
	v_lshlrev_b32_e32 v2, 16, v11
	v_div_scale_f32 v8, s[0:1], s47, s47, v2
	v_rcp_f32_e32 v11, v8
	global_store_byte v[6:7], v9, off
	v_fma_f32 v9, -v8, v11, 1.0
	v_fmac_f32_e32 v11, v9, v11
	v_div_scale_f32 v9, vcc, v2, s47, v2
	v_mul_f32_e32 v12, v9, v11
	v_fma_f32 v13, -v8, v12, v9
	v_fmac_f32_e32 v12, v13, v11
	v_fma_f32 v8, -v8, v12, v9
	v_div_fmas_f32 v8, v8, v11, v12
	v_div_fixup_f32 v8, v8, s47, v2
	v_and_b32_sdwa v11, v8, s55 dst_sel:DWORD dst_unused:UNUSED_PAD src0_sel:BYTE_3 src1_sel:DWORD
	v_and_b32_e32 v12, 0x7f800000, v8
	v_mov_b32_e32 v13, v3
	v_and_b32_e32 v2, 0x7fffff, v8
	v_or_b32_e32 v9, 0x7e, v11
	v_cmp_ne_u64_e32 vcc, s[16:17], v[12:13]
	s_and_saveexec_b64 s[0:1], vcc
	s_xor_b64 s[34:35], exec, s[0:1]
	s_cbranch_execz .LBB90_40
; %bb.27:                               ;   in Loop: Header=BB90_10 Depth=1
	v_and_b32_e32 v12, 0x7fffffff, v8
	v_mov_b32_e32 v13, v3
	v_cmp_gt_u64_e32 vcc, s[28:29], v[12:13]
	s_and_saveexec_b64 s[0:1], vcc
	s_xor_b64 s[36:37], exec, s[0:1]
	s_cbranch_execz .LBB90_39
; %bb.28:                               ;   in Loop: Header=BB90_10 Depth=1
	v_cmp_ne_u32_e32 vcc, 0, v8
	v_mov_b32_e32 v9, 0
	s_and_saveexec_b64 s[38:39], vcc
	s_cbranch_execz .LBB90_38
; %bb.29:                               ;   in Loop: Header=BB90_10 Depth=1
	v_bfe_u32 v8, v8, 23, 8
	v_sub_u32_e32 v12, 0x79, v8
	v_cmp_gt_u32_e32 vcc, s56, v8
	v_cndmask_b32_e32 v12, 0, v12, vcc
	v_cmp_eq_u32_e32 vcc, 0, v8
	v_cndmask_b32_e32 v12, v12, v5, vcc
	v_add_u32_e32 v9, 0xffffff81, v8
	v_or_b32_e32 v13, 0x800000, v2
	v_add_u32_e32 v8, 20, v12
	v_cndmask_b32_e32 v18, v9, v1, vcc
	v_cndmask_b32_e32 v2, v13, v2, vcc
	v_lshlrev_b64 v[8:9], v8, -1
	v_not_b32_e32 v8, v8
	v_lshrrev_b64 v[16:17], v12, v[2:3]
	v_not_b32_e32 v9, v9
	v_and_b32_e32 v8, v2, v8
	v_add_u32_e32 v13, 19, v12
	v_lshrrev_b32_e32 v2, 23, v16
	v_and_b32_e32 v9, 0, v9
	v_lshlrev_b64 v[14:15], v13, 1
	v_add3_u32 v13, v12, v18, v2
	v_bfe_u32 v2, v16, 20, 1
	v_add_u32_e32 v2, -1, v2
	v_cmp_eq_u64_e32 vcc, v[8:9], v[14:15]
	v_cndmask_b32_e32 v2, 0, v2, vcc
	v_add_u32_e32 v2, v2, v16
	v_and_b32_e32 v2, 0xfffff, v2
	v_add_co_u32_e32 v8, vcc, v2, v16
	v_add_u32_e32 v12, 6, v13
	v_addc_co_u32_e32 v9, vcc, 0, v17, vcc
	v_cmp_ne_u32_e32 vcc, 0, v12
                                        ; implicit-def: $vgpr2
	s_and_saveexec_b64 s[0:1], vcc
	s_xor_b64 s[0:1], exec, s[0:1]
; %bb.30:                               ;   in Loop: Header=BB90_10 Depth=1
	v_add_u32_e32 v2, 7, v13
	v_cmp_lt_u64_e32 vcc, s[30:31], v[8:9]
	v_cndmask_b32_e32 v2, v12, v2, vcc
	v_cndmask_b32_e64 v12, 0, 1, vcc
	v_lshrrev_b64 v[8:9], v12, v[8:9]
; %bb.31:                               ;   in Loop: Header=BB90_10 Depth=1
	s_andn2_saveexec_b64 s[0:1], s[0:1]
; %bb.32:                               ;   in Loop: Header=BB90_10 Depth=1
	v_bfe_u32 v2, v8, 23, 1
; %bb.33:                               ;   in Loop: Header=BB90_10 Depth=1
	s_or_b64 exec, exec, s[0:1]
	v_lshrrev_b64 v[8:9], 20, v[8:9]
	v_cmp_gt_i32_e32 vcc, 16, v2
	v_cndmask_b32_e32 v9, 0, v9, vcc
	v_cndmask_b32_e32 v8, 7, v8, vcc
	v_cmp_ne_u32_e32 vcc, 0, v2
	v_cmp_ne_u64_e64 s[0:1], 0, v[8:9]
	s_or_b64 s[0:1], vcc, s[0:1]
                                        ; implicit-def: $vgpr9
	s_and_saveexec_b64 s[58:59], s[0:1]
	s_xor_b64 s[0:1], exec, s[58:59]
; %bb.34:                               ;   in Loop: Header=BB90_10 Depth=1
	v_min_i32_e32 v2, 15, v2
	v_lshl_or_b32 v2, v2, 3, v11
	v_and_or_b32 v9, v8, 7, v2
                                        ; implicit-def: $vgpr11
; %bb.35:                               ;   in Loop: Header=BB90_10 Depth=1
	s_andn2_saveexec_b64 s[0:1], s[0:1]
; %bb.36:                               ;   in Loop: Header=BB90_10 Depth=1
	v_mov_b32_e32 v9, v11
; %bb.37:                               ;   in Loop: Header=BB90_10 Depth=1
	s_or_b64 exec, exec, s[0:1]
.LBB90_38:                              ;   in Loop: Header=BB90_10 Depth=1
	s_or_b64 exec, exec, s[38:39]
.LBB90_39:                              ;   in Loop: Header=BB90_10 Depth=1
	s_andn2_saveexec_b64 s[0:1], s[36:37]
	s_or_b64 exec, exec, s[0:1]
                                        ; implicit-def: $vgpr8
.LBB90_40:                              ;   in Loop: Header=BB90_10 Depth=1
	s_andn2_saveexec_b64 s[0:1], s[34:35]
	s_cbranch_execz .LBB90_9
; %bb.41:                               ;   in Loop: Header=BB90_10 Depth=1
	v_or_b32_sdwa v8, v8, s57 dst_sel:DWORD dst_unused:UNUSED_PAD src0_sel:BYTE_3 src1_sel:DWORD
	v_cmp_eq_u64_e32 vcc, 0, v[2:3]
	v_cndmask_b32_e32 v9, v8, v9, vcc
	s_branch .LBB90_9
.LBB90_42:
	s_or_b64 exec, exec, s[26:27]
	v_cmp_gt_i32_e32 vcc, s10, v0
	s_and_saveexec_b64 s[0:1], vcc
	s_cbranch_execz .LBB90_61
; %bb.43:
	s_mul_i32 s0, s6, s15
	s_mul_hi_u32 s1, s6, s14
	s_add_i32 s1, s1, s0
	s_mul_i32 s0, s6, s14
	s_lshl_b64 s[0:1], s[0:1], 2
	s_add_u32 s18, s18, s0
	s_addc_u32 s0, s19, s1
	s_ashr_i32 s1, s8, 31
	s_mul_i32 s1, s22, s1
	s_add_i32 s1, s42, s1
	s_add_i32 s1, s1, s43
	s_add_u32 s2, s2, s44
	s_addc_u32 s1, s3, s1
	s_ashr_i32 s3, s9, 31
	s_load_dword s4, s[4:5], 0x8c
	s_mul_i32 s11, s11, s3
	s_waitcnt lgkmcnt(0)
	s_load_dword s20, s[24:25], 0x0
	s_add_i32 s3, s41, s11
	s_add_i32 s3, s3, s23
	s_add_u32 s11, s2, s40
	s_addc_u32 s19, s1, s3
	s_and_b32 s21, s4, 0xffff
	s_mov_b64 s[2:3], 0
	v_mov_b32_e32 v6, s0
	v_mov_b32_e32 v3, 0
	s_movk_i32 s22, 0x80
	s_mov_b64 s[4:5], 0x7f800000
	s_mov_b64 s[6:7], 0x43e00001
	s_movk_i32 s23, 0x7a
	s_mov_b64 s[8:9], 0xffffff
	s_movk_i32 s24, 0x7f
	v_mov_b32_e32 v7, 0xffffff82
	v_mov_b32_e32 v8, 0x78
	s_branch .LBB90_45
.LBB90_44:                              ;   in Loop: Header=BB90_45 Depth=1
	s_or_b64 exec, exec, s[0:1]
	v_mov_b32_e32 v2, s19
	v_add_co_u32_e32 v10, vcc, s11, v0
	v_addc_co_u32_e32 v11, vcc, v2, v1, vcc
	v_add_u32_e32 v0, s21, v0
	v_cmp_le_i32_e32 vcc, s10, v0
	s_or_b64 s[2:3], vcc, s[2:3]
	global_store_byte v[10:11], v5, off
	s_andn2_b64 exec, exec, s[2:3]
	s_cbranch_execz .LBB90_61
.LBB90_45:                              ; =>This Inner Loop Header: Depth=1
	v_ashrrev_i32_e32 v1, 31, v0
	v_lshlrev_b64 v[4:5], 2, v[0:1]
	v_add_co_u32_e32 v4, vcc, s18, v4
	v_addc_co_u32_e32 v5, vcc, v6, v5, vcc
	global_load_ushort v2, v[4:5], off
	v_mov_b32_e32 v11, v3
	s_waitcnt vmcnt(0)
	v_lshlrev_b32_e32 v2, 16, v2
	s_waitcnt lgkmcnt(0)
	v_div_scale_f32 v4, s[0:1], s20, s20, v2
	v_rcp_f32_e32 v5, v4
	v_div_scale_f32 v9, vcc, v2, s20, v2
	v_fma_f32 v10, -v4, v5, 1.0
	v_fmac_f32_e32 v5, v10, v5
	v_mul_f32_e32 v10, v9, v5
	v_fma_f32 v12, -v4, v10, v9
	v_fmac_f32_e32 v10, v12, v5
	v_fma_f32 v4, -v4, v10, v9
	v_div_fmas_f32 v4, v4, v5, v10
	v_div_fixup_f32 v4, v4, s20, v2
	v_and_b32_sdwa v9, v4, s22 dst_sel:DWORD dst_unused:UNUSED_PAD src0_sel:BYTE_3 src1_sel:DWORD
	v_and_b32_e32 v10, 0x7f800000, v4
	v_and_b32_e32 v2, 0x7fffff, v4
	v_or_b32_e32 v5, 0x7e, v9
	v_cmp_ne_u64_e32 vcc, s[4:5], v[10:11]
	s_and_saveexec_b64 s[0:1], vcc
	s_xor_b64 s[12:13], exec, s[0:1]
	s_cbranch_execz .LBB90_59
; %bb.46:                               ;   in Loop: Header=BB90_45 Depth=1
	v_and_b32_e32 v10, 0x7fffffff, v4
	v_mov_b32_e32 v11, v3
	v_cmp_gt_u64_e32 vcc, s[6:7], v[10:11]
	s_and_saveexec_b64 s[0:1], vcc
	s_xor_b64 s[14:15], exec, s[0:1]
	s_cbranch_execz .LBB90_58
; %bb.47:                               ;   in Loop: Header=BB90_45 Depth=1
	v_cmp_ne_u32_e32 vcc, 0, v4
	v_mov_b32_e32 v5, 0
	s_and_saveexec_b64 s[16:17], vcc
	s_cbranch_execz .LBB90_57
; %bb.48:                               ;   in Loop: Header=BB90_45 Depth=1
	v_bfe_u32 v4, v4, 23, 8
	v_sub_u32_e32 v10, 0x79, v4
	v_cmp_gt_u32_e32 vcc, s23, v4
	v_cndmask_b32_e32 v10, 0, v10, vcc
	v_cmp_eq_u32_e32 vcc, 0, v4
	v_cndmask_b32_e32 v10, v10, v8, vcc
	v_add_u32_e32 v5, 0xffffff81, v4
	v_or_b32_e32 v11, 0x800000, v2
	v_add_u32_e32 v4, 20, v10
	v_cndmask_b32_e32 v16, v5, v7, vcc
	v_cndmask_b32_e32 v2, v11, v2, vcc
	v_lshlrev_b64 v[4:5], v4, -1
	v_not_b32_e32 v4, v4
	v_lshrrev_b64 v[14:15], v10, v[2:3]
	v_not_b32_e32 v5, v5
	v_and_b32_e32 v4, v2, v4
	v_add_u32_e32 v11, 19, v10
	v_lshrrev_b32_e32 v2, 23, v14
	v_and_b32_e32 v5, 0, v5
	v_lshlrev_b64 v[12:13], v11, 1
	v_add3_u32 v11, v10, v16, v2
	v_bfe_u32 v2, v14, 20, 1
	v_add_u32_e32 v2, -1, v2
	v_cmp_eq_u64_e32 vcc, v[4:5], v[12:13]
	v_cndmask_b32_e32 v2, 0, v2, vcc
	v_add_u32_e32 v2, v2, v14
	v_and_b32_e32 v2, 0xfffff, v2
	v_add_co_u32_e32 v4, vcc, v2, v14
	v_add_u32_e32 v10, 6, v11
	v_addc_co_u32_e32 v5, vcc, 0, v15, vcc
	v_cmp_ne_u32_e32 vcc, 0, v10
                                        ; implicit-def: $vgpr2
	s_and_saveexec_b64 s[0:1], vcc
	s_xor_b64 s[0:1], exec, s[0:1]
; %bb.49:                               ;   in Loop: Header=BB90_45 Depth=1
	v_add_u32_e32 v2, 7, v11
	v_cmp_lt_u64_e32 vcc, s[8:9], v[4:5]
	v_cndmask_b32_e32 v2, v10, v2, vcc
	v_cndmask_b32_e64 v10, 0, 1, vcc
	v_lshrrev_b64 v[4:5], v10, v[4:5]
; %bb.50:                               ;   in Loop: Header=BB90_45 Depth=1
	s_andn2_saveexec_b64 s[0:1], s[0:1]
; %bb.51:                               ;   in Loop: Header=BB90_45 Depth=1
	v_bfe_u32 v2, v4, 23, 1
; %bb.52:                               ;   in Loop: Header=BB90_45 Depth=1
	s_or_b64 exec, exec, s[0:1]
	v_lshrrev_b64 v[4:5], 20, v[4:5]
	v_cmp_gt_i32_e32 vcc, 16, v2
	v_cndmask_b32_e32 v5, 0, v5, vcc
	v_cndmask_b32_e32 v4, 7, v4, vcc
	v_cmp_ne_u32_e32 vcc, 0, v2
	v_cmp_ne_u64_e64 s[0:1], 0, v[4:5]
	s_or_b64 s[0:1], vcc, s[0:1]
                                        ; implicit-def: $vgpr5
	s_and_saveexec_b64 s[26:27], s[0:1]
	s_xor_b64 s[0:1], exec, s[26:27]
; %bb.53:                               ;   in Loop: Header=BB90_45 Depth=1
	v_min_i32_e32 v2, 15, v2
	v_lshl_or_b32 v2, v2, 3, v9
	v_and_or_b32 v5, v4, 7, v2
                                        ; implicit-def: $vgpr9
; %bb.54:                               ;   in Loop: Header=BB90_45 Depth=1
	s_andn2_saveexec_b64 s[0:1], s[0:1]
; %bb.55:                               ;   in Loop: Header=BB90_45 Depth=1
	v_mov_b32_e32 v5, v9
; %bb.56:                               ;   in Loop: Header=BB90_45 Depth=1
	s_or_b64 exec, exec, s[0:1]
.LBB90_57:                              ;   in Loop: Header=BB90_45 Depth=1
	s_or_b64 exec, exec, s[16:17]
.LBB90_58:                              ;   in Loop: Header=BB90_45 Depth=1
	s_andn2_saveexec_b64 s[0:1], s[14:15]
	s_or_b64 exec, exec, s[0:1]
                                        ; implicit-def: $vgpr4
.LBB90_59:                              ;   in Loop: Header=BB90_45 Depth=1
	s_andn2_saveexec_b64 s[0:1], s[12:13]
	s_cbranch_execz .LBB90_44
; %bb.60:                               ;   in Loop: Header=BB90_45 Depth=1
	v_or_b32_sdwa v4, v4, s24 dst_sel:DWORD dst_unused:UNUSED_PAD src0_sel:BYTE_3 src1_sel:DWORD
	v_cmp_eq_u64_e32 vcc, 0, v[2:3]
	v_cndmask_b32_e32 v5, v4, v5, vcc
	s_branch .LBB90_44
.LBB90_61:
	s_endpgm
.LBB90_62:
                                        ; implicit-def: $sgpr22_sgpr23
	s_branch .LBB90_6
	.section	.rodata,"a",@progbits
	.p2align	6, 0x0
	.amdhsa_kernel _ZN4vllm38concat_and_cache_mla_rope_fused_kernelIffLb1E14__hip_bfloat16hLNS_18Fp8KVCacheDataTypeE1EEEvPKlPT_S6_PKS5_PKT0_illlliPT3_S4_iiiiPKf
		.amdhsa_group_segment_fixed_size 0
		.amdhsa_private_segment_fixed_size 0
		.amdhsa_kernarg_size 384
		.amdhsa_user_sgpr_count 6
		.amdhsa_user_sgpr_private_segment_buffer 1
		.amdhsa_user_sgpr_dispatch_ptr 0
		.amdhsa_user_sgpr_queue_ptr 0
		.amdhsa_user_sgpr_kernarg_segment_ptr 1
		.amdhsa_user_sgpr_dispatch_id 0
		.amdhsa_user_sgpr_flat_scratch_init 0
		.amdhsa_user_sgpr_kernarg_preload_length 0
		.amdhsa_user_sgpr_kernarg_preload_offset 0
		.amdhsa_user_sgpr_private_segment_size 0
		.amdhsa_uses_dynamic_stack 0
		.amdhsa_system_sgpr_private_segment_wavefront_offset 0
		.amdhsa_system_sgpr_workgroup_id_x 1
		.amdhsa_system_sgpr_workgroup_id_y 0
		.amdhsa_system_sgpr_workgroup_id_z 0
		.amdhsa_system_sgpr_workgroup_info 0
		.amdhsa_system_vgpr_workitem_id 0
		.amdhsa_next_free_vgpr 20
		.amdhsa_next_free_sgpr 60
		.amdhsa_accum_offset 20
		.amdhsa_reserve_vcc 1
		.amdhsa_reserve_flat_scratch 0
		.amdhsa_float_round_mode_32 0
		.amdhsa_float_round_mode_16_64 0
		.amdhsa_float_denorm_mode_32 3
		.amdhsa_float_denorm_mode_16_64 3
		.amdhsa_dx10_clamp 1
		.amdhsa_ieee_mode 1
		.amdhsa_fp16_overflow 0
		.amdhsa_tg_split 0
		.amdhsa_exception_fp_ieee_invalid_op 0
		.amdhsa_exception_fp_denorm_src 0
		.amdhsa_exception_fp_ieee_div_zero 0
		.amdhsa_exception_fp_ieee_overflow 0
		.amdhsa_exception_fp_ieee_underflow 0
		.amdhsa_exception_fp_ieee_inexact 0
		.amdhsa_exception_int_div_zero 0
	.end_amdhsa_kernel
	.section	.text._ZN4vllm38concat_and_cache_mla_rope_fused_kernelIffLb1E14__hip_bfloat16hLNS_18Fp8KVCacheDataTypeE1EEEvPKlPT_S6_PKS5_PKT0_illlliPT3_S4_iiiiPKf,"axG",@progbits,_ZN4vllm38concat_and_cache_mla_rope_fused_kernelIffLb1E14__hip_bfloat16hLNS_18Fp8KVCacheDataTypeE1EEEvPKlPT_S6_PKS5_PKT0_illlliPT3_S4_iiiiPKf,comdat
.Lfunc_end90:
	.size	_ZN4vllm38concat_and_cache_mla_rope_fused_kernelIffLb1E14__hip_bfloat16hLNS_18Fp8KVCacheDataTypeE1EEEvPKlPT_S6_PKS5_PKT0_illlliPT3_S4_iiiiPKf, .Lfunc_end90-_ZN4vllm38concat_and_cache_mla_rope_fused_kernelIffLb1E14__hip_bfloat16hLNS_18Fp8KVCacheDataTypeE1EEEvPKlPT_S6_PKS5_PKT0_illlliPT3_S4_iiiiPKf
                                        ; -- End function
	.section	.AMDGPU.csdata,"",@progbits
; Kernel info:
; codeLenInByte = 3624
; NumSgprs: 64
; NumVgprs: 20
; NumAgprs: 0
; TotalNumVgprs: 20
; ScratchSize: 0
; MemoryBound: 0
; FloatMode: 240
; IeeeMode: 1
; LDSByteSize: 0 bytes/workgroup (compile time only)
; SGPRBlocks: 7
; VGPRBlocks: 2
; NumSGPRsForWavesPerEU: 64
; NumVGPRsForWavesPerEU: 20
; AccumOffset: 20
; Occupancy: 8
; WaveLimiterHint : 1
; COMPUTE_PGM_RSRC2:SCRATCH_EN: 0
; COMPUTE_PGM_RSRC2:USER_SGPR: 6
; COMPUTE_PGM_RSRC2:TRAP_HANDLER: 0
; COMPUTE_PGM_RSRC2:TGID_X_EN: 1
; COMPUTE_PGM_RSRC2:TGID_Y_EN: 0
; COMPUTE_PGM_RSRC2:TGID_Z_EN: 0
; COMPUTE_PGM_RSRC2:TIDIG_COMP_CNT: 0
; COMPUTE_PGM_RSRC3_GFX90A:ACCUM_OFFSET: 4
; COMPUTE_PGM_RSRC3_GFX90A:TG_SPLIT: 0
	.section	.text._ZN4vllm38concat_and_cache_mla_rope_fused_kernelIffLb0E14__hip_bfloat16hLNS_18Fp8KVCacheDataTypeE1EEEvPKlPT_S6_PKS5_PKT0_illlliPT3_S4_iiiiPKf,"axG",@progbits,_ZN4vllm38concat_and_cache_mla_rope_fused_kernelIffLb0E14__hip_bfloat16hLNS_18Fp8KVCacheDataTypeE1EEEvPKlPT_S6_PKS5_PKT0_illlliPT3_S4_iiiiPKf,comdat
	.protected	_ZN4vllm38concat_and_cache_mla_rope_fused_kernelIffLb0E14__hip_bfloat16hLNS_18Fp8KVCacheDataTypeE1EEEvPKlPT_S6_PKS5_PKT0_illlliPT3_S4_iiiiPKf ; -- Begin function _ZN4vllm38concat_and_cache_mla_rope_fused_kernelIffLb0E14__hip_bfloat16hLNS_18Fp8KVCacheDataTypeE1EEEvPKlPT_S6_PKS5_PKT0_illlliPT3_S4_iiiiPKf
	.globl	_ZN4vllm38concat_and_cache_mla_rope_fused_kernelIffLb0E14__hip_bfloat16hLNS_18Fp8KVCacheDataTypeE1EEEvPKlPT_S6_PKS5_PKT0_illlliPT3_S4_iiiiPKf
	.p2align	8
	.type	_ZN4vllm38concat_and_cache_mla_rope_fused_kernelIffLb0E14__hip_bfloat16hLNS_18Fp8KVCacheDataTypeE1EEEvPKlPT_S6_PKS5_PKT0_illlliPT3_S4_iiiiPKf,@function
_ZN4vllm38concat_and_cache_mla_rope_fused_kernelIffLb0E14__hip_bfloat16hLNS_18Fp8KVCacheDataTypeE1EEEvPKlPT_S6_PKS5_PKT0_illlliPT3_S4_iiiiPKf: ; @_ZN4vllm38concat_and_cache_mla_rope_fused_kernelIffLb0E14__hip_bfloat16hLNS_18Fp8KVCacheDataTypeE1EEEvPKlPT_S6_PKS5_PKT0_illlliPT3_S4_iiiiPKf
; %bb.0:
	s_load_dwordx2 s[2:3], s[4:5], 0x60
	s_mov_b32 s7, 0
	s_lshl_b64 s[0:1], s[6:7], 3
	s_waitcnt lgkmcnt(0)
	s_add_u32 s2, s2, s0
	s_addc_u32 s3, s3, s1
	s_load_dwordx2 s[26:27], s[2:3], 0x0
	s_waitcnt lgkmcnt(0)
	v_cmp_lt_i64_e64 s[2:3], s[26:27], 0
	s_and_b64 vcc, exec, s[2:3]
	s_cbranch_vccnz .LBB91_61
; %bb.1:
	s_load_dword s7, s[4:5], 0x28
	s_load_dwordx2 s[2:3], s[4:5], 0x0
	s_load_dwordx4 s[16:19], s[4:5], 0x10
	v_lshlrev_b32_e32 v1, 1, v0
	s_waitcnt lgkmcnt(0)
	s_ashr_i32 s22, s7, 31
	s_add_u32 s0, s2, s0
	s_addc_u32 s1, s3, s1
	s_load_dwordx2 s[20:21], s[0:1], 0x0
	s_load_dwordx2 s[28:29], s[4:5], 0x20
	s_load_dwordx8 s[8:15], s[4:5], 0x30
	s_load_dwordx2 s[2:3], s[4:5], 0x58
	s_load_dword s23, s[4:5], 0x50
	s_waitcnt lgkmcnt(0)
	s_mul_i32 s0, s20, s22
	s_mul_hi_u32 s1, s20, s7
	s_mul_i32 s21, s21, s7
	s_add_i32 s0, s1, s0
	s_add_i32 s31, s0, s21
	s_lshr_b32 s0, s7, 31
	s_mul_i32 s30, s20, s7
	s_add_i32 s7, s7, s0
	s_ashr_i32 s20, s7, 1
	s_mul_i32 s7, s20, s23
	v_cmp_gt_i32_e32 vcc, s7, v0
	s_and_saveexec_b64 s[0:1], vcc
	s_cbranch_execz .LBB91_4
; %bb.2:
	s_lshl_b64 s[22:23], s[30:31], 2
	s_add_u32 s24, s28, s22
	s_addc_u32 s38, s29, s23
	s_load_dwordx2 s[22:23], s[4:5], 0x8
	s_load_dword s34, s[4:5], 0x8c
	s_mul_i32 s9, s6, s9
	s_mul_hi_u32 s25, s6, s8
	s_add_i32 s9, s25, s9
	s_mul_i32 s8, s6, s8
	s_ashr_i32 s21, s20, 31
	s_lshl_b64 s[8:9], s[8:9], 2
	s_waitcnt lgkmcnt(0)
	s_add_u32 s25, s22, s8
	s_addc_u32 s39, s23, s9
	s_abs_i32 s33, s20
	v_cvt_f32_u32_e32 v2, s33
	s_sub_i32 s8, 0, s33
	s_and_b32 s34, s34, 0xffff
	s_lshl_b64 s[22:23], s[20:21], 2
	v_rcp_iflag_f32_e32 v2, v2
	s_sub_i32 s35, 0, s20
	s_lshl_b32 s37, s34, 1
	v_mov_b32_e32 v5, s38
	v_mul_f32_e32 v2, 0x4f7ffffe, v2
	v_cvt_u32_f32_e32 v2, v2
	v_mov_b32_e32 v6, s23
	v_mov_b32_e32 v7, s39
	;; [unrolled: 1-line block ×3, first 2 shown]
	v_mul_lo_u32 v3, s8, v2
	v_mul_hi_u32 v3, v2, v3
	s_lshl_b32 s8, s20, 1
	v_add_u32_e32 v3, v2, v3
	s_sub_i32 s36, 0, s8
	s_mov_b64 s[8:9], 0
	v_mov_b32_e32 v2, v1
.LBB91_3:                               ; =>This Inner Loop Header: Depth=1
	v_sub_u32_e32 v9, 0, v4
	v_max_i32_e32 v9, v4, v9
	v_mul_hi_u32 v10, v9, v3
	v_mul_lo_u32 v11, v10, s33
	v_sub_u32_e32 v9, v9, v11
	v_add_u32_e32 v12, 1, v10
	v_cmp_le_u32_e32 vcc, s33, v9
	v_subrev_u32_e32 v11, s33, v9
	v_cndmask_b32_e32 v10, v10, v12, vcc
	v_cndmask_b32_e32 v9, v9, v11, vcc
	v_ashrrev_i32_e32 v8, 31, v4
	v_add_u32_e32 v11, 1, v10
	v_cmp_le_u32_e32 vcc, s33, v9
	v_xor_b32_e32 v8, s21, v8
	v_cndmask_b32_e32 v9, v10, v11, vcc
	v_xor_b32_e32 v9, v9, v8
	v_sub_u32_e32 v12, v9, v8
	v_mad_u64_u32 v[8:9], s[38:39], s35, v12, v[4:5]
	v_ashrrev_i32_e32 v9, 31, v8
	v_lshlrev_b64 v[8:9], 2, v[8:9]
	v_ashrrev_i32_e32 v14, 31, v12
	v_add_co_u32_e32 v8, vcc, s24, v8
	v_mul_lo_u32 v15, v12, s11
	v_mad_u64_u32 v[10:11], s[38:39], v12, s10, 0
	v_mul_lo_u32 v14, v14, s10
	v_addc_co_u32_e32 v9, vcc, v5, v9, vcc
	v_add3_u32 v11, v11, v15, v14
	v_add_co_u32_e32 v14, vcc, s22, v8
	v_mad_u64_u32 v[12:13], s[38:39], s36, v12, v[2:3]
	v_lshlrev_b64 v[10:11], 2, v[10:11]
	v_addc_co_u32_e32 v15, vcc, v9, v6, vcc
	v_ashrrev_i32_e32 v13, 31, v12
	v_add_co_u32_e32 v10, vcc, s25, v10
	v_lshlrev_b64 v[12:13], 2, v[12:13]
	v_addc_co_u32_e32 v11, vcc, v7, v11, vcc
	global_load_dword v16, v[8:9], off
	global_load_dword v17, v[14:15], off
	v_add_co_u32_e32 v8, vcc, v10, v12
	v_addc_co_u32_e32 v9, vcc, v11, v13, vcc
	global_load_dwordx2 v[10:11], v[8:9], off
	v_add_u32_e32 v4, s34, v4
	v_cmp_le_i32_e32 vcc, s7, v4
	v_add_u32_e32 v2, s37, v2
	s_or_b64 s[8:9], vcc, s[8:9]
	s_waitcnt vmcnt(0)
	v_mul_f32_e32 v12, v17, v11
	v_mul_f32_e32 v13, v16, v11
	v_fma_f32 v12, v16, v10, -v12
	v_fmac_f32_e32 v13, v17, v10
	global_store_dwordx2 v[8:9], v[12:13], off
	s_andn2_b64 exec, exec, s[8:9]
	s_cbranch_execnz .LBB91_3
.LBB91_4:
	s_or_b64 exec, exec, s[0:1]
	s_load_dwordx4 s[8:11], s[4:5], 0x68
	s_waitcnt lgkmcnt(0)
	s_ashr_i32 s35, s11, 31
	s_mov_b32 s34, s11
	s_or_b64 s[0:1], s[26:27], s[34:35]
	s_mov_b32 s0, 0
	s_cmp_lg_u64 s[0:1], 0
	s_cbranch_scc0 .LBB91_62
; %bb.5:
	s_add_u32 s0, s34, s35
	s_mov_b32 s22, s35
	s_mov_b32 s23, s35
	s_addc_u32 s1, s35, s35
	s_xor_b64 s[36:37], s[0:1], s[22:23]
	v_cvt_f32_u32_e32 v2, s36
	v_cvt_f32_u32_e32 v3, s37
	s_sub_u32 s0, 0, s36
	s_subb_u32 s1, 0, s37
	v_madmk_f32 v2, v3, 0x4f800000, v2
	v_rcp_f32_e32 v2, v2
	v_mul_f32_e32 v2, 0x5f7ffffc, v2
	v_mul_f32_e32 v3, 0x2f800000, v2
	v_trunc_f32_e32 v3, v3
	v_madmk_f32 v2, v3, 0xcf800000, v2
	v_cvt_u32_f32_e32 v3, v3
	v_cvt_u32_f32_e32 v2, v2
	v_readfirstlane_b32 s7, v3
	v_readfirstlane_b32 s11, v2
	s_mul_i32 s21, s0, s7
	s_mul_hi_u32 s38, s0, s11
	s_mul_i32 s33, s1, s11
	s_add_i32 s21, s38, s21
	s_add_i32 s21, s21, s33
	s_mul_i32 s39, s0, s11
	s_mul_hi_u32 s33, s11, s21
	s_mul_i32 s38, s11, s21
	s_mul_hi_u32 s11, s11, s39
	s_add_u32 s11, s11, s38
	s_addc_u32 s33, 0, s33
	s_mul_hi_u32 s40, s7, s39
	s_mul_i32 s39, s7, s39
	s_add_u32 s11, s11, s39
	s_mul_hi_u32 s38, s7, s21
	s_addc_u32 s11, s33, s40
	s_addc_u32 s33, s38, 0
	s_mul_i32 s21, s7, s21
	s_add_u32 s11, s11, s21
	s_addc_u32 s21, 0, s33
	v_add_co_u32_e32 v2, vcc, s11, v2
	s_cmp_lg_u64 vcc, 0
	s_addc_u32 s7, s7, s21
	v_readfirstlane_b32 s21, v2
	s_mul_i32 s11, s0, s7
	s_mul_hi_u32 s33, s0, s21
	s_add_i32 s11, s33, s11
	s_mul_i32 s1, s1, s21
	s_add_i32 s11, s11, s1
	s_mul_i32 s0, s0, s21
	s_mul_hi_u32 s33, s7, s0
	s_mul_i32 s38, s7, s0
	s_mul_i32 s40, s21, s11
	s_mul_hi_u32 s0, s21, s0
	s_mul_hi_u32 s39, s21, s11
	s_add_u32 s0, s0, s40
	s_addc_u32 s21, 0, s39
	s_add_u32 s0, s0, s38
	s_mul_hi_u32 s1, s7, s11
	s_addc_u32 s0, s21, s33
	s_addc_u32 s1, s1, 0
	s_mul_i32 s11, s7, s11
	s_add_u32 s0, s0, s11
	s_addc_u32 s1, 0, s1
	v_add_co_u32_e32 v2, vcc, s0, v2
	s_cmp_lg_u64 vcc, 0
	s_addc_u32 s7, s7, s1
	s_ashr_i32 s38, s27, 31
	s_add_u32 s0, s26, s38
	s_mov_b32 s39, s38
	s_addc_u32 s1, s27, s38
	s_xor_b64 s[40:41], s[0:1], s[38:39]
	v_readfirstlane_b32 s11, v2
	s_mul_i32 s1, s40, s7
	s_mul_hi_u32 s21, s40, s11
	s_mul_hi_u32 s0, s40, s7
	s_add_u32 s1, s21, s1
	s_addc_u32 s0, 0, s0
	s_mul_hi_u32 s33, s41, s11
	s_mul_i32 s11, s41, s11
	s_add_u32 s1, s1, s11
	s_mul_hi_u32 s21, s41, s7
	s_addc_u32 s0, s0, s33
	s_addc_u32 s1, s21, 0
	s_mul_i32 s7, s41, s7
	s_add_u32 s7, s0, s7
	s_addc_u32 s11, 0, s1
	s_mul_i32 s0, s36, s11
	s_mul_hi_u32 s1, s36, s7
	s_add_i32 s0, s1, s0
	s_mul_i32 s1, s37, s7
	s_add_i32 s21, s0, s1
	s_mul_i32 s1, s36, s7
	v_mov_b32_e32 v2, s1
	s_sub_i32 s0, s41, s21
	v_sub_co_u32_e32 v2, vcc, s40, v2
	s_cmp_lg_u64 vcc, 0
	s_subb_u32 s33, s0, s37
	v_subrev_co_u32_e64 v3, s[0:1], s36, v2
	s_cmp_lg_u64 s[0:1], 0
	s_subb_u32 s0, s33, 0
	s_cmp_ge_u32 s0, s37
	v_readfirstlane_b32 s33, v3
	s_cselect_b32 s1, -1, 0
	s_cmp_ge_u32 s33, s36
	s_cselect_b32 s33, -1, 0
	s_cmp_eq_u32 s0, s37
	s_cselect_b32 s0, s33, s1
	s_add_u32 s1, s7, 1
	s_addc_u32 s33, s11, 0
	s_add_u32 s40, s7, 2
	s_addc_u32 s42, s11, 0
	s_cmp_lg_u32 s0, 0
	s_cselect_b32 s0, s40, s1
	s_cselect_b32 s1, s42, s33
	s_cmp_lg_u64 vcc, 0
	s_subb_u32 s21, s41, s21
	s_cmp_ge_u32 s21, s37
	v_readfirstlane_b32 s40, v2
	s_cselect_b32 s33, -1, 0
	s_cmp_ge_u32 s40, s36
	s_cselect_b32 s36, -1, 0
	s_cmp_eq_u32 s21, s37
	s_cselect_b32 s21, s36, s33
	s_cmp_lg_u32 s21, 0
	s_cselect_b32 s1, s1, s11
	s_cselect_b32 s0, s0, s7
	s_xor_b64 s[22:23], s[38:39], s[22:23]
	s_xor_b64 s[0:1], s[0:1], s[22:23]
	s_sub_u32 s22, s0, s22
	s_subb_u32 s23, s1, s23
	s_cbranch_execnz .LBB91_7
.LBB91_6:
	v_cvt_f32_u32_e32 v2, s34
	s_sub_i32 s0, 0, s34
	s_mov_b32 s23, 0
	v_rcp_iflag_f32_e32 v2, v2
	v_mul_f32_e32 v2, 0x4f7ffffe, v2
	v_cvt_u32_f32_e32 v2, v2
	v_readfirstlane_b32 s1, v2
	s_mul_i32 s0, s0, s1
	s_mul_hi_u32 s0, s1, s0
	s_add_i32 s1, s1, s0
	s_mul_hi_u32 s0, s26, s1
	s_mul_i32 s7, s0, s34
	s_sub_i32 s7, s26, s7
	s_add_i32 s1, s0, 1
	s_sub_i32 s11, s7, s34
	s_cmp_ge_u32 s7, s34
	s_cselect_b32 s0, s1, s0
	s_cselect_b32 s7, s11, s7
	s_add_i32 s1, s0, 1
	s_cmp_ge_u32 s7, s34
	s_cselect_b32 s22, s1, s0
.LBB91_7:
	s_mul_i32 s0, s22, s35
	s_mul_hi_u32 s1, s22, s34
	s_load_dwordx2 s[24:25], s[4:5], 0x78
	s_add_i32 s0, s1, s0
	s_mul_i32 s1, s23, s34
	s_add_i32 s0, s0, s1
	s_mul_i32 s1, s22, s34
	s_sub_u32 s7, s26, s1
	s_subb_u32 s11, s27, s0
	v_cmp_gt_i32_e32 vcc, s20, v0
	s_mul_hi_u32 s42, s22, s8
	s_mul_i32 s43, s23, s8
	s_mul_i32 s44, s22, s8
	s_mul_hi_u32 s33, s7, s9
	s_mul_i32 s11, s11, s9
	s_mul_i32 s23, s7, s9
	s_and_saveexec_b64 s[26:27], vcc
	s_cbranch_execz .LBB91_42
; %bb.8:
	s_ashr_i32 s0, s8, 31
	s_mul_i32 s0, s22, s0
	s_load_dword s1, s[4:5], 0x8c
	s_add_i32 s0, s42, s0
	s_add_i32 s34, s0, s43
	s_ashr_i32 s0, s9, 31
	s_mul_i32 s0, s7, s0
	s_add_i32 s0, s33, s0
	s_ashr_i32 s21, s20, 31
	s_add_i32 s35, s0, s11
	s_ashr_i32 s36, s10, 31
	s_waitcnt lgkmcnt(0)
	s_and_b32 s46, s1, 0xffff
	s_lshl_b64 s[0:1], s[30:31], 2
	s_add_u32 s0, s28, s0
	v_lshlrev_b32_e32 v2, 2, v0
	s_addc_u32 s1, s29, s1
	s_lshl_b32 s48, s46, 2
	s_lshl_b64 s[28:29], s[20:21], 2
	v_add_co_u32_e32 v2, vcc, s0, v2
	s_add_u32 s0, s44, s23
	v_mov_b32_e32 v3, s1
	s_addc_u32 s1, s34, s35
	s_add_u32 s21, s2, s10
	s_addc_u32 s30, s3, s36
	s_add_u32 s0, s21, s0
	v_addc_co_u32_e32 v3, vcc, 0, v3, vcc
	s_addc_u32 s1, s30, s1
	v_mov_b32_e32 v4, s1
	v_add_co_u32_e32 v1, vcc, s0, v1
	s_mul_i32 s0, s13, s6
	s_mul_hi_u32 s1, s12, s6
	s_add_i32 s1, s1, s0
	s_mul_i32 s0, s12, s6
	v_addc_co_u32_e32 v5, vcc, 0, v4, vcc
	s_lshl_b32 s21, s46, 1
	s_lshl_b64 s[0:1], s[0:1], 2
	v_add_co_u32_e32 v4, vcc, 1, v1
	s_add_u32 s0, s16, s0
	s_load_dword s45, s[24:25], 0x0
	v_addc_co_u32_e32 v5, vcc, 0, v5, vcc
	v_lshlrev_b32_e32 v1, 3, v0
	s_addc_u32 s1, s17, s1
	v_mov_b32_e32 v6, s1
	v_add_co_u32_e32 v1, vcc, s0, v1
	v_addc_co_u32_e32 v7, vcc, 0, v6, vcc
	s_mov_b32 s47, 0
	v_add_co_u32_e32 v6, vcc, 4, v1
	s_mov_b32 s49, s47
	v_addc_co_u32_e32 v7, vcc, 0, v7, vcc
	s_lshl_b32 s50, s46, 3
	s_mov_b32 s51, s47
	s_mov_b64 s[12:13], 0
	v_mov_b32_e32 v1, s29
	v_mov_b32_e32 v9, 0
	s_movk_i32 s29, 0x80
	s_mov_b64 s[16:17], 0x7f800000
	s_mov_b64 s[30:31], 0x43e00001
	s_movk_i32 s52, 0x7a
	s_mov_b64 s[34:35], 0xffffff
	s_movk_i32 s53, 0x7f
	v_mov_b32_e32 v14, 0xffffff82
	v_mov_b32_e32 v15, 0x78
	;; [unrolled: 1-line block ×3, first 2 shown]
	s_branch .LBB91_10
.LBB91_9:                               ;   in Loop: Header=BB91_10 Depth=1
	s_or_b64 exec, exec, s[0:1]
	v_mov_b32_e32 v8, s47
	v_add_co_u32_e32 v2, vcc, s48, v2
	v_addc_co_u32_e32 v3, vcc, v3, v8, vcc
	global_store_byte v[4:5], v11, off
	v_mov_b32_e32 v8, s49
	v_add_co_u32_e32 v4, vcc, s21, v4
	v_add_u32_e32 v16, s46, v16
	v_addc_co_u32_e32 v5, vcc, v5, v8, vcc
	v_cmp_le_i32_e32 vcc, s20, v16
	v_mov_b32_e32 v8, s51
	s_or_b64 s[12:13], vcc, s[12:13]
	v_add_co_u32_e32 v6, vcc, s50, v6
	v_addc_co_u32_e32 v7, vcc, v7, v8, vcc
	s_andn2_b64 exec, exec, s[12:13]
	s_cbranch_execz .LBB91_42
.LBB91_10:                              ; =>This Inner Loop Header: Depth=1
	v_add_co_u32_e32 v10, vcc, s28, v2
	global_load_dword v8, v[2:3], off
	v_addc_co_u32_e32 v11, vcc, v3, v1, vcc
	global_load_dwordx2 v[12:13], v[6:7], off offset:-4
	s_nop 0
	global_load_dword v10, v[10:11], off
	v_mov_b32_e32 v19, v9
	s_waitcnt vmcnt(1)
	v_mul_f32_e32 v11, v8, v13
	s_waitcnt vmcnt(0)
	v_mul_f32_e32 v13, v10, v13
	v_fmac_f32_e32 v11, v10, v12
	v_fma_f32 v10, v8, v12, -v13
	v_lshlrev_b32_e32 v8, 16, v10
	s_waitcnt lgkmcnt(0)
	v_div_scale_f32 v12, s[0:1], s45, s45, v8
	v_rcp_f32_e32 v13, v12
	global_store_dwordx2 v[6:7], v[10:11], off offset:-4
	v_div_scale_f32 v10, vcc, v8, s45, v8
	v_fma_f32 v17, -v12, v13, 1.0
	v_fmac_f32_e32 v13, v17, v13
	v_mul_f32_e32 v17, v10, v13
	v_fma_f32 v18, -v12, v17, v10
	v_fmac_f32_e32 v17, v18, v13
	v_fma_f32 v10, -v12, v17, v10
	v_div_fmas_f32 v10, v10, v13, v17
	v_div_fixup_f32 v12, v10, s45, v8
	v_and_b32_sdwa v10, v12, s29 dst_sel:DWORD dst_unused:UNUSED_PAD src0_sel:BYTE_3 src1_sel:DWORD
	v_and_b32_e32 v18, 0x7f800000, v12
	v_and_b32_e32 v8, 0x7fffff, v12
	v_or_b32_e32 v13, 0x7e, v10
	v_cmp_ne_u64_e32 vcc, s[16:17], v[18:19]
	s_and_saveexec_b64 s[0:1], vcc
	s_xor_b64 s[36:37], exec, s[0:1]
	s_cbranch_execz .LBB91_24
; %bb.11:                               ;   in Loop: Header=BB91_10 Depth=1
	v_and_b32_e32 v18, 0x7fffffff, v12
	v_mov_b32_e32 v19, v9
	v_cmp_gt_u64_e32 vcc, s[30:31], v[18:19]
	s_and_saveexec_b64 s[0:1], vcc
	s_xor_b64 s[38:39], exec, s[0:1]
	s_cbranch_execz .LBB91_23
; %bb.12:                               ;   in Loop: Header=BB91_10 Depth=1
	v_cmp_ne_u32_e32 vcc, 0, v12
	v_mov_b32_e32 v13, 0
	s_and_saveexec_b64 s[40:41], vcc
	s_cbranch_execz .LBB91_22
; %bb.13:                               ;   in Loop: Header=BB91_10 Depth=1
	v_bfe_u32 v12, v12, 23, 8
	v_sub_u32_e32 v17, 0x79, v12
	v_cmp_gt_u32_e32 vcc, s52, v12
	v_cndmask_b32_e32 v17, 0, v17, vcc
	v_cmp_eq_u32_e32 vcc, 0, v12
	v_cndmask_b32_e32 v17, v17, v15, vcc
	v_add_u32_e32 v13, 0xffffff81, v12
	v_or_b32_e32 v18, 0x800000, v8
	v_add_u32_e32 v12, 20, v17
	v_cndmask_b32_e32 v19, v13, v14, vcc
	v_cndmask_b32_e32 v8, v18, v8, vcc
	v_lshlrev_b64 v[12:13], v12, -1
	v_not_b32_e32 v12, v12
	v_lshrrev_b64 v[22:23], v17, v[8:9]
	v_not_b32_e32 v13, v13
	v_and_b32_e32 v12, v8, v12
	v_add_u32_e32 v18, 19, v17
	v_lshrrev_b32_e32 v8, 23, v22
	v_and_b32_e32 v13, 0, v13
	v_lshlrev_b64 v[20:21], v18, 1
	v_add3_u32 v18, v17, v19, v8
	v_bfe_u32 v8, v22, 20, 1
	v_add_u32_e32 v8, -1, v8
	v_cmp_eq_u64_e32 vcc, v[12:13], v[20:21]
	v_cndmask_b32_e32 v8, 0, v8, vcc
	v_add_u32_e32 v8, v8, v22
	v_and_b32_e32 v8, 0xfffff, v8
	v_add_co_u32_e32 v12, vcc, v8, v22
	v_add_u32_e32 v17, 6, v18
	v_addc_co_u32_e32 v13, vcc, 0, v23, vcc
	v_cmp_ne_u32_e32 vcc, 0, v17
                                        ; implicit-def: $vgpr8
	s_and_saveexec_b64 s[0:1], vcc
	s_xor_b64 s[0:1], exec, s[0:1]
; %bb.14:                               ;   in Loop: Header=BB91_10 Depth=1
	v_add_u32_e32 v8, 7, v18
	v_cmp_lt_u64_e32 vcc, s[34:35], v[12:13]
	v_cndmask_b32_e32 v8, v17, v8, vcc
	v_cndmask_b32_e64 v17, 0, 1, vcc
	v_lshrrev_b64 v[12:13], v17, v[12:13]
; %bb.15:                               ;   in Loop: Header=BB91_10 Depth=1
	s_andn2_saveexec_b64 s[0:1], s[0:1]
; %bb.16:                               ;   in Loop: Header=BB91_10 Depth=1
	v_bfe_u32 v8, v12, 23, 1
; %bb.17:                               ;   in Loop: Header=BB91_10 Depth=1
	s_or_b64 exec, exec, s[0:1]
	v_lshrrev_b64 v[12:13], 20, v[12:13]
	v_cmp_gt_i32_e32 vcc, 16, v8
	v_cndmask_b32_e32 v13, 0, v13, vcc
	v_cndmask_b32_e32 v12, 7, v12, vcc
	v_cmp_ne_u32_e32 vcc, 0, v8
	v_cmp_ne_u64_e64 s[0:1], 0, v[12:13]
	s_or_b64 s[0:1], vcc, s[0:1]
                                        ; implicit-def: $vgpr13
	s_and_saveexec_b64 s[54:55], s[0:1]
	s_xor_b64 s[0:1], exec, s[54:55]
; %bb.18:                               ;   in Loop: Header=BB91_10 Depth=1
	v_min_i32_e32 v8, 15, v8
	v_lshl_or_b32 v8, v8, 3, v10
	v_and_or_b32 v13, v12, 7, v8
                                        ; implicit-def: $vgpr10
; %bb.19:                               ;   in Loop: Header=BB91_10 Depth=1
	s_andn2_saveexec_b64 s[0:1], s[0:1]
; %bb.20:                               ;   in Loop: Header=BB91_10 Depth=1
	v_mov_b32_e32 v13, v10
; %bb.21:                               ;   in Loop: Header=BB91_10 Depth=1
	s_or_b64 exec, exec, s[0:1]
.LBB91_22:                              ;   in Loop: Header=BB91_10 Depth=1
	s_or_b64 exec, exec, s[40:41]
.LBB91_23:                              ;   in Loop: Header=BB91_10 Depth=1
	s_andn2_saveexec_b64 s[0:1], s[38:39]
	s_or_b64 exec, exec, s[0:1]
                                        ; implicit-def: $vgpr12
.LBB91_24:                              ;   in Loop: Header=BB91_10 Depth=1
	s_andn2_saveexec_b64 s[0:1], s[36:37]
; %bb.25:                               ;   in Loop: Header=BB91_10 Depth=1
	v_or_b32_sdwa v10, v12, s53 dst_sel:DWORD dst_unused:UNUSED_PAD src0_sel:BYTE_3 src1_sel:DWORD
	v_cmp_eq_u64_e32 vcc, 0, v[8:9]
	v_cndmask_b32_e32 v13, v10, v13, vcc
; %bb.26:                               ;   in Loop: Header=BB91_10 Depth=1
	s_or_b64 exec, exec, s[0:1]
	v_lshlrev_b32_e32 v8, 16, v11
	v_div_scale_f32 v10, s[0:1], s45, s45, v8
	v_rcp_f32_e32 v11, v10
	global_store_byte v[4:5], v13, off offset:-1
	v_mov_b32_e32 v19, v9
	v_fma_f32 v12, -v10, v11, 1.0
	v_fmac_f32_e32 v11, v12, v11
	v_div_scale_f32 v12, vcc, v8, s45, v8
	v_mul_f32_e32 v13, v12, v11
	v_fma_f32 v17, -v10, v13, v12
	v_fmac_f32_e32 v13, v17, v11
	v_fma_f32 v10, -v10, v13, v12
	v_div_fmas_f32 v10, v10, v11, v13
	v_div_fixup_f32 v10, v10, s45, v8
	v_and_b32_sdwa v12, v10, s29 dst_sel:DWORD dst_unused:UNUSED_PAD src0_sel:BYTE_3 src1_sel:DWORD
	v_and_b32_e32 v18, 0x7f800000, v10
	v_and_b32_e32 v8, 0x7fffff, v10
	v_or_b32_e32 v11, 0x7e, v12
	v_cmp_ne_u64_e32 vcc, s[16:17], v[18:19]
	s_and_saveexec_b64 s[0:1], vcc
	s_xor_b64 s[36:37], exec, s[0:1]
	s_cbranch_execz .LBB91_40
; %bb.27:                               ;   in Loop: Header=BB91_10 Depth=1
	v_and_b32_e32 v18, 0x7fffffff, v10
	v_mov_b32_e32 v19, v9
	v_cmp_gt_u64_e32 vcc, s[30:31], v[18:19]
	s_and_saveexec_b64 s[0:1], vcc
	s_xor_b64 s[38:39], exec, s[0:1]
	s_cbranch_execz .LBB91_39
; %bb.28:                               ;   in Loop: Header=BB91_10 Depth=1
	v_cmp_ne_u32_e32 vcc, 0, v10
	v_mov_b32_e32 v11, 0
	s_and_saveexec_b64 s[40:41], vcc
	s_cbranch_execz .LBB91_38
; %bb.29:                               ;   in Loop: Header=BB91_10 Depth=1
	v_bfe_u32 v10, v10, 23, 8
	v_sub_u32_e32 v13, 0x79, v10
	v_cmp_gt_u32_e32 vcc, s52, v10
	v_cndmask_b32_e32 v13, 0, v13, vcc
	v_cmp_eq_u32_e32 vcc, 0, v10
	v_cndmask_b32_e32 v13, v13, v15, vcc
	v_add_u32_e32 v11, 0xffffff81, v10
	v_or_b32_e32 v17, 0x800000, v8
	v_add_u32_e32 v10, 20, v13
	v_cndmask_b32_e32 v22, v11, v14, vcc
	v_cndmask_b32_e32 v8, v17, v8, vcc
	v_lshlrev_b64 v[10:11], v10, -1
	v_not_b32_e32 v10, v10
	v_lshrrev_b64 v[20:21], v13, v[8:9]
	v_not_b32_e32 v11, v11
	v_and_b32_e32 v10, v8, v10
	v_add_u32_e32 v17, 19, v13
	v_lshrrev_b32_e32 v8, 23, v20
	v_and_b32_e32 v11, 0, v11
	v_lshlrev_b64 v[18:19], v17, 1
	v_add3_u32 v17, v13, v22, v8
	v_bfe_u32 v8, v20, 20, 1
	v_add_u32_e32 v8, -1, v8
	v_cmp_eq_u64_e32 vcc, v[10:11], v[18:19]
	v_cndmask_b32_e32 v8, 0, v8, vcc
	v_add_u32_e32 v8, v8, v20
	v_and_b32_e32 v8, 0xfffff, v8
	v_add_co_u32_e32 v10, vcc, v8, v20
	v_add_u32_e32 v13, 6, v17
	v_addc_co_u32_e32 v11, vcc, 0, v21, vcc
	v_cmp_ne_u32_e32 vcc, 0, v13
                                        ; implicit-def: $vgpr8
	s_and_saveexec_b64 s[0:1], vcc
	s_xor_b64 s[0:1], exec, s[0:1]
; %bb.30:                               ;   in Loop: Header=BB91_10 Depth=1
	v_add_u32_e32 v8, 7, v17
	v_cmp_lt_u64_e32 vcc, s[34:35], v[10:11]
	v_cndmask_b32_e32 v8, v13, v8, vcc
	v_cndmask_b32_e64 v13, 0, 1, vcc
	v_lshrrev_b64 v[10:11], v13, v[10:11]
; %bb.31:                               ;   in Loop: Header=BB91_10 Depth=1
	s_andn2_saveexec_b64 s[0:1], s[0:1]
; %bb.32:                               ;   in Loop: Header=BB91_10 Depth=1
	v_bfe_u32 v8, v10, 23, 1
; %bb.33:                               ;   in Loop: Header=BB91_10 Depth=1
	s_or_b64 exec, exec, s[0:1]
	v_lshrrev_b64 v[10:11], 20, v[10:11]
	v_cmp_gt_i32_e32 vcc, 16, v8
	v_cndmask_b32_e32 v11, 0, v11, vcc
	v_cndmask_b32_e32 v10, 7, v10, vcc
	v_cmp_ne_u32_e32 vcc, 0, v8
	v_cmp_ne_u64_e64 s[0:1], 0, v[10:11]
	s_or_b64 s[0:1], vcc, s[0:1]
                                        ; implicit-def: $vgpr11
	s_and_saveexec_b64 s[54:55], s[0:1]
	s_xor_b64 s[0:1], exec, s[54:55]
; %bb.34:                               ;   in Loop: Header=BB91_10 Depth=1
	v_min_i32_e32 v8, 15, v8
	v_lshl_or_b32 v8, v8, 3, v12
	v_and_or_b32 v11, v10, 7, v8
                                        ; implicit-def: $vgpr12
; %bb.35:                               ;   in Loop: Header=BB91_10 Depth=1
	s_andn2_saveexec_b64 s[0:1], s[0:1]
; %bb.36:                               ;   in Loop: Header=BB91_10 Depth=1
	v_mov_b32_e32 v11, v12
; %bb.37:                               ;   in Loop: Header=BB91_10 Depth=1
	s_or_b64 exec, exec, s[0:1]
.LBB91_38:                              ;   in Loop: Header=BB91_10 Depth=1
	s_or_b64 exec, exec, s[40:41]
.LBB91_39:                              ;   in Loop: Header=BB91_10 Depth=1
	s_andn2_saveexec_b64 s[0:1], s[38:39]
	s_or_b64 exec, exec, s[0:1]
                                        ; implicit-def: $vgpr10
.LBB91_40:                              ;   in Loop: Header=BB91_10 Depth=1
	s_andn2_saveexec_b64 s[0:1], s[36:37]
	s_cbranch_execz .LBB91_9
; %bb.41:                               ;   in Loop: Header=BB91_10 Depth=1
	v_or_b32_sdwa v10, v10, s53 dst_sel:DWORD dst_unused:UNUSED_PAD src0_sel:BYTE_3 src1_sel:DWORD
	v_cmp_eq_u64_e32 vcc, 0, v[8:9]
	v_cndmask_b32_e32 v11, v10, v11, vcc
	s_branch .LBB91_9
.LBB91_42:
	s_or_b64 exec, exec, s[26:27]
	v_cmp_gt_i32_e32 vcc, s10, v0
	s_and_saveexec_b64 s[0:1], vcc
	s_cbranch_execz .LBB91_61
; %bb.43:
	s_mul_i32 s0, s6, s15
	s_mul_hi_u32 s1, s6, s14
	s_add_i32 s1, s1, s0
	s_mul_i32 s0, s6, s14
	s_lshl_b64 s[0:1], s[0:1], 2
	s_add_u32 s18, s18, s0
	s_addc_u32 s0, s19, s1
	s_ashr_i32 s1, s8, 31
	s_mul_i32 s1, s22, s1
	s_add_i32 s1, s42, s1
	s_add_i32 s1, s1, s43
	s_add_u32 s2, s2, s44
	s_addc_u32 s1, s3, s1
	s_ashr_i32 s3, s9, 31
	s_load_dword s4, s[4:5], 0x8c
	s_mul_i32 s7, s7, s3
	s_waitcnt lgkmcnt(0)
	s_load_dword s20, s[24:25], 0x0
	s_add_i32 s3, s33, s7
	s_add_i32 s3, s3, s11
	s_add_u32 s11, s2, s23
	s_addc_u32 s19, s1, s3
	s_and_b32 s21, s4, 0xffff
	s_mov_b64 s[2:3], 0
	v_mov_b32_e32 v6, s0
	v_mov_b32_e32 v3, 0
	s_movk_i32 s22, 0x80
	s_mov_b64 s[4:5], 0x7f800000
	s_mov_b64 s[6:7], 0x43e00001
	s_movk_i32 s23, 0x7a
	s_mov_b64 s[8:9], 0xffffff
	s_movk_i32 s24, 0x7f
	v_mov_b32_e32 v7, 0xffffff82
	v_mov_b32_e32 v8, 0x78
	s_branch .LBB91_45
.LBB91_44:                              ;   in Loop: Header=BB91_45 Depth=1
	s_or_b64 exec, exec, s[0:1]
	v_mov_b32_e32 v2, s19
	v_add_co_u32_e32 v10, vcc, s11, v0
	v_addc_co_u32_e32 v11, vcc, v2, v1, vcc
	v_add_u32_e32 v0, s21, v0
	v_cmp_le_i32_e32 vcc, s10, v0
	s_or_b64 s[2:3], vcc, s[2:3]
	global_store_byte v[10:11], v5, off
	s_andn2_b64 exec, exec, s[2:3]
	s_cbranch_execz .LBB91_61
.LBB91_45:                              ; =>This Inner Loop Header: Depth=1
	v_ashrrev_i32_e32 v1, 31, v0
	v_lshlrev_b64 v[4:5], 2, v[0:1]
	v_add_co_u32_e32 v4, vcc, s18, v4
	v_addc_co_u32_e32 v5, vcc, v6, v5, vcc
	global_load_ushort v2, v[4:5], off
	v_mov_b32_e32 v11, v3
	s_waitcnt vmcnt(0)
	v_lshlrev_b32_e32 v2, 16, v2
	s_waitcnt lgkmcnt(0)
	v_div_scale_f32 v4, s[0:1], s20, s20, v2
	v_rcp_f32_e32 v5, v4
	v_div_scale_f32 v9, vcc, v2, s20, v2
	v_fma_f32 v10, -v4, v5, 1.0
	v_fmac_f32_e32 v5, v10, v5
	v_mul_f32_e32 v10, v9, v5
	v_fma_f32 v12, -v4, v10, v9
	v_fmac_f32_e32 v10, v12, v5
	v_fma_f32 v4, -v4, v10, v9
	v_div_fmas_f32 v4, v4, v5, v10
	v_div_fixup_f32 v4, v4, s20, v2
	v_and_b32_sdwa v9, v4, s22 dst_sel:DWORD dst_unused:UNUSED_PAD src0_sel:BYTE_3 src1_sel:DWORD
	v_and_b32_e32 v10, 0x7f800000, v4
	v_and_b32_e32 v2, 0x7fffff, v4
	v_or_b32_e32 v5, 0x7e, v9
	v_cmp_ne_u64_e32 vcc, s[4:5], v[10:11]
	s_and_saveexec_b64 s[0:1], vcc
	s_xor_b64 s[12:13], exec, s[0:1]
	s_cbranch_execz .LBB91_59
; %bb.46:                               ;   in Loop: Header=BB91_45 Depth=1
	v_and_b32_e32 v10, 0x7fffffff, v4
	v_mov_b32_e32 v11, v3
	v_cmp_gt_u64_e32 vcc, s[6:7], v[10:11]
	s_and_saveexec_b64 s[0:1], vcc
	s_xor_b64 s[14:15], exec, s[0:1]
	s_cbranch_execz .LBB91_58
; %bb.47:                               ;   in Loop: Header=BB91_45 Depth=1
	v_cmp_ne_u32_e32 vcc, 0, v4
	v_mov_b32_e32 v5, 0
	s_and_saveexec_b64 s[16:17], vcc
	s_cbranch_execz .LBB91_57
; %bb.48:                               ;   in Loop: Header=BB91_45 Depth=1
	v_bfe_u32 v4, v4, 23, 8
	v_sub_u32_e32 v10, 0x79, v4
	v_cmp_gt_u32_e32 vcc, s23, v4
	v_cndmask_b32_e32 v10, 0, v10, vcc
	v_cmp_eq_u32_e32 vcc, 0, v4
	v_cndmask_b32_e32 v10, v10, v8, vcc
	v_add_u32_e32 v5, 0xffffff81, v4
	v_or_b32_e32 v11, 0x800000, v2
	v_add_u32_e32 v4, 20, v10
	v_cndmask_b32_e32 v16, v5, v7, vcc
	v_cndmask_b32_e32 v2, v11, v2, vcc
	v_lshlrev_b64 v[4:5], v4, -1
	v_not_b32_e32 v4, v4
	v_lshrrev_b64 v[14:15], v10, v[2:3]
	v_not_b32_e32 v5, v5
	v_and_b32_e32 v4, v2, v4
	v_add_u32_e32 v11, 19, v10
	v_lshrrev_b32_e32 v2, 23, v14
	v_and_b32_e32 v5, 0, v5
	v_lshlrev_b64 v[12:13], v11, 1
	v_add3_u32 v11, v10, v16, v2
	v_bfe_u32 v2, v14, 20, 1
	v_add_u32_e32 v2, -1, v2
	v_cmp_eq_u64_e32 vcc, v[4:5], v[12:13]
	v_cndmask_b32_e32 v2, 0, v2, vcc
	v_add_u32_e32 v2, v2, v14
	v_and_b32_e32 v2, 0xfffff, v2
	v_add_co_u32_e32 v4, vcc, v2, v14
	v_add_u32_e32 v10, 6, v11
	v_addc_co_u32_e32 v5, vcc, 0, v15, vcc
	v_cmp_ne_u32_e32 vcc, 0, v10
                                        ; implicit-def: $vgpr2
	s_and_saveexec_b64 s[0:1], vcc
	s_xor_b64 s[0:1], exec, s[0:1]
; %bb.49:                               ;   in Loop: Header=BB91_45 Depth=1
	v_add_u32_e32 v2, 7, v11
	v_cmp_lt_u64_e32 vcc, s[8:9], v[4:5]
	v_cndmask_b32_e32 v2, v10, v2, vcc
	v_cndmask_b32_e64 v10, 0, 1, vcc
	v_lshrrev_b64 v[4:5], v10, v[4:5]
; %bb.50:                               ;   in Loop: Header=BB91_45 Depth=1
	s_andn2_saveexec_b64 s[0:1], s[0:1]
; %bb.51:                               ;   in Loop: Header=BB91_45 Depth=1
	v_bfe_u32 v2, v4, 23, 1
; %bb.52:                               ;   in Loop: Header=BB91_45 Depth=1
	s_or_b64 exec, exec, s[0:1]
	v_lshrrev_b64 v[4:5], 20, v[4:5]
	v_cmp_gt_i32_e32 vcc, 16, v2
	v_cndmask_b32_e32 v5, 0, v5, vcc
	v_cndmask_b32_e32 v4, 7, v4, vcc
	v_cmp_ne_u32_e32 vcc, 0, v2
	v_cmp_ne_u64_e64 s[0:1], 0, v[4:5]
	s_or_b64 s[0:1], vcc, s[0:1]
                                        ; implicit-def: $vgpr5
	s_and_saveexec_b64 s[26:27], s[0:1]
	s_xor_b64 s[0:1], exec, s[26:27]
; %bb.53:                               ;   in Loop: Header=BB91_45 Depth=1
	v_min_i32_e32 v2, 15, v2
	v_lshl_or_b32 v2, v2, 3, v9
	v_and_or_b32 v5, v4, 7, v2
                                        ; implicit-def: $vgpr9
; %bb.54:                               ;   in Loop: Header=BB91_45 Depth=1
	s_andn2_saveexec_b64 s[0:1], s[0:1]
; %bb.55:                               ;   in Loop: Header=BB91_45 Depth=1
	v_mov_b32_e32 v5, v9
; %bb.56:                               ;   in Loop: Header=BB91_45 Depth=1
	s_or_b64 exec, exec, s[0:1]
.LBB91_57:                              ;   in Loop: Header=BB91_45 Depth=1
	s_or_b64 exec, exec, s[16:17]
.LBB91_58:                              ;   in Loop: Header=BB91_45 Depth=1
	s_andn2_saveexec_b64 s[0:1], s[14:15]
	s_or_b64 exec, exec, s[0:1]
                                        ; implicit-def: $vgpr4
.LBB91_59:                              ;   in Loop: Header=BB91_45 Depth=1
	s_andn2_saveexec_b64 s[0:1], s[12:13]
	s_cbranch_execz .LBB91_44
; %bb.60:                               ;   in Loop: Header=BB91_45 Depth=1
	v_or_b32_sdwa v4, v4, s24 dst_sel:DWORD dst_unused:UNUSED_PAD src0_sel:BYTE_3 src1_sel:DWORD
	v_cmp_eq_u64_e32 vcc, 0, v[2:3]
	v_cndmask_b32_e32 v5, v4, v5, vcc
	s_branch .LBB91_44
.LBB91_61:
	s_endpgm
.LBB91_62:
                                        ; implicit-def: $sgpr22_sgpr23
	s_branch .LBB91_6
	.section	.rodata,"a",@progbits
	.p2align	6, 0x0
	.amdhsa_kernel _ZN4vllm38concat_and_cache_mla_rope_fused_kernelIffLb0E14__hip_bfloat16hLNS_18Fp8KVCacheDataTypeE1EEEvPKlPT_S6_PKS5_PKT0_illlliPT3_S4_iiiiPKf
		.amdhsa_group_segment_fixed_size 0
		.amdhsa_private_segment_fixed_size 0
		.amdhsa_kernarg_size 384
		.amdhsa_user_sgpr_count 6
		.amdhsa_user_sgpr_private_segment_buffer 1
		.amdhsa_user_sgpr_dispatch_ptr 0
		.amdhsa_user_sgpr_queue_ptr 0
		.amdhsa_user_sgpr_kernarg_segment_ptr 1
		.amdhsa_user_sgpr_dispatch_id 0
		.amdhsa_user_sgpr_flat_scratch_init 0
		.amdhsa_user_sgpr_kernarg_preload_length 0
		.amdhsa_user_sgpr_kernarg_preload_offset 0
		.amdhsa_user_sgpr_private_segment_size 0
		.amdhsa_uses_dynamic_stack 0
		.amdhsa_system_sgpr_private_segment_wavefront_offset 0
		.amdhsa_system_sgpr_workgroup_id_x 1
		.amdhsa_system_sgpr_workgroup_id_y 0
		.amdhsa_system_sgpr_workgroup_id_z 0
		.amdhsa_system_sgpr_workgroup_info 0
		.amdhsa_system_vgpr_workitem_id 0
		.amdhsa_next_free_vgpr 24
		.amdhsa_next_free_sgpr 56
		.amdhsa_accum_offset 24
		.amdhsa_reserve_vcc 1
		.amdhsa_reserve_flat_scratch 0
		.amdhsa_float_round_mode_32 0
		.amdhsa_float_round_mode_16_64 0
		.amdhsa_float_denorm_mode_32 3
		.amdhsa_float_denorm_mode_16_64 3
		.amdhsa_dx10_clamp 1
		.amdhsa_ieee_mode 1
		.amdhsa_fp16_overflow 0
		.amdhsa_tg_split 0
		.amdhsa_exception_fp_ieee_invalid_op 0
		.amdhsa_exception_fp_denorm_src 0
		.amdhsa_exception_fp_ieee_div_zero 0
		.amdhsa_exception_fp_ieee_overflow 0
		.amdhsa_exception_fp_ieee_underflow 0
		.amdhsa_exception_fp_ieee_inexact 0
		.amdhsa_exception_int_div_zero 0
	.end_amdhsa_kernel
	.section	.text._ZN4vllm38concat_and_cache_mla_rope_fused_kernelIffLb0E14__hip_bfloat16hLNS_18Fp8KVCacheDataTypeE1EEEvPKlPT_S6_PKS5_PKT0_illlliPT3_S4_iiiiPKf,"axG",@progbits,_ZN4vllm38concat_and_cache_mla_rope_fused_kernelIffLb0E14__hip_bfloat16hLNS_18Fp8KVCacheDataTypeE1EEEvPKlPT_S6_PKS5_PKT0_illlliPT3_S4_iiiiPKf,comdat
.Lfunc_end91:
	.size	_ZN4vllm38concat_and_cache_mla_rope_fused_kernelIffLb0E14__hip_bfloat16hLNS_18Fp8KVCacheDataTypeE1EEEvPKlPT_S6_PKS5_PKT0_illlliPT3_S4_iiiiPKf, .Lfunc_end91-_ZN4vllm38concat_and_cache_mla_rope_fused_kernelIffLb0E14__hip_bfloat16hLNS_18Fp8KVCacheDataTypeE1EEEvPKlPT_S6_PKS5_PKT0_illlliPT3_S4_iiiiPKf
                                        ; -- End function
	.section	.AMDGPU.csdata,"",@progbits
; Kernel info:
; codeLenInByte = 3616
; NumSgprs: 60
; NumVgprs: 24
; NumAgprs: 0
; TotalNumVgprs: 24
; ScratchSize: 0
; MemoryBound: 0
; FloatMode: 240
; IeeeMode: 1
; LDSByteSize: 0 bytes/workgroup (compile time only)
; SGPRBlocks: 7
; VGPRBlocks: 2
; NumSGPRsForWavesPerEU: 60
; NumVGPRsForWavesPerEU: 24
; AccumOffset: 24
; Occupancy: 8
; WaveLimiterHint : 1
; COMPUTE_PGM_RSRC2:SCRATCH_EN: 0
; COMPUTE_PGM_RSRC2:USER_SGPR: 6
; COMPUTE_PGM_RSRC2:TRAP_HANDLER: 0
; COMPUTE_PGM_RSRC2:TGID_X_EN: 1
; COMPUTE_PGM_RSRC2:TGID_Y_EN: 0
; COMPUTE_PGM_RSRC2:TGID_Z_EN: 0
; COMPUTE_PGM_RSRC2:TIDIG_COMP_CNT: 0
; COMPUTE_PGM_RSRC3_GFX90A:ACCUM_OFFSET: 5
; COMPUTE_PGM_RSRC3_GFX90A:TG_SPLIT: 0
	.section	.text._ZN4vllm38concat_and_cache_mla_rope_fused_kernelIfN3c104HalfELb1E14__hip_bfloat16hLNS_18Fp8KVCacheDataTypeE1EEEvPKlPT_S8_PKS7_PKT0_illlliPT3_S6_iiiiPKf,"axG",@progbits,_ZN4vllm38concat_and_cache_mla_rope_fused_kernelIfN3c104HalfELb1E14__hip_bfloat16hLNS_18Fp8KVCacheDataTypeE1EEEvPKlPT_S8_PKS7_PKT0_illlliPT3_S6_iiiiPKf,comdat
	.protected	_ZN4vllm38concat_and_cache_mla_rope_fused_kernelIfN3c104HalfELb1E14__hip_bfloat16hLNS_18Fp8KVCacheDataTypeE1EEEvPKlPT_S8_PKS7_PKT0_illlliPT3_S6_iiiiPKf ; -- Begin function _ZN4vllm38concat_and_cache_mla_rope_fused_kernelIfN3c104HalfELb1E14__hip_bfloat16hLNS_18Fp8KVCacheDataTypeE1EEEvPKlPT_S8_PKS7_PKT0_illlliPT3_S6_iiiiPKf
	.globl	_ZN4vllm38concat_and_cache_mla_rope_fused_kernelIfN3c104HalfELb1E14__hip_bfloat16hLNS_18Fp8KVCacheDataTypeE1EEEvPKlPT_S8_PKS7_PKT0_illlliPT3_S6_iiiiPKf
	.p2align	8
	.type	_ZN4vllm38concat_and_cache_mla_rope_fused_kernelIfN3c104HalfELb1E14__hip_bfloat16hLNS_18Fp8KVCacheDataTypeE1EEEvPKlPT_S8_PKS7_PKT0_illlliPT3_S6_iiiiPKf,@function
_ZN4vllm38concat_and_cache_mla_rope_fused_kernelIfN3c104HalfELb1E14__hip_bfloat16hLNS_18Fp8KVCacheDataTypeE1EEEvPKlPT_S8_PKS7_PKT0_illlliPT3_S6_iiiiPKf: ; @_ZN4vllm38concat_and_cache_mla_rope_fused_kernelIfN3c104HalfELb1E14__hip_bfloat16hLNS_18Fp8KVCacheDataTypeE1EEEvPKlPT_S8_PKS7_PKT0_illlliPT3_S6_iiiiPKf
; %bb.0:
	s_load_dwordx2 s[2:3], s[4:5], 0x60
	s_mov_b32 s7, 0
	s_lshl_b64 s[0:1], s[6:7], 3
	s_waitcnt lgkmcnt(0)
	s_add_u32 s2, s2, s0
	s_addc_u32 s3, s3, s1
	s_load_dwordx2 s[26:27], s[2:3], 0x0
	s_waitcnt lgkmcnt(0)
	v_cmp_lt_i64_e64 s[2:3], s[26:27], 0
	s_and_b64 vcc, exec, s[2:3]
	s_cbranch_vccnz .LBB92_61
; %bb.1:
	s_load_dword s7, s[4:5], 0x28
	s_load_dwordx2 s[2:3], s[4:5], 0x0
	s_load_dwordx4 s[16:19], s[4:5], 0x10
	s_waitcnt lgkmcnt(0)
	s_ashr_i32 s22, s7, 31
	s_add_u32 s0, s2, s0
	s_addc_u32 s1, s3, s1
	s_load_dwordx2 s[20:21], s[0:1], 0x0
	s_load_dwordx2 s[28:29], s[4:5], 0x20
	s_load_dwordx8 s[8:15], s[4:5], 0x30
	s_load_dwordx2 s[2:3], s[4:5], 0x58
	s_load_dword s23, s[4:5], 0x50
	s_waitcnt lgkmcnt(0)
	s_mul_i32 s0, s20, s22
	s_mul_hi_u32 s1, s20, s7
	s_mul_i32 s21, s21, s7
	s_add_i32 s0, s1, s0
	s_add_i32 s31, s0, s21
	s_lshr_b32 s0, s7, 31
	s_mul_i32 s30, s20, s7
	s_add_i32 s7, s7, s0
	s_ashr_i32 s20, s7, 1
	s_mul_i32 s7, s20, s23
	v_cmp_gt_i32_e32 vcc, s7, v0
	s_and_saveexec_b64 s[0:1], vcc
	s_cbranch_execz .LBB92_4
; %bb.2:
	s_lshl_b64 s[22:23], s[30:31], 1
	s_add_u32 s33, s28, s22
	s_addc_u32 s24, s29, s23
	s_load_dwordx2 s[22:23], s[4:5], 0x8
	s_mul_i32 s9, s6, s9
	s_mul_hi_u32 s25, s6, s8
	s_add_i32 s9, s25, s9
	s_load_dword s25, s[4:5], 0x8c
	s_mul_i32 s8, s6, s8
	s_ashr_i32 s21, s20, 31
	s_lshl_b64 s[8:9], s[8:9], 2
	s_waitcnt lgkmcnt(0)
	s_add_u32 s34, s22, s8
	s_addc_u32 s38, s23, s9
	s_abs_i32 s35, s20
	v_cvt_f32_u32_e32 v1, s35
	s_sub_i32 s8, 0, s35
	s_and_b32 s36, s25, 0xffff
	v_mov_b32_e32 v3, s24
	v_rcp_iflag_f32_e32 v1, v1
	s_lshl_b64 s[22:23], s[20:21], 1
	s_lshl_b64 s[24:25], s[20:21], 2
	s_sub_i32 s37, 0, s20
	v_mul_f32_e32 v1, 0x4f7ffffe, v1
	v_cvt_u32_f32_e32 v1, v1
	v_mov_b32_e32 v4, s23
	v_mov_b32_e32 v5, s38
	;; [unrolled: 1-line block ×3, first 2 shown]
	v_mul_lo_u32 v2, s8, v1
	v_mul_hi_u32 v2, v1, v2
	v_add_u32_e32 v1, v1, v2
	s_mov_b64 s[8:9], 0
	v_mov_b32_e32 v2, v0
.LBB92_3:                               ; =>This Inner Loop Header: Depth=1
	v_sub_u32_e32 v8, 0, v2
	v_max_i32_e32 v8, v2, v8
	v_mul_hi_u32 v9, v8, v1
	v_mul_lo_u32 v10, v9, s35
	v_sub_u32_e32 v8, v8, v10
	v_add_u32_e32 v11, 1, v9
	v_cmp_le_u32_e32 vcc, s35, v8
	v_subrev_u32_e32 v10, s35, v8
	v_cndmask_b32_e32 v9, v9, v11, vcc
	v_cndmask_b32_e32 v8, v8, v10, vcc
	v_ashrrev_i32_e32 v7, 31, v2
	v_add_u32_e32 v10, 1, v9
	v_cmp_le_u32_e32 vcc, s35, v8
	v_xor_b32_e32 v7, s21, v7
	v_cndmask_b32_e32 v8, v9, v10, vcc
	v_xor_b32_e32 v8, v8, v7
	v_sub_u32_e32 v7, v8, v7
	v_mad_u64_u32 v[8:9], s[38:39], s37, v7, v[2:3]
	v_ashrrev_i32_e32 v12, 31, v7
	v_ashrrev_i32_e32 v9, 31, v8
	v_mul_lo_u32 v14, v7, s11
	v_mad_u64_u32 v[10:11], s[38:39], v7, s10, 0
	v_mul_lo_u32 v7, v12, s10
	v_lshlrev_b64 v[12:13], 1, v[8:9]
	v_add_co_u32_e32 v12, vcc, s33, v12
	v_addc_co_u32_e32 v13, vcc, v3, v13, vcc
	v_add3_u32 v11, v11, v14, v7
	v_add_co_u32_e32 v14, vcc, s22, v12
	v_lshlrev_b64 v[10:11], 2, v[10:11]
	v_addc_co_u32_e32 v15, vcc, v13, v4, vcc
	v_add_co_u32_e32 v7, vcc, s34, v10
	v_lshlrev_b64 v[8:9], 2, v[8:9]
	v_addc_co_u32_e32 v10, vcc, v5, v11, vcc
	global_load_ushort v16, v[12:13], off
	global_load_ushort v17, v[14:15], off
	v_add_co_u32_e32 v8, vcc, v7, v8
	v_addc_co_u32_e32 v9, vcc, v10, v9, vcc
	v_add_co_u32_e32 v10, vcc, s24, v8
	v_addc_co_u32_e32 v11, vcc, v9, v6, vcc
	global_load_dword v7, v[8:9], off
	global_load_dword v12, v[10:11], off
	v_add_u32_e32 v2, s36, v2
	v_cmp_le_i32_e32 vcc, s7, v2
	s_or_b64 s[8:9], vcc, s[8:9]
	s_waitcnt vmcnt(3)
	v_cvt_f32_f16_e32 v13, v16
	s_waitcnt vmcnt(2)
	v_cvt_f32_f16_e32 v14, v17
	s_waitcnt vmcnt(0)
	v_mul_f32_e32 v13, v12, v13
	v_mul_f32_e32 v12, v12, v14
	v_fma_mix_f32 v13, v7, v17, v13 op_sel_hi:[0,1,0]
	v_fma_mix_f32 v7, v7, v16, -v12 op_sel_hi:[0,1,0]
	global_store_dword v[8:9], v7, off
	global_store_dword v[10:11], v13, off
	s_andn2_b64 exec, exec, s[8:9]
	s_cbranch_execnz .LBB92_3
.LBB92_4:
	s_or_b64 exec, exec, s[0:1]
	s_load_dwordx4 s[8:11], s[4:5], 0x68
	s_waitcnt lgkmcnt(0)
	s_ashr_i32 s35, s11, 31
	s_mov_b32 s34, s11
	s_or_b64 s[0:1], s[26:27], s[34:35]
	s_mov_b32 s0, 0
	s_cmp_lg_u64 s[0:1], 0
	s_cbranch_scc0 .LBB92_62
; %bb.5:
	s_add_u32 s0, s34, s35
	s_mov_b32 s22, s35
	s_mov_b32 s23, s35
	s_addc_u32 s1, s35, s35
	s_xor_b64 s[36:37], s[0:1], s[22:23]
	v_cvt_f32_u32_e32 v1, s36
	v_cvt_f32_u32_e32 v2, s37
	s_sub_u32 s0, 0, s36
	s_subb_u32 s1, 0, s37
	v_madmk_f32 v1, v2, 0x4f800000, v1
	v_rcp_f32_e32 v1, v1
	v_mul_f32_e32 v1, 0x5f7ffffc, v1
	v_mul_f32_e32 v2, 0x2f800000, v1
	v_trunc_f32_e32 v2, v2
	v_madmk_f32 v1, v2, 0xcf800000, v1
	v_cvt_u32_f32_e32 v2, v2
	v_cvt_u32_f32_e32 v1, v1
	v_readfirstlane_b32 s7, v2
	v_readfirstlane_b32 s11, v1
	s_mul_i32 s21, s0, s7
	s_mul_hi_u32 s38, s0, s11
	s_mul_i32 s33, s1, s11
	s_add_i32 s21, s38, s21
	s_add_i32 s21, s21, s33
	s_mul_i32 s39, s0, s11
	s_mul_hi_u32 s33, s11, s21
	s_mul_i32 s38, s11, s21
	s_mul_hi_u32 s11, s11, s39
	s_add_u32 s11, s11, s38
	s_addc_u32 s33, 0, s33
	s_mul_hi_u32 s40, s7, s39
	s_mul_i32 s39, s7, s39
	s_add_u32 s11, s11, s39
	s_mul_hi_u32 s38, s7, s21
	s_addc_u32 s11, s33, s40
	s_addc_u32 s33, s38, 0
	s_mul_i32 s21, s7, s21
	s_add_u32 s11, s11, s21
	s_addc_u32 s21, 0, s33
	v_add_co_u32_e32 v1, vcc, s11, v1
	s_cmp_lg_u64 vcc, 0
	s_addc_u32 s7, s7, s21
	v_readfirstlane_b32 s21, v1
	s_mul_i32 s11, s0, s7
	s_mul_hi_u32 s33, s0, s21
	s_add_i32 s11, s33, s11
	s_mul_i32 s1, s1, s21
	s_add_i32 s11, s11, s1
	s_mul_i32 s0, s0, s21
	s_mul_hi_u32 s33, s7, s0
	s_mul_i32 s38, s7, s0
	s_mul_i32 s40, s21, s11
	s_mul_hi_u32 s0, s21, s0
	s_mul_hi_u32 s39, s21, s11
	s_add_u32 s0, s0, s40
	s_addc_u32 s21, 0, s39
	s_add_u32 s0, s0, s38
	s_mul_hi_u32 s1, s7, s11
	s_addc_u32 s0, s21, s33
	s_addc_u32 s1, s1, 0
	s_mul_i32 s11, s7, s11
	s_add_u32 s0, s0, s11
	s_addc_u32 s1, 0, s1
	v_add_co_u32_e32 v1, vcc, s0, v1
	s_cmp_lg_u64 vcc, 0
	s_addc_u32 s7, s7, s1
	s_ashr_i32 s38, s27, 31
	s_add_u32 s0, s26, s38
	s_mov_b32 s39, s38
	s_addc_u32 s1, s27, s38
	s_xor_b64 s[40:41], s[0:1], s[38:39]
	v_readfirstlane_b32 s11, v1
	s_mul_i32 s1, s40, s7
	s_mul_hi_u32 s21, s40, s11
	s_mul_hi_u32 s0, s40, s7
	s_add_u32 s1, s21, s1
	s_addc_u32 s0, 0, s0
	s_mul_hi_u32 s33, s41, s11
	s_mul_i32 s11, s41, s11
	s_add_u32 s1, s1, s11
	s_mul_hi_u32 s21, s41, s7
	s_addc_u32 s0, s0, s33
	s_addc_u32 s1, s21, 0
	s_mul_i32 s7, s41, s7
	s_add_u32 s7, s0, s7
	s_addc_u32 s11, 0, s1
	s_mul_i32 s0, s36, s11
	s_mul_hi_u32 s1, s36, s7
	s_add_i32 s0, s1, s0
	s_mul_i32 s1, s37, s7
	s_add_i32 s21, s0, s1
	s_mul_i32 s1, s36, s7
	v_mov_b32_e32 v1, s1
	s_sub_i32 s0, s41, s21
	v_sub_co_u32_e32 v1, vcc, s40, v1
	s_cmp_lg_u64 vcc, 0
	s_subb_u32 s33, s0, s37
	v_subrev_co_u32_e64 v2, s[0:1], s36, v1
	s_cmp_lg_u64 s[0:1], 0
	s_subb_u32 s0, s33, 0
	s_cmp_ge_u32 s0, s37
	v_readfirstlane_b32 s33, v2
	s_cselect_b32 s1, -1, 0
	s_cmp_ge_u32 s33, s36
	s_cselect_b32 s33, -1, 0
	s_cmp_eq_u32 s0, s37
	s_cselect_b32 s0, s33, s1
	s_add_u32 s1, s7, 1
	s_addc_u32 s33, s11, 0
	s_add_u32 s40, s7, 2
	s_addc_u32 s42, s11, 0
	s_cmp_lg_u32 s0, 0
	s_cselect_b32 s0, s40, s1
	s_cselect_b32 s1, s42, s33
	s_cmp_lg_u64 vcc, 0
	s_subb_u32 s21, s41, s21
	s_cmp_ge_u32 s21, s37
	v_readfirstlane_b32 s40, v1
	s_cselect_b32 s33, -1, 0
	s_cmp_ge_u32 s40, s36
	s_cselect_b32 s36, -1, 0
	s_cmp_eq_u32 s21, s37
	s_cselect_b32 s21, s36, s33
	s_cmp_lg_u32 s21, 0
	s_cselect_b32 s1, s1, s11
	s_cselect_b32 s0, s0, s7
	s_xor_b64 s[22:23], s[38:39], s[22:23]
	s_xor_b64 s[0:1], s[0:1], s[22:23]
	s_sub_u32 s22, s0, s22
	s_subb_u32 s23, s1, s23
	s_cbranch_execnz .LBB92_7
.LBB92_6:
	v_cvt_f32_u32_e32 v1, s34
	s_sub_i32 s0, 0, s34
	s_mov_b32 s23, 0
	v_rcp_iflag_f32_e32 v1, v1
	v_mul_f32_e32 v1, 0x4f7ffffe, v1
	v_cvt_u32_f32_e32 v1, v1
	v_readfirstlane_b32 s1, v1
	s_mul_i32 s0, s0, s1
	s_mul_hi_u32 s0, s1, s0
	s_add_i32 s1, s1, s0
	s_mul_hi_u32 s0, s26, s1
	s_mul_i32 s7, s0, s34
	s_sub_i32 s7, s26, s7
	s_add_i32 s1, s0, 1
	s_sub_i32 s11, s7, s34
	s_cmp_ge_u32 s7, s34
	s_cselect_b32 s0, s1, s0
	s_cselect_b32 s7, s11, s7
	s_add_i32 s1, s0, 1
	s_cmp_ge_u32 s7, s34
	s_cselect_b32 s22, s1, s0
.LBB92_7:
	s_mul_i32 s0, s22, s35
	s_mul_hi_u32 s1, s22, s34
	s_load_dwordx2 s[24:25], s[4:5], 0x78
	s_add_i32 s0, s1, s0
	s_mul_i32 s1, s23, s34
	s_add_i32 s0, s0, s1
	s_mul_i32 s1, s22, s34
	s_sub_u32 s7, s26, s1
	s_subb_u32 s11, s27, s0
	v_cmp_gt_i32_e32 vcc, s20, v0
	s_mul_hi_u32 s46, s22, s8
	s_mul_i32 s47, s23, s8
	s_mul_i32 s48, s22, s8
	s_mul_hi_u32 s33, s7, s9
	s_mul_i32 s11, s11, s9
	s_mul_i32 s23, s7, s9
	s_and_saveexec_b64 s[26:27], vcc
	s_cbranch_execz .LBB92_42
; %bb.8:
	s_ashr_i32 s0, s8, 31
	s_ashr_i32 s1, s9, 31
	s_mul_i32 s0, s22, s0
	s_mul_i32 s1, s7, s1
	s_add_i32 s0, s46, s0
	s_add_i32 s1, s33, s1
	s_ashr_i32 s21, s20, 31
	s_add_i32 s0, s0, s47
	s_add_i32 s1, s1, s11
	s_add_u32 s34, s48, s23
	s_load_dword s36, s[4:5], 0x8c
	s_addc_u32 s35, s0, s1
	s_add_u32 s0, s34, s2
	s_addc_u32 s1, s35, s3
	s_ashr_i32 s37, s10, 31
	s_add_u32 s49, s0, s10
	s_addc_u32 s50, s1, s37
	s_waitcnt lgkmcnt(0)
	s_and_b32 s52, s36, 0xffff
	s_lshl_b64 s[0:1], s[30:31], 1
	s_add_u32 s0, s28, s0
	v_lshlrev_b32_e32 v1, 1, v0
	s_addc_u32 s1, s29, s1
	v_mov_b32_e32 v2, s1
	v_add_co_u32_e32 v4, vcc, s0, v1
	s_mul_i32 s0, s13, s6
	s_mul_hi_u32 s1, s12, s6
	s_add_i32 s1, s1, s0
	s_mul_i32 s0, s12, s6
	s_lshl_b32 s54, s52, 1
	s_lshl_b64 s[28:29], s[20:21], 1
	s_lshl_b64 s[30:31], s[20:21], 2
	;; [unrolled: 1-line block ×3, first 2 shown]
	s_add_u32 s0, s16, s0
	v_addc_co_u32_e32 v5, vcc, 0, v2, vcc
	v_lshlrev_b32_e32 v1, 2, v0
	s_addc_u32 s1, s17, s1
	s_lshl_b32 s55, s52, 2
	v_add_co_u32_e32 v6, vcc, s0, v1
	s_add_u32 s0, s34, s20
	s_load_dword s51, s[24:25], 0x0
	v_mov_b32_e32 v2, s1
	s_addc_u32 s1, s35, s21
	s_add_u32 s0, s0, s10
	s_addc_u32 s1, s1, s37
	s_mov_b32 s53, 0
	s_add_u32 s21, s2, s0
	v_mov_b32_e32 v3, 0
	v_addc_co_u32_e32 v7, vcc, 0, v2, vcc
	s_mov_b32 s56, s53
	s_addc_u32 s57, s3, s1
	s_mov_b64 s[12:13], 0
	v_mov_b32_e32 v1, s29
	v_mov_b32_e32 v10, s31
	s_movk_i32 s29, 0x80
	s_mov_b64 s[16:17], 0x7f800000
	s_mov_b64 s[34:35], 0x43e00001
	s_movk_i32 s31, 0x7a
	s_mov_b64 s[36:37], 0xffffff
	s_movk_i32 s58, 0x7f
	v_mov_b32_e32 v11, 0xffffff82
	v_mov_b32_e32 v12, 0x78
	s_mov_b64 s[38:39], 0
	s_branch .LBB92_10
.LBB92_9:                               ;   in Loop: Header=BB92_10 Depth=1
	s_or_b64 exec, exec, s[0:1]
	s_add_u32 s38, s38, s52
	v_mov_b32_e32 v2, s57
	v_add_co_u32_e32 v14, vcc, s21, v0
	s_addc_u32 s39, s39, 0
	v_addc_co_u32_e32 v15, vcc, 0, v2, vcc
	s_add_u32 s21, s21, s52
	v_mov_b32_e32 v8, s53
	v_add_co_u32_e32 v4, vcc, s54, v4
	s_addc_u32 s57, s57, 0
	v_add_u32_e32 v2, s38, v0
	v_addc_co_u32_e32 v5, vcc, v5, v8, vcc
	s_add_u32 s49, s49, s52
	s_addc_u32 s50, s50, 0
	v_cmp_le_i32_e32 vcc, s20, v2
	v_mov_b32_e32 v8, s56
	s_or_b64 s[12:13], vcc, s[12:13]
	v_add_co_u32_e32 v6, vcc, s55, v6
	v_addc_co_u32_e32 v7, vcc, v7, v8, vcc
	global_store_byte v[14:15], v9, off
	s_andn2_b64 exec, exec, s[12:13]
	s_cbranch_execz .LBB92_42
.LBB92_10:                              ; =>This Inner Loop Header: Depth=1
	v_add_co_u32_e32 v8, vcc, s28, v4
	v_addc_co_u32_e32 v9, vcc, v5, v1, vcc
	global_load_ushort v2, v[4:5], off
	global_load_ushort v13, v[8:9], off
	v_add_co_u32_e32 v8, vcc, s30, v6
	v_addc_co_u32_e32 v9, vcc, v7, v10, vcc
	global_load_dword v14, v[8:9], off
	global_load_dword v15, v[6:7], off
	v_mov_b32_e32 v17, v3
	s_waitcnt vmcnt(3)
	v_cvt_f32_f16_e32 v16, v2
	s_waitcnt vmcnt(2)
	v_cvt_f32_f16_e32 v18, v13
	s_waitcnt vmcnt(1)
	v_mul_f32_e32 v16, v14, v16
	v_mul_f32_e32 v14, v14, v18
	s_waitcnt vmcnt(0)
	v_fma_mix_f32 v2, v15, v2, -v14 op_sel_hi:[0,1,0]
	global_store_dword v[6:7], v2, off
	v_lshlrev_b32_e32 v2, 16, v2
	s_waitcnt lgkmcnt(0)
	v_div_scale_f32 v14, s[0:1], s51, s51, v2
	v_fma_mix_f32 v13, v15, v13, v16 op_sel_hi:[0,1,0]
	v_rcp_f32_e32 v15, v14
	global_store_dword v[8:9], v13, off
	v_div_scale_f32 v8, vcc, v2, s51, v2
	v_fma_f32 v9, -v14, v15, 1.0
	v_fmac_f32_e32 v15, v9, v15
	v_mul_f32_e32 v9, v8, v15
	v_fma_f32 v16, -v14, v9, v8
	v_fmac_f32_e32 v9, v16, v15
	v_fma_f32 v8, -v14, v9, v8
	v_div_fmas_f32 v8, v8, v15, v9
	v_div_fixup_f32 v8, v8, s51, v2
	v_and_b32_sdwa v14, v8, s29 dst_sel:DWORD dst_unused:UNUSED_PAD src0_sel:BYTE_3 src1_sel:DWORD
	v_and_b32_e32 v16, 0x7f800000, v8
	v_and_b32_e32 v2, 0x7fffff, v8
	v_or_b32_e32 v9, 0x7e, v14
	v_cmp_ne_u64_e32 vcc, s[16:17], v[16:17]
	s_and_saveexec_b64 s[0:1], vcc
	s_xor_b64 s[40:41], exec, s[0:1]
	s_cbranch_execz .LBB92_24
; %bb.11:                               ;   in Loop: Header=BB92_10 Depth=1
	v_and_b32_e32 v16, 0x7fffffff, v8
	v_mov_b32_e32 v17, v3
	v_cmp_gt_u64_e32 vcc, s[34:35], v[16:17]
	s_and_saveexec_b64 s[0:1], vcc
	s_xor_b64 s[42:43], exec, s[0:1]
	s_cbranch_execz .LBB92_23
; %bb.12:                               ;   in Loop: Header=BB92_10 Depth=1
	v_cmp_ne_u32_e32 vcc, 0, v8
	v_mov_b32_e32 v9, 0
	s_and_saveexec_b64 s[44:45], vcc
	s_cbranch_execz .LBB92_22
; %bb.13:                               ;   in Loop: Header=BB92_10 Depth=1
	v_bfe_u32 v8, v8, 23, 8
	v_sub_u32_e32 v15, 0x79, v8
	v_cmp_gt_u32_e32 vcc, s31, v8
	v_cndmask_b32_e32 v15, 0, v15, vcc
	v_cmp_eq_u32_e32 vcc, 0, v8
	v_cndmask_b32_e32 v15, v15, v12, vcc
	v_add_u32_e32 v9, 0xffffff81, v8
	v_or_b32_e32 v16, 0x800000, v2
	v_add_u32_e32 v8, 20, v15
	v_cndmask_b32_e32 v17, v9, v11, vcc
	v_cndmask_b32_e32 v2, v16, v2, vcc
	v_lshlrev_b64 v[8:9], v8, -1
	v_not_b32_e32 v8, v8
	v_lshrrev_b64 v[20:21], v15, v[2:3]
	v_not_b32_e32 v9, v9
	v_and_b32_e32 v8, v2, v8
	v_add_u32_e32 v16, 19, v15
	v_lshrrev_b32_e32 v2, 23, v20
	v_and_b32_e32 v9, 0, v9
	v_lshlrev_b64 v[18:19], v16, 1
	v_add3_u32 v16, v15, v17, v2
	v_bfe_u32 v2, v20, 20, 1
	v_add_u32_e32 v2, -1, v2
	v_cmp_eq_u64_e32 vcc, v[8:9], v[18:19]
	v_cndmask_b32_e32 v2, 0, v2, vcc
	v_add_u32_e32 v2, v2, v20
	v_and_b32_e32 v2, 0xfffff, v2
	v_add_co_u32_e32 v8, vcc, v2, v20
	v_add_u32_e32 v15, 6, v16
	v_addc_co_u32_e32 v9, vcc, 0, v21, vcc
	v_cmp_ne_u32_e32 vcc, 0, v15
                                        ; implicit-def: $vgpr2
	s_and_saveexec_b64 s[0:1], vcc
	s_xor_b64 s[0:1], exec, s[0:1]
; %bb.14:                               ;   in Loop: Header=BB92_10 Depth=1
	v_add_u32_e32 v2, 7, v16
	v_cmp_lt_u64_e32 vcc, s[36:37], v[8:9]
	v_cndmask_b32_e32 v2, v15, v2, vcc
	v_cndmask_b32_e64 v15, 0, 1, vcc
	v_lshrrev_b64 v[8:9], v15, v[8:9]
; %bb.15:                               ;   in Loop: Header=BB92_10 Depth=1
	s_andn2_saveexec_b64 s[0:1], s[0:1]
; %bb.16:                               ;   in Loop: Header=BB92_10 Depth=1
	v_bfe_u32 v2, v8, 23, 1
; %bb.17:                               ;   in Loop: Header=BB92_10 Depth=1
	s_or_b64 exec, exec, s[0:1]
	v_lshrrev_b64 v[8:9], 20, v[8:9]
	v_cmp_gt_i32_e32 vcc, 16, v2
	v_cndmask_b32_e32 v9, 0, v9, vcc
	v_cndmask_b32_e32 v8, 7, v8, vcc
	v_cmp_ne_u32_e32 vcc, 0, v2
	v_cmp_ne_u64_e64 s[0:1], 0, v[8:9]
	s_or_b64 s[0:1], vcc, s[0:1]
                                        ; implicit-def: $vgpr9
	s_and_saveexec_b64 s[60:61], s[0:1]
	s_xor_b64 s[0:1], exec, s[60:61]
; %bb.18:                               ;   in Loop: Header=BB92_10 Depth=1
	v_min_i32_e32 v2, 15, v2
	v_lshl_or_b32 v2, v2, 3, v14
	v_and_or_b32 v9, v8, 7, v2
                                        ; implicit-def: $vgpr14
; %bb.19:                               ;   in Loop: Header=BB92_10 Depth=1
	s_andn2_saveexec_b64 s[0:1], s[0:1]
; %bb.20:                               ;   in Loop: Header=BB92_10 Depth=1
	v_mov_b32_e32 v9, v14
; %bb.21:                               ;   in Loop: Header=BB92_10 Depth=1
	s_or_b64 exec, exec, s[0:1]
.LBB92_22:                              ;   in Loop: Header=BB92_10 Depth=1
	s_or_b64 exec, exec, s[44:45]
.LBB92_23:                              ;   in Loop: Header=BB92_10 Depth=1
	s_andn2_saveexec_b64 s[0:1], s[42:43]
	s_or_b64 exec, exec, s[0:1]
                                        ; implicit-def: $vgpr8
.LBB92_24:                              ;   in Loop: Header=BB92_10 Depth=1
	s_andn2_saveexec_b64 s[0:1], s[40:41]
; %bb.25:                               ;   in Loop: Header=BB92_10 Depth=1
	v_or_b32_sdwa v8, v8, s58 dst_sel:DWORD dst_unused:UNUSED_PAD src0_sel:BYTE_3 src1_sel:DWORD
	v_cmp_eq_u64_e32 vcc, 0, v[2:3]
	v_cndmask_b32_e32 v9, v8, v9, vcc
; %bb.26:                               ;   in Loop: Header=BB92_10 Depth=1
	s_or_b64 exec, exec, s[0:1]
	v_lshlrev_b32_e32 v8, 16, v13
	v_div_scale_f32 v13, s[0:1], s51, s51, v8
	v_rcp_f32_e32 v16, v13
	v_mov_b32_e32 v2, s50
	v_add_co_u32_e32 v14, vcc, s49, v0
	v_addc_co_u32_e32 v15, vcc, 0, v2, vcc
	v_fma_f32 v2, -v13, v16, 1.0
	v_fmac_f32_e32 v16, v2, v16
	v_div_scale_f32 v2, vcc, v8, s51, v8
	global_store_byte v[14:15], v9, off
	v_mul_f32_e32 v9, v2, v16
	v_fma_f32 v14, -v13, v9, v2
	v_fmac_f32_e32 v9, v14, v16
	v_fma_f32 v2, -v13, v9, v2
	v_div_fmas_f32 v2, v2, v16, v9
	v_div_fixup_f32 v8, v2, s51, v8
	v_and_b32_sdwa v13, v8, s29 dst_sel:DWORD dst_unused:UNUSED_PAD src0_sel:BYTE_3 src1_sel:DWORD
	v_and_b32_e32 v14, 0x7f800000, v8
	v_mov_b32_e32 v15, v3
	v_and_b32_e32 v2, 0x7fffff, v8
	v_or_b32_e32 v9, 0x7e, v13
	v_cmp_ne_u64_e32 vcc, s[16:17], v[14:15]
	s_and_saveexec_b64 s[0:1], vcc
	s_xor_b64 s[40:41], exec, s[0:1]
	s_cbranch_execz .LBB92_40
; %bb.27:                               ;   in Loop: Header=BB92_10 Depth=1
	v_and_b32_e32 v14, 0x7fffffff, v8
	v_mov_b32_e32 v15, v3
	v_cmp_gt_u64_e32 vcc, s[34:35], v[14:15]
	s_and_saveexec_b64 s[0:1], vcc
	s_xor_b64 s[42:43], exec, s[0:1]
	s_cbranch_execz .LBB92_39
; %bb.28:                               ;   in Loop: Header=BB92_10 Depth=1
	v_cmp_ne_u32_e32 vcc, 0, v8
	v_mov_b32_e32 v9, 0
	s_and_saveexec_b64 s[44:45], vcc
	s_cbranch_execz .LBB92_38
; %bb.29:                               ;   in Loop: Header=BB92_10 Depth=1
	v_bfe_u32 v8, v8, 23, 8
	v_sub_u32_e32 v14, 0x79, v8
	v_cmp_gt_u32_e32 vcc, s31, v8
	v_cndmask_b32_e32 v14, 0, v14, vcc
	v_cmp_eq_u32_e32 vcc, 0, v8
	v_cndmask_b32_e32 v14, v14, v12, vcc
	v_add_u32_e32 v9, 0xffffff81, v8
	v_or_b32_e32 v15, 0x800000, v2
	v_add_u32_e32 v8, 20, v14
	v_cndmask_b32_e32 v20, v9, v11, vcc
	v_cndmask_b32_e32 v2, v15, v2, vcc
	v_lshlrev_b64 v[8:9], v8, -1
	v_not_b32_e32 v8, v8
	v_lshrrev_b64 v[18:19], v14, v[2:3]
	v_not_b32_e32 v9, v9
	v_and_b32_e32 v8, v2, v8
	v_add_u32_e32 v15, 19, v14
	v_lshrrev_b32_e32 v2, 23, v18
	v_and_b32_e32 v9, 0, v9
	v_lshlrev_b64 v[16:17], v15, 1
	v_add3_u32 v15, v14, v20, v2
	v_bfe_u32 v2, v18, 20, 1
	v_add_u32_e32 v2, -1, v2
	v_cmp_eq_u64_e32 vcc, v[8:9], v[16:17]
	v_cndmask_b32_e32 v2, 0, v2, vcc
	v_add_u32_e32 v2, v2, v18
	v_and_b32_e32 v2, 0xfffff, v2
	v_add_co_u32_e32 v8, vcc, v2, v18
	v_add_u32_e32 v14, 6, v15
	v_addc_co_u32_e32 v9, vcc, 0, v19, vcc
	v_cmp_ne_u32_e32 vcc, 0, v14
                                        ; implicit-def: $vgpr2
	s_and_saveexec_b64 s[0:1], vcc
	s_xor_b64 s[0:1], exec, s[0:1]
; %bb.30:                               ;   in Loop: Header=BB92_10 Depth=1
	v_add_u32_e32 v2, 7, v15
	v_cmp_lt_u64_e32 vcc, s[36:37], v[8:9]
	v_cndmask_b32_e32 v2, v14, v2, vcc
	v_cndmask_b32_e64 v14, 0, 1, vcc
	v_lshrrev_b64 v[8:9], v14, v[8:9]
; %bb.31:                               ;   in Loop: Header=BB92_10 Depth=1
	s_andn2_saveexec_b64 s[0:1], s[0:1]
; %bb.32:                               ;   in Loop: Header=BB92_10 Depth=1
	v_bfe_u32 v2, v8, 23, 1
; %bb.33:                               ;   in Loop: Header=BB92_10 Depth=1
	s_or_b64 exec, exec, s[0:1]
	v_lshrrev_b64 v[8:9], 20, v[8:9]
	v_cmp_gt_i32_e32 vcc, 16, v2
	v_cndmask_b32_e32 v9, 0, v9, vcc
	v_cndmask_b32_e32 v8, 7, v8, vcc
	v_cmp_ne_u32_e32 vcc, 0, v2
	v_cmp_ne_u64_e64 s[0:1], 0, v[8:9]
	s_or_b64 s[0:1], vcc, s[0:1]
                                        ; implicit-def: $vgpr9
	s_and_saveexec_b64 s[60:61], s[0:1]
	s_xor_b64 s[0:1], exec, s[60:61]
; %bb.34:                               ;   in Loop: Header=BB92_10 Depth=1
	v_min_i32_e32 v2, 15, v2
	v_lshl_or_b32 v2, v2, 3, v13
	v_and_or_b32 v9, v8, 7, v2
                                        ; implicit-def: $vgpr13
; %bb.35:                               ;   in Loop: Header=BB92_10 Depth=1
	s_andn2_saveexec_b64 s[0:1], s[0:1]
; %bb.36:                               ;   in Loop: Header=BB92_10 Depth=1
	v_mov_b32_e32 v9, v13
; %bb.37:                               ;   in Loop: Header=BB92_10 Depth=1
	s_or_b64 exec, exec, s[0:1]
.LBB92_38:                              ;   in Loop: Header=BB92_10 Depth=1
	s_or_b64 exec, exec, s[44:45]
.LBB92_39:                              ;   in Loop: Header=BB92_10 Depth=1
	s_andn2_saveexec_b64 s[0:1], s[42:43]
	s_or_b64 exec, exec, s[0:1]
                                        ; implicit-def: $vgpr8
.LBB92_40:                              ;   in Loop: Header=BB92_10 Depth=1
	s_andn2_saveexec_b64 s[0:1], s[40:41]
	s_cbranch_execz .LBB92_9
; %bb.41:                               ;   in Loop: Header=BB92_10 Depth=1
	v_or_b32_sdwa v8, v8, s58 dst_sel:DWORD dst_unused:UNUSED_PAD src0_sel:BYTE_3 src1_sel:DWORD
	v_cmp_eq_u64_e32 vcc, 0, v[2:3]
	v_cndmask_b32_e32 v9, v8, v9, vcc
	s_branch .LBB92_9
.LBB92_42:
	s_or_b64 exec, exec, s[26:27]
	v_cmp_gt_i32_e32 vcc, s10, v0
	s_and_saveexec_b64 s[0:1], vcc
	s_cbranch_execz .LBB92_61
; %bb.43:
	s_mul_i32 s0, s6, s15
	s_mul_hi_u32 s1, s6, s14
	s_add_i32 s1, s1, s0
	s_mul_i32 s0, s6, s14
	s_lshl_b64 s[0:1], s[0:1], 2
	s_add_u32 s18, s18, s0
	s_addc_u32 s0, s19, s1
	s_ashr_i32 s1, s8, 31
	s_mul_i32 s1, s22, s1
	s_add_i32 s1, s46, s1
	s_add_i32 s1, s1, s47
	s_add_u32 s2, s2, s48
	s_addc_u32 s1, s3, s1
	s_ashr_i32 s3, s9, 31
	s_load_dword s4, s[4:5], 0x8c
	s_mul_i32 s7, s7, s3
	s_waitcnt lgkmcnt(0)
	s_load_dword s20, s[24:25], 0x0
	s_add_i32 s3, s33, s7
	s_add_i32 s3, s3, s11
	s_add_u32 s11, s2, s23
	s_addc_u32 s19, s1, s3
	s_and_b32 s21, s4, 0xffff
	s_mov_b64 s[2:3], 0
	v_mov_b32_e32 v6, s0
	v_mov_b32_e32 v3, 0
	s_movk_i32 s22, 0x80
	s_mov_b64 s[4:5], 0x7f800000
	s_mov_b64 s[6:7], 0x43e00001
	s_movk_i32 s23, 0x7a
	s_mov_b64 s[8:9], 0xffffff
	s_movk_i32 s24, 0x7f
	v_mov_b32_e32 v7, 0xffffff82
	v_mov_b32_e32 v8, 0x78
	s_branch .LBB92_45
.LBB92_44:                              ;   in Loop: Header=BB92_45 Depth=1
	s_or_b64 exec, exec, s[0:1]
	v_mov_b32_e32 v2, s19
	v_add_co_u32_e32 v10, vcc, s11, v0
	v_addc_co_u32_e32 v11, vcc, v2, v1, vcc
	v_add_u32_e32 v0, s21, v0
	v_cmp_le_i32_e32 vcc, s10, v0
	s_or_b64 s[2:3], vcc, s[2:3]
	global_store_byte v[10:11], v5, off
	s_andn2_b64 exec, exec, s[2:3]
	s_cbranch_execz .LBB92_61
.LBB92_45:                              ; =>This Inner Loop Header: Depth=1
	v_ashrrev_i32_e32 v1, 31, v0
	v_lshlrev_b64 v[4:5], 2, v[0:1]
	v_add_co_u32_e32 v4, vcc, s18, v4
	v_addc_co_u32_e32 v5, vcc, v6, v5, vcc
	global_load_ushort v2, v[4:5], off
	v_mov_b32_e32 v11, v3
	s_waitcnt vmcnt(0)
	v_lshlrev_b32_e32 v2, 16, v2
	s_waitcnt lgkmcnt(0)
	v_div_scale_f32 v4, s[0:1], s20, s20, v2
	v_rcp_f32_e32 v5, v4
	v_div_scale_f32 v9, vcc, v2, s20, v2
	v_fma_f32 v10, -v4, v5, 1.0
	v_fmac_f32_e32 v5, v10, v5
	v_mul_f32_e32 v10, v9, v5
	v_fma_f32 v12, -v4, v10, v9
	v_fmac_f32_e32 v10, v12, v5
	v_fma_f32 v4, -v4, v10, v9
	v_div_fmas_f32 v4, v4, v5, v10
	v_div_fixup_f32 v4, v4, s20, v2
	v_and_b32_sdwa v9, v4, s22 dst_sel:DWORD dst_unused:UNUSED_PAD src0_sel:BYTE_3 src1_sel:DWORD
	v_and_b32_e32 v10, 0x7f800000, v4
	v_and_b32_e32 v2, 0x7fffff, v4
	v_or_b32_e32 v5, 0x7e, v9
	v_cmp_ne_u64_e32 vcc, s[4:5], v[10:11]
	s_and_saveexec_b64 s[0:1], vcc
	s_xor_b64 s[12:13], exec, s[0:1]
	s_cbranch_execz .LBB92_59
; %bb.46:                               ;   in Loop: Header=BB92_45 Depth=1
	v_and_b32_e32 v10, 0x7fffffff, v4
	v_mov_b32_e32 v11, v3
	v_cmp_gt_u64_e32 vcc, s[6:7], v[10:11]
	s_and_saveexec_b64 s[0:1], vcc
	s_xor_b64 s[14:15], exec, s[0:1]
	s_cbranch_execz .LBB92_58
; %bb.47:                               ;   in Loop: Header=BB92_45 Depth=1
	v_cmp_ne_u32_e32 vcc, 0, v4
	v_mov_b32_e32 v5, 0
	s_and_saveexec_b64 s[16:17], vcc
	s_cbranch_execz .LBB92_57
; %bb.48:                               ;   in Loop: Header=BB92_45 Depth=1
	v_bfe_u32 v4, v4, 23, 8
	v_sub_u32_e32 v10, 0x79, v4
	v_cmp_gt_u32_e32 vcc, s23, v4
	v_cndmask_b32_e32 v10, 0, v10, vcc
	v_cmp_eq_u32_e32 vcc, 0, v4
	v_cndmask_b32_e32 v10, v10, v8, vcc
	v_add_u32_e32 v5, 0xffffff81, v4
	v_or_b32_e32 v11, 0x800000, v2
	v_add_u32_e32 v4, 20, v10
	v_cndmask_b32_e32 v16, v5, v7, vcc
	v_cndmask_b32_e32 v2, v11, v2, vcc
	v_lshlrev_b64 v[4:5], v4, -1
	v_not_b32_e32 v4, v4
	v_lshrrev_b64 v[14:15], v10, v[2:3]
	v_not_b32_e32 v5, v5
	v_and_b32_e32 v4, v2, v4
	v_add_u32_e32 v11, 19, v10
	v_lshrrev_b32_e32 v2, 23, v14
	v_and_b32_e32 v5, 0, v5
	v_lshlrev_b64 v[12:13], v11, 1
	v_add3_u32 v11, v10, v16, v2
	v_bfe_u32 v2, v14, 20, 1
	v_add_u32_e32 v2, -1, v2
	v_cmp_eq_u64_e32 vcc, v[4:5], v[12:13]
	v_cndmask_b32_e32 v2, 0, v2, vcc
	v_add_u32_e32 v2, v2, v14
	v_and_b32_e32 v2, 0xfffff, v2
	v_add_co_u32_e32 v4, vcc, v2, v14
	v_add_u32_e32 v10, 6, v11
	v_addc_co_u32_e32 v5, vcc, 0, v15, vcc
	v_cmp_ne_u32_e32 vcc, 0, v10
                                        ; implicit-def: $vgpr2
	s_and_saveexec_b64 s[0:1], vcc
	s_xor_b64 s[0:1], exec, s[0:1]
; %bb.49:                               ;   in Loop: Header=BB92_45 Depth=1
	v_add_u32_e32 v2, 7, v11
	v_cmp_lt_u64_e32 vcc, s[8:9], v[4:5]
	v_cndmask_b32_e32 v2, v10, v2, vcc
	v_cndmask_b32_e64 v10, 0, 1, vcc
	v_lshrrev_b64 v[4:5], v10, v[4:5]
; %bb.50:                               ;   in Loop: Header=BB92_45 Depth=1
	s_andn2_saveexec_b64 s[0:1], s[0:1]
; %bb.51:                               ;   in Loop: Header=BB92_45 Depth=1
	v_bfe_u32 v2, v4, 23, 1
; %bb.52:                               ;   in Loop: Header=BB92_45 Depth=1
	s_or_b64 exec, exec, s[0:1]
	v_lshrrev_b64 v[4:5], 20, v[4:5]
	v_cmp_gt_i32_e32 vcc, 16, v2
	v_cndmask_b32_e32 v5, 0, v5, vcc
	v_cndmask_b32_e32 v4, 7, v4, vcc
	v_cmp_ne_u32_e32 vcc, 0, v2
	v_cmp_ne_u64_e64 s[0:1], 0, v[4:5]
	s_or_b64 s[0:1], vcc, s[0:1]
                                        ; implicit-def: $vgpr5
	s_and_saveexec_b64 s[26:27], s[0:1]
	s_xor_b64 s[0:1], exec, s[26:27]
; %bb.53:                               ;   in Loop: Header=BB92_45 Depth=1
	v_min_i32_e32 v2, 15, v2
	v_lshl_or_b32 v2, v2, 3, v9
	v_and_or_b32 v5, v4, 7, v2
                                        ; implicit-def: $vgpr9
; %bb.54:                               ;   in Loop: Header=BB92_45 Depth=1
	s_andn2_saveexec_b64 s[0:1], s[0:1]
; %bb.55:                               ;   in Loop: Header=BB92_45 Depth=1
	v_mov_b32_e32 v5, v9
; %bb.56:                               ;   in Loop: Header=BB92_45 Depth=1
	s_or_b64 exec, exec, s[0:1]
.LBB92_57:                              ;   in Loop: Header=BB92_45 Depth=1
	s_or_b64 exec, exec, s[16:17]
.LBB92_58:                              ;   in Loop: Header=BB92_45 Depth=1
	s_andn2_saveexec_b64 s[0:1], s[14:15]
	s_or_b64 exec, exec, s[0:1]
                                        ; implicit-def: $vgpr4
.LBB92_59:                              ;   in Loop: Header=BB92_45 Depth=1
	s_andn2_saveexec_b64 s[0:1], s[12:13]
	s_cbranch_execz .LBB92_44
; %bb.60:                               ;   in Loop: Header=BB92_45 Depth=1
	v_or_b32_sdwa v4, v4, s24 dst_sel:DWORD dst_unused:UNUSED_PAD src0_sel:BYTE_3 src1_sel:DWORD
	v_cmp_eq_u64_e32 vcc, 0, v[2:3]
	v_cndmask_b32_e32 v5, v4, v5, vcc
	s_branch .LBB92_44
.LBB92_61:
	s_endpgm
.LBB92_62:
                                        ; implicit-def: $sgpr22_sgpr23
	s_branch .LBB92_6
	.section	.rodata,"a",@progbits
	.p2align	6, 0x0
	.amdhsa_kernel _ZN4vllm38concat_and_cache_mla_rope_fused_kernelIfN3c104HalfELb1E14__hip_bfloat16hLNS_18Fp8KVCacheDataTypeE1EEEvPKlPT_S8_PKS7_PKT0_illlliPT3_S6_iiiiPKf
		.amdhsa_group_segment_fixed_size 0
		.amdhsa_private_segment_fixed_size 0
		.amdhsa_kernarg_size 384
		.amdhsa_user_sgpr_count 6
		.amdhsa_user_sgpr_private_segment_buffer 1
		.amdhsa_user_sgpr_dispatch_ptr 0
		.amdhsa_user_sgpr_queue_ptr 0
		.amdhsa_user_sgpr_kernarg_segment_ptr 1
		.amdhsa_user_sgpr_dispatch_id 0
		.amdhsa_user_sgpr_flat_scratch_init 0
		.amdhsa_user_sgpr_kernarg_preload_length 0
		.amdhsa_user_sgpr_kernarg_preload_offset 0
		.amdhsa_user_sgpr_private_segment_size 0
		.amdhsa_uses_dynamic_stack 0
		.amdhsa_system_sgpr_private_segment_wavefront_offset 0
		.amdhsa_system_sgpr_workgroup_id_x 1
		.amdhsa_system_sgpr_workgroup_id_y 0
		.amdhsa_system_sgpr_workgroup_id_z 0
		.amdhsa_system_sgpr_workgroup_info 0
		.amdhsa_system_vgpr_workitem_id 0
		.amdhsa_next_free_vgpr 22
		.amdhsa_next_free_sgpr 62
		.amdhsa_accum_offset 24
		.amdhsa_reserve_vcc 1
		.amdhsa_reserve_flat_scratch 0
		.amdhsa_float_round_mode_32 0
		.amdhsa_float_round_mode_16_64 0
		.amdhsa_float_denorm_mode_32 3
		.amdhsa_float_denorm_mode_16_64 3
		.amdhsa_dx10_clamp 1
		.amdhsa_ieee_mode 1
		.amdhsa_fp16_overflow 0
		.amdhsa_tg_split 0
		.amdhsa_exception_fp_ieee_invalid_op 0
		.amdhsa_exception_fp_denorm_src 0
		.amdhsa_exception_fp_ieee_div_zero 0
		.amdhsa_exception_fp_ieee_overflow 0
		.amdhsa_exception_fp_ieee_underflow 0
		.amdhsa_exception_fp_ieee_inexact 0
		.amdhsa_exception_int_div_zero 0
	.end_amdhsa_kernel
	.section	.text._ZN4vllm38concat_and_cache_mla_rope_fused_kernelIfN3c104HalfELb1E14__hip_bfloat16hLNS_18Fp8KVCacheDataTypeE1EEEvPKlPT_S8_PKS7_PKT0_illlliPT3_S6_iiiiPKf,"axG",@progbits,_ZN4vllm38concat_and_cache_mla_rope_fused_kernelIfN3c104HalfELb1E14__hip_bfloat16hLNS_18Fp8KVCacheDataTypeE1EEEvPKlPT_S8_PKS7_PKT0_illlliPT3_S6_iiiiPKf,comdat
.Lfunc_end92:
	.size	_ZN4vllm38concat_and_cache_mla_rope_fused_kernelIfN3c104HalfELb1E14__hip_bfloat16hLNS_18Fp8KVCacheDataTypeE1EEEvPKlPT_S8_PKS7_PKT0_illlliPT3_S6_iiiiPKf, .Lfunc_end92-_ZN4vllm38concat_and_cache_mla_rope_fused_kernelIfN3c104HalfELb1E14__hip_bfloat16hLNS_18Fp8KVCacheDataTypeE1EEEvPKlPT_S8_PKS7_PKT0_illlliPT3_S6_iiiiPKf
                                        ; -- End function
	.section	.AMDGPU.csdata,"",@progbits
; Kernel info:
; codeLenInByte = 3704
; NumSgprs: 66
; NumVgprs: 22
; NumAgprs: 0
; TotalNumVgprs: 22
; ScratchSize: 0
; MemoryBound: 0
; FloatMode: 240
; IeeeMode: 1
; LDSByteSize: 0 bytes/workgroup (compile time only)
; SGPRBlocks: 8
; VGPRBlocks: 2
; NumSGPRsForWavesPerEU: 66
; NumVGPRsForWavesPerEU: 22
; AccumOffset: 24
; Occupancy: 8
; WaveLimiterHint : 1
; COMPUTE_PGM_RSRC2:SCRATCH_EN: 0
; COMPUTE_PGM_RSRC2:USER_SGPR: 6
; COMPUTE_PGM_RSRC2:TRAP_HANDLER: 0
; COMPUTE_PGM_RSRC2:TGID_X_EN: 1
; COMPUTE_PGM_RSRC2:TGID_Y_EN: 0
; COMPUTE_PGM_RSRC2:TGID_Z_EN: 0
; COMPUTE_PGM_RSRC2:TIDIG_COMP_CNT: 0
; COMPUTE_PGM_RSRC3_GFX90A:ACCUM_OFFSET: 5
; COMPUTE_PGM_RSRC3_GFX90A:TG_SPLIT: 0
	.section	.text._ZN4vllm38concat_and_cache_mla_rope_fused_kernelIfN3c104HalfELb0E14__hip_bfloat16hLNS_18Fp8KVCacheDataTypeE1EEEvPKlPT_S8_PKS7_PKT0_illlliPT3_S6_iiiiPKf,"axG",@progbits,_ZN4vllm38concat_and_cache_mla_rope_fused_kernelIfN3c104HalfELb0E14__hip_bfloat16hLNS_18Fp8KVCacheDataTypeE1EEEvPKlPT_S8_PKS7_PKT0_illlliPT3_S6_iiiiPKf,comdat
	.protected	_ZN4vllm38concat_and_cache_mla_rope_fused_kernelIfN3c104HalfELb0E14__hip_bfloat16hLNS_18Fp8KVCacheDataTypeE1EEEvPKlPT_S8_PKS7_PKT0_illlliPT3_S6_iiiiPKf ; -- Begin function _ZN4vllm38concat_and_cache_mla_rope_fused_kernelIfN3c104HalfELb0E14__hip_bfloat16hLNS_18Fp8KVCacheDataTypeE1EEEvPKlPT_S8_PKS7_PKT0_illlliPT3_S6_iiiiPKf
	.globl	_ZN4vllm38concat_and_cache_mla_rope_fused_kernelIfN3c104HalfELb0E14__hip_bfloat16hLNS_18Fp8KVCacheDataTypeE1EEEvPKlPT_S8_PKS7_PKT0_illlliPT3_S6_iiiiPKf
	.p2align	8
	.type	_ZN4vllm38concat_and_cache_mla_rope_fused_kernelIfN3c104HalfELb0E14__hip_bfloat16hLNS_18Fp8KVCacheDataTypeE1EEEvPKlPT_S8_PKS7_PKT0_illlliPT3_S6_iiiiPKf,@function
_ZN4vllm38concat_and_cache_mla_rope_fused_kernelIfN3c104HalfELb0E14__hip_bfloat16hLNS_18Fp8KVCacheDataTypeE1EEEvPKlPT_S8_PKS7_PKT0_illlliPT3_S6_iiiiPKf: ; @_ZN4vllm38concat_and_cache_mla_rope_fused_kernelIfN3c104HalfELb0E14__hip_bfloat16hLNS_18Fp8KVCacheDataTypeE1EEEvPKlPT_S8_PKS7_PKT0_illlliPT3_S6_iiiiPKf
; %bb.0:
	s_load_dwordx2 s[2:3], s[4:5], 0x60
	s_mov_b32 s7, 0
	s_lshl_b64 s[0:1], s[6:7], 3
	s_waitcnt lgkmcnt(0)
	s_add_u32 s2, s2, s0
	s_addc_u32 s3, s3, s1
	s_load_dwordx2 s[26:27], s[2:3], 0x0
	s_waitcnt lgkmcnt(0)
	v_cmp_lt_i64_e64 s[2:3], s[26:27], 0
	s_and_b64 vcc, exec, s[2:3]
	s_cbranch_vccnz .LBB93_61
; %bb.1:
	s_load_dword s7, s[4:5], 0x28
	s_load_dwordx2 s[2:3], s[4:5], 0x0
	s_load_dwordx4 s[16:19], s[4:5], 0x10
	v_lshlrev_b32_e32 v3, 1, v0
	s_waitcnt lgkmcnt(0)
	s_ashr_i32 s22, s7, 31
	s_add_u32 s0, s2, s0
	s_addc_u32 s1, s3, s1
	s_load_dwordx2 s[20:21], s[0:1], 0x0
	s_load_dwordx2 s[28:29], s[4:5], 0x20
	s_load_dwordx8 s[8:15], s[4:5], 0x30
	s_load_dwordx2 s[2:3], s[4:5], 0x58
	s_load_dword s23, s[4:5], 0x50
	s_waitcnt lgkmcnt(0)
	s_mul_i32 s0, s20, s22
	s_mul_hi_u32 s1, s20, s7
	s_mul_i32 s21, s21, s7
	s_add_i32 s0, s1, s0
	s_add_i32 s31, s0, s21
	s_lshr_b32 s0, s7, 31
	s_mul_i32 s30, s20, s7
	s_add_i32 s7, s7, s0
	s_ashr_i32 s20, s7, 1
	s_mul_i32 s7, s20, s23
	v_cmp_gt_i32_e32 vcc, s7, v0
	s_and_saveexec_b64 s[0:1], vcc
	s_cbranch_execz .LBB93_4
; %bb.2:
	s_lshl_b64 s[22:23], s[30:31], 1
	s_add_u32 s24, s28, s22
	s_addc_u32 s38, s29, s23
	s_load_dwordx2 s[22:23], s[4:5], 0x8
	s_load_dword s34, s[4:5], 0x8c
	s_mul_i32 s9, s6, s9
	s_mul_hi_u32 s25, s6, s8
	s_add_i32 s9, s25, s9
	s_mul_i32 s8, s6, s8
	s_ashr_i32 s21, s20, 31
	s_lshl_b64 s[8:9], s[8:9], 2
	s_waitcnt lgkmcnt(0)
	s_add_u32 s25, s22, s8
	s_addc_u32 s39, s23, s9
	s_abs_i32 s33, s20
	v_cvt_f32_u32_e32 v1, s33
	s_sub_i32 s8, 0, s33
	s_and_b32 s34, s34, 0xffff
	s_lshl_b64 s[22:23], s[20:21], 1
	v_rcp_iflag_f32_e32 v1, v1
	s_sub_i32 s35, 0, s20
	s_lshl_b32 s37, s34, 1
	v_mov_b32_e32 v5, s38
	v_mul_f32_e32 v1, 0x4f7ffffe, v1
	v_cvt_u32_f32_e32 v1, v1
	v_mov_b32_e32 v6, s23
	v_mov_b32_e32 v7, s39
	;; [unrolled: 1-line block ×3, first 2 shown]
	v_mul_lo_u32 v2, s8, v1
	v_mul_hi_u32 v2, v1, v2
	s_lshl_b32 s8, s20, 1
	v_add_u32_e32 v1, v1, v2
	s_sub_i32 s36, 0, s8
	s_mov_b64 s[8:9], 0
	v_mov_b32_e32 v2, v3
.LBB93_3:                               ; =>This Inner Loop Header: Depth=1
	v_sub_u32_e32 v9, 0, v4
	v_max_i32_e32 v9, v4, v9
	v_mul_hi_u32 v10, v9, v1
	v_mul_lo_u32 v11, v10, s33
	v_sub_u32_e32 v9, v9, v11
	v_add_u32_e32 v12, 1, v10
	v_cmp_le_u32_e32 vcc, s33, v9
	v_subrev_u32_e32 v11, s33, v9
	v_cndmask_b32_e32 v10, v10, v12, vcc
	v_cndmask_b32_e32 v9, v9, v11, vcc
	v_ashrrev_i32_e32 v8, 31, v4
	v_add_u32_e32 v11, 1, v10
	v_cmp_le_u32_e32 vcc, s33, v9
	v_xor_b32_e32 v8, s21, v8
	v_cndmask_b32_e32 v9, v10, v11, vcc
	v_xor_b32_e32 v9, v9, v8
	v_sub_u32_e32 v12, v9, v8
	v_mad_u64_u32 v[8:9], s[38:39], s35, v12, v[4:5]
	v_ashrrev_i32_e32 v9, 31, v8
	v_lshlrev_b64 v[8:9], 1, v[8:9]
	v_ashrrev_i32_e32 v14, 31, v12
	v_add_co_u32_e32 v8, vcc, s24, v8
	v_mul_lo_u32 v15, v12, s11
	v_mad_u64_u32 v[10:11], s[38:39], v12, s10, 0
	v_mul_lo_u32 v14, v14, s10
	v_addc_co_u32_e32 v9, vcc, v5, v9, vcc
	v_add3_u32 v11, v11, v15, v14
	v_add_co_u32_e32 v14, vcc, s22, v8
	v_mad_u64_u32 v[12:13], s[38:39], s36, v12, v[2:3]
	v_lshlrev_b64 v[10:11], 2, v[10:11]
	v_addc_co_u32_e32 v15, vcc, v9, v6, vcc
	v_ashrrev_i32_e32 v13, 31, v12
	v_add_co_u32_e32 v10, vcc, s25, v10
	global_load_ushort v16, v[8:9], off
	global_load_ushort v17, v[14:15], off
	v_lshlrev_b64 v[12:13], 2, v[12:13]
	v_addc_co_u32_e32 v11, vcc, v7, v11, vcc
	v_add_co_u32_e32 v8, vcc, v10, v12
	v_addc_co_u32_e32 v9, vcc, v11, v13, vcc
	global_load_dwordx2 v[10:11], v[8:9], off
	v_add_u32_e32 v4, s34, v4
	v_cmp_le_i32_e32 vcc, s7, v4
	v_add_u32_e32 v2, s37, v2
	s_or_b64 s[8:9], vcc, s[8:9]
	s_waitcnt vmcnt(2)
	v_cvt_f32_f16_e32 v12, v16
	s_waitcnt vmcnt(1)
	v_cvt_f32_f16_e32 v13, v17
	s_waitcnt vmcnt(0)
	v_mul_f32_e32 v12, v11, v12
	v_mul_f32_e32 v13, v11, v13
	v_fma_mix_f32 v11, v10, v17, v12 op_sel_hi:[0,1,0]
	v_fma_mix_f32 v10, v10, v16, -v13 op_sel_hi:[0,1,0]
	global_store_dwordx2 v[8:9], v[10:11], off
	s_andn2_b64 exec, exec, s[8:9]
	s_cbranch_execnz .LBB93_3
.LBB93_4:
	s_or_b64 exec, exec, s[0:1]
	s_load_dwordx4 s[8:11], s[4:5], 0x68
	s_waitcnt lgkmcnt(0)
	s_ashr_i32 s35, s11, 31
	s_mov_b32 s34, s11
	s_or_b64 s[0:1], s[26:27], s[34:35]
	s_mov_b32 s0, 0
	s_cmp_lg_u64 s[0:1], 0
	s_cbranch_scc0 .LBB93_62
; %bb.5:
	s_add_u32 s0, s34, s35
	s_mov_b32 s22, s35
	s_mov_b32 s23, s35
	s_addc_u32 s1, s35, s35
	s_xor_b64 s[36:37], s[0:1], s[22:23]
	v_cvt_f32_u32_e32 v1, s36
	v_cvt_f32_u32_e32 v2, s37
	s_sub_u32 s0, 0, s36
	s_subb_u32 s1, 0, s37
	v_madmk_f32 v1, v2, 0x4f800000, v1
	v_rcp_f32_e32 v1, v1
	v_mul_f32_e32 v1, 0x5f7ffffc, v1
	v_mul_f32_e32 v2, 0x2f800000, v1
	v_trunc_f32_e32 v2, v2
	v_madmk_f32 v1, v2, 0xcf800000, v1
	v_cvt_u32_f32_e32 v2, v2
	v_cvt_u32_f32_e32 v1, v1
	v_readfirstlane_b32 s7, v2
	v_readfirstlane_b32 s11, v1
	s_mul_i32 s21, s0, s7
	s_mul_hi_u32 s38, s0, s11
	s_mul_i32 s33, s1, s11
	s_add_i32 s21, s38, s21
	s_add_i32 s21, s21, s33
	s_mul_i32 s39, s0, s11
	s_mul_hi_u32 s33, s11, s21
	s_mul_i32 s38, s11, s21
	s_mul_hi_u32 s11, s11, s39
	s_add_u32 s11, s11, s38
	s_addc_u32 s33, 0, s33
	s_mul_hi_u32 s40, s7, s39
	s_mul_i32 s39, s7, s39
	s_add_u32 s11, s11, s39
	s_mul_hi_u32 s38, s7, s21
	s_addc_u32 s11, s33, s40
	s_addc_u32 s33, s38, 0
	s_mul_i32 s21, s7, s21
	s_add_u32 s11, s11, s21
	s_addc_u32 s21, 0, s33
	v_add_co_u32_e32 v1, vcc, s11, v1
	s_cmp_lg_u64 vcc, 0
	s_addc_u32 s7, s7, s21
	v_readfirstlane_b32 s21, v1
	s_mul_i32 s11, s0, s7
	s_mul_hi_u32 s33, s0, s21
	s_add_i32 s11, s33, s11
	s_mul_i32 s1, s1, s21
	s_add_i32 s11, s11, s1
	s_mul_i32 s0, s0, s21
	s_mul_hi_u32 s33, s7, s0
	s_mul_i32 s38, s7, s0
	s_mul_i32 s40, s21, s11
	s_mul_hi_u32 s0, s21, s0
	s_mul_hi_u32 s39, s21, s11
	s_add_u32 s0, s0, s40
	s_addc_u32 s21, 0, s39
	s_add_u32 s0, s0, s38
	s_mul_hi_u32 s1, s7, s11
	s_addc_u32 s0, s21, s33
	s_addc_u32 s1, s1, 0
	s_mul_i32 s11, s7, s11
	s_add_u32 s0, s0, s11
	s_addc_u32 s1, 0, s1
	v_add_co_u32_e32 v1, vcc, s0, v1
	s_cmp_lg_u64 vcc, 0
	s_addc_u32 s7, s7, s1
	s_ashr_i32 s38, s27, 31
	s_add_u32 s0, s26, s38
	s_mov_b32 s39, s38
	s_addc_u32 s1, s27, s38
	s_xor_b64 s[40:41], s[0:1], s[38:39]
	v_readfirstlane_b32 s11, v1
	s_mul_i32 s1, s40, s7
	s_mul_hi_u32 s21, s40, s11
	s_mul_hi_u32 s0, s40, s7
	s_add_u32 s1, s21, s1
	s_addc_u32 s0, 0, s0
	s_mul_hi_u32 s33, s41, s11
	s_mul_i32 s11, s41, s11
	s_add_u32 s1, s1, s11
	s_mul_hi_u32 s21, s41, s7
	s_addc_u32 s0, s0, s33
	s_addc_u32 s1, s21, 0
	s_mul_i32 s7, s41, s7
	s_add_u32 s7, s0, s7
	s_addc_u32 s11, 0, s1
	s_mul_i32 s0, s36, s11
	s_mul_hi_u32 s1, s36, s7
	s_add_i32 s0, s1, s0
	s_mul_i32 s1, s37, s7
	s_add_i32 s21, s0, s1
	s_mul_i32 s1, s36, s7
	v_mov_b32_e32 v1, s1
	s_sub_i32 s0, s41, s21
	v_sub_co_u32_e32 v1, vcc, s40, v1
	s_cmp_lg_u64 vcc, 0
	s_subb_u32 s33, s0, s37
	v_subrev_co_u32_e64 v2, s[0:1], s36, v1
	s_cmp_lg_u64 s[0:1], 0
	s_subb_u32 s0, s33, 0
	s_cmp_ge_u32 s0, s37
	v_readfirstlane_b32 s33, v2
	s_cselect_b32 s1, -1, 0
	s_cmp_ge_u32 s33, s36
	s_cselect_b32 s33, -1, 0
	s_cmp_eq_u32 s0, s37
	s_cselect_b32 s0, s33, s1
	s_add_u32 s1, s7, 1
	s_addc_u32 s33, s11, 0
	s_add_u32 s40, s7, 2
	s_addc_u32 s42, s11, 0
	s_cmp_lg_u32 s0, 0
	s_cselect_b32 s0, s40, s1
	s_cselect_b32 s1, s42, s33
	s_cmp_lg_u64 vcc, 0
	s_subb_u32 s21, s41, s21
	s_cmp_ge_u32 s21, s37
	v_readfirstlane_b32 s40, v1
	s_cselect_b32 s33, -1, 0
	s_cmp_ge_u32 s40, s36
	s_cselect_b32 s36, -1, 0
	s_cmp_eq_u32 s21, s37
	s_cselect_b32 s21, s36, s33
	s_cmp_lg_u32 s21, 0
	s_cselect_b32 s1, s1, s11
	s_cselect_b32 s0, s0, s7
	s_xor_b64 s[22:23], s[38:39], s[22:23]
	s_xor_b64 s[0:1], s[0:1], s[22:23]
	s_sub_u32 s22, s0, s22
	s_subb_u32 s23, s1, s23
	s_cbranch_execnz .LBB93_7
.LBB93_6:
	v_cvt_f32_u32_e32 v1, s34
	s_sub_i32 s0, 0, s34
	s_mov_b32 s23, 0
	v_rcp_iflag_f32_e32 v1, v1
	v_mul_f32_e32 v1, 0x4f7ffffe, v1
	v_cvt_u32_f32_e32 v1, v1
	v_readfirstlane_b32 s1, v1
	s_mul_i32 s0, s0, s1
	s_mul_hi_u32 s0, s1, s0
	s_add_i32 s1, s1, s0
	s_mul_hi_u32 s0, s26, s1
	s_mul_i32 s7, s0, s34
	s_sub_i32 s7, s26, s7
	s_add_i32 s1, s0, 1
	s_sub_i32 s11, s7, s34
	s_cmp_ge_u32 s7, s34
	s_cselect_b32 s0, s1, s0
	s_cselect_b32 s7, s11, s7
	s_add_i32 s1, s0, 1
	s_cmp_ge_u32 s7, s34
	s_cselect_b32 s22, s1, s0
.LBB93_7:
	s_mul_i32 s0, s22, s35
	s_mul_hi_u32 s1, s22, s34
	s_load_dwordx2 s[24:25], s[4:5], 0x78
	s_add_i32 s0, s1, s0
	s_mul_i32 s1, s23, s34
	s_add_i32 s0, s0, s1
	s_mul_i32 s1, s22, s34
	s_sub_u32 s7, s26, s1
	s_subb_u32 s11, s27, s0
	v_cmp_gt_i32_e32 vcc, s20, v0
	s_mul_hi_u32 s42, s22, s8
	s_mul_i32 s43, s23, s8
	s_mul_i32 s44, s22, s8
	s_mul_hi_u32 s33, s7, s9
	s_mul_i32 s11, s11, s9
	s_mul_i32 s23, s7, s9
	s_and_saveexec_b64 s[26:27], vcc
	s_cbranch_execz .LBB93_42
; %bb.8:
	s_ashr_i32 s0, s8, 31
	s_mul_i32 s0, s22, s0
	s_load_dword s1, s[4:5], 0x8c
	s_add_i32 s0, s42, s0
	s_add_i32 s34, s0, s43
	s_ashr_i32 s0, s9, 31
	s_mul_i32 s0, s7, s0
	s_add_i32 s0, s33, s0
	s_ashr_i32 s21, s20, 31
	s_add_i32 s35, s0, s11
	s_ashr_i32 s36, s10, 31
	s_waitcnt lgkmcnt(0)
	s_and_b32 s46, s1, 0xffff
	s_lshl_b64 s[0:1], s[30:31], 1
	s_add_u32 s0, s28, s0
	s_addc_u32 s1, s29, s1
	v_mov_b32_e32 v2, s1
	v_add_co_u32_e32 v1, vcc, s0, v3
	v_addc_co_u32_e32 v10, vcc, 0, v2, vcc
	s_lshl_b32 s48, s46, 1
	s_lshl_b64 s[0:1], s[20:21], 1
	v_add_co_u32_e32 v11, vcc, s0, v1
	s_add_u32 s0, s44, s23
	v_mov_b32_e32 v2, s1
	s_addc_u32 s1, s34, s35
	s_add_u32 s21, s2, s10
	s_addc_u32 s28, s3, s36
	s_add_u32 s0, s21, s0
	v_addc_co_u32_e32 v12, vcc, v10, v2, vcc
	s_addc_u32 s1, s28, s1
	v_mov_b32_e32 v2, s1
	v_add_co_u32_e32 v3, vcc, s0, v3
	s_mul_i32 s0, s13, s6
	s_mul_hi_u32 s1, s12, s6
	s_add_i32 s1, s1, s0
	s_mul_i32 s0, s12, s6
	v_addc_co_u32_e32 v2, vcc, 0, v2, vcc
	s_lshl_b64 s[0:1], s[0:1], 2
	v_add_co_u32_e32 v13, vcc, 1, v3
	s_add_u32 s0, s16, s0
	s_load_dword s45, s[24:25], 0x0
	v_addc_co_u32_e32 v14, vcc, 0, v2, vcc
	v_lshlrev_b32_e32 v2, 3, v0
	s_addc_u32 s1, s17, s1
	v_mov_b32_e32 v3, s1
	v_add_co_u32_e32 v2, vcc, s0, v2
	v_addc_co_u32_e32 v3, vcc, 0, v3, vcc
	v_add_co_u32_e32 v2, vcc, 4, v2
	s_mov_b32 s47, 0
	v_addc_co_u32_e32 v3, vcc, 0, v3, vcc
	s_lshl_b32 s21, s46, 3
	s_mov_b64 s[12:13], 0
	v_mov_b32_e32 v5, 0
	s_movk_i32 s49, 0x80
	s_mov_b64 s[16:17], 0x7f800000
	s_mov_b64 s[28:29], 0x43e00001
	s_movk_i32 s50, 0x7a
	s_mov_b64 s[30:31], 0xffffff
	s_movk_i32 s51, 0x7f
	v_mov_b32_e32 v15, 0xffffff82
	v_mov_b32_e32 v16, 0x78
	s_mov_b64 s[34:35], 0
	v_mov_b32_e32 v17, v0
	s_branch .LBB93_10
.LBB93_9:                               ;   in Loop: Header=BB93_10 Depth=1
	s_or_b64 exec, exec, s[0:1]
	v_add_u32_e32 v17, s46, v17
	s_add_u32 s34, s34, s48
	s_addc_u32 s35, s35, 0
	v_cmp_le_i32_e32 vcc, s20, v17
	v_mov_b32_e32 v4, s47
	s_or_b64 s[12:13], vcc, s[12:13]
	v_add_co_u32_e32 v2, vcc, s21, v2
	v_addc_co_u32_e32 v3, vcc, v3, v4, vcc
	global_store_byte v[6:7], v9, off
	s_andn2_b64 exec, exec, s[12:13]
	s_cbranch_execz .LBB93_42
.LBB93_10:                              ; =>This Inner Loop Header: Depth=1
	v_mov_b32_e32 v4, s35
	v_add_co_u32_e32 v6, vcc, s34, v1
	v_addc_co_u32_e32 v7, vcc, v10, v4, vcc
	v_add_co_u32_e32 v8, vcc, s34, v11
	v_addc_co_u32_e32 v9, vcc, v12, v4, vcc
	global_load_ushort v4, v[8:9], off
	global_load_ushort v20, v[6:7], off
	global_load_dwordx2 v[18:19], v[2:3], off offset:-4
	v_mov_b32_e32 v21, v5
	s_waitcnt vmcnt(2)
	v_cvt_f32_f16_e32 v6, v4
	s_waitcnt vmcnt(1)
	v_cvt_f32_f16_e32 v7, v20
	s_waitcnt vmcnt(0)
	v_mul_f32_e32 v6, v19, v6
	v_mul_f32_e32 v7, v19, v7
	v_fma_mix_f32 v6, v18, v20, -v6 op_sel_hi:[0,1,0]
	v_fma_mix_f32 v7, v18, v4, v7 op_sel_hi:[0,1,0]
	v_lshlrev_b32_e32 v4, 16, v6
	s_waitcnt lgkmcnt(0)
	v_div_scale_f32 v8, s[0:1], s45, s45, v4
	v_rcp_f32_e32 v9, v8
	global_store_dwordx2 v[2:3], v[6:7], off offset:-4
	v_div_scale_f32 v6, vcc, v4, s45, v4
	v_fma_f32 v18, -v8, v9, 1.0
	v_fmac_f32_e32 v9, v18, v9
	v_mul_f32_e32 v18, v6, v9
	v_fma_f32 v19, -v8, v18, v6
	v_fmac_f32_e32 v18, v19, v9
	v_fma_f32 v6, -v8, v18, v6
	v_div_fmas_f32 v6, v6, v9, v18
	v_div_fixup_f32 v8, v6, s45, v4
	v_and_b32_sdwa v6, v8, s49 dst_sel:DWORD dst_unused:UNUSED_PAD src0_sel:BYTE_3 src1_sel:DWORD
	v_and_b32_e32 v20, 0x7f800000, v8
	v_and_b32_e32 v4, 0x7fffff, v8
	v_or_b32_e32 v9, 0x7e, v6
	v_cmp_ne_u64_e32 vcc, s[16:17], v[20:21]
	s_and_saveexec_b64 s[0:1], vcc
	s_xor_b64 s[36:37], exec, s[0:1]
	s_cbranch_execz .LBB93_24
; %bb.11:                               ;   in Loop: Header=BB93_10 Depth=1
	v_and_b32_e32 v18, 0x7fffffff, v8
	v_mov_b32_e32 v19, v5
	v_cmp_gt_u64_e32 vcc, s[28:29], v[18:19]
	s_and_saveexec_b64 s[0:1], vcc
	s_xor_b64 s[38:39], exec, s[0:1]
	s_cbranch_execz .LBB93_23
; %bb.12:                               ;   in Loop: Header=BB93_10 Depth=1
	v_cmp_ne_u32_e32 vcc, 0, v8
	v_mov_b32_e32 v9, 0
	s_and_saveexec_b64 s[40:41], vcc
	s_cbranch_execz .LBB93_22
; %bb.13:                               ;   in Loop: Header=BB93_10 Depth=1
	v_bfe_u32 v8, v8, 23, 8
	v_sub_u32_e32 v18, 0x79, v8
	v_cmp_gt_u32_e32 vcc, s50, v8
	v_cndmask_b32_e32 v18, 0, v18, vcc
	v_cmp_eq_u32_e32 vcc, 0, v8
	v_cndmask_b32_e32 v18, v18, v16, vcc
	v_add_u32_e32 v9, 0xffffff81, v8
	v_or_b32_e32 v19, 0x800000, v4
	v_add_u32_e32 v8, 20, v18
	v_cndmask_b32_e32 v24, v9, v15, vcc
	v_cndmask_b32_e32 v4, v19, v4, vcc
	v_lshlrev_b64 v[8:9], v8, -1
	v_not_b32_e32 v8, v8
	v_lshrrev_b64 v[22:23], v18, v[4:5]
	v_not_b32_e32 v9, v9
	v_and_b32_e32 v8, v4, v8
	v_add_u32_e32 v19, 19, v18
	v_lshrrev_b32_e32 v4, 23, v22
	v_and_b32_e32 v9, 0, v9
	v_lshlrev_b64 v[20:21], v19, 1
	v_add3_u32 v19, v18, v24, v4
	v_bfe_u32 v4, v22, 20, 1
	v_add_u32_e32 v4, -1, v4
	v_cmp_eq_u64_e32 vcc, v[8:9], v[20:21]
	v_cndmask_b32_e32 v4, 0, v4, vcc
	v_add_u32_e32 v4, v4, v22
	v_and_b32_e32 v4, 0xfffff, v4
	v_add_co_u32_e32 v8, vcc, v4, v22
	v_add_u32_e32 v18, 6, v19
	v_addc_co_u32_e32 v9, vcc, 0, v23, vcc
	v_cmp_ne_u32_e32 vcc, 0, v18
                                        ; implicit-def: $vgpr4
	s_and_saveexec_b64 s[0:1], vcc
	s_xor_b64 s[0:1], exec, s[0:1]
; %bb.14:                               ;   in Loop: Header=BB93_10 Depth=1
	v_add_u32_e32 v4, 7, v19
	v_cmp_lt_u64_e32 vcc, s[30:31], v[8:9]
	v_cndmask_b32_e32 v4, v18, v4, vcc
	v_cndmask_b32_e64 v18, 0, 1, vcc
	v_lshrrev_b64 v[8:9], v18, v[8:9]
; %bb.15:                               ;   in Loop: Header=BB93_10 Depth=1
	s_andn2_saveexec_b64 s[0:1], s[0:1]
; %bb.16:                               ;   in Loop: Header=BB93_10 Depth=1
	v_bfe_u32 v4, v8, 23, 1
; %bb.17:                               ;   in Loop: Header=BB93_10 Depth=1
	s_or_b64 exec, exec, s[0:1]
	v_lshrrev_b64 v[8:9], 20, v[8:9]
	v_cmp_gt_i32_e32 vcc, 16, v4
	v_cndmask_b32_e32 v9, 0, v9, vcc
	v_cndmask_b32_e32 v8, 7, v8, vcc
	v_cmp_ne_u32_e32 vcc, 0, v4
	v_cmp_ne_u64_e64 s[0:1], 0, v[8:9]
	s_or_b64 s[0:1], vcc, s[0:1]
                                        ; implicit-def: $vgpr9
	s_and_saveexec_b64 s[52:53], s[0:1]
	s_xor_b64 s[0:1], exec, s[52:53]
; %bb.18:                               ;   in Loop: Header=BB93_10 Depth=1
	v_min_i32_e32 v4, 15, v4
	v_lshl_or_b32 v4, v4, 3, v6
	v_and_or_b32 v9, v8, 7, v4
                                        ; implicit-def: $vgpr6
; %bb.19:                               ;   in Loop: Header=BB93_10 Depth=1
	s_andn2_saveexec_b64 s[0:1], s[0:1]
; %bb.20:                               ;   in Loop: Header=BB93_10 Depth=1
	v_mov_b32_e32 v9, v6
; %bb.21:                               ;   in Loop: Header=BB93_10 Depth=1
	s_or_b64 exec, exec, s[0:1]
.LBB93_22:                              ;   in Loop: Header=BB93_10 Depth=1
	s_or_b64 exec, exec, s[40:41]
.LBB93_23:                              ;   in Loop: Header=BB93_10 Depth=1
	s_andn2_saveexec_b64 s[0:1], s[38:39]
	s_or_b64 exec, exec, s[0:1]
                                        ; implicit-def: $vgpr8
.LBB93_24:                              ;   in Loop: Header=BB93_10 Depth=1
	s_andn2_saveexec_b64 s[0:1], s[36:37]
; %bb.25:                               ;   in Loop: Header=BB93_10 Depth=1
	v_or_b32_sdwa v6, v8, s51 dst_sel:DWORD dst_unused:UNUSED_PAD src0_sel:BYTE_3 src1_sel:DWORD
	v_cmp_eq_u64_e32 vcc, 0, v[4:5]
	v_cndmask_b32_e32 v9, v6, v9, vcc
; %bb.26:                               ;   in Loop: Header=BB93_10 Depth=1
	s_or_b64 exec, exec, s[0:1]
	v_lshlrev_b32_e32 v8, 16, v7
	v_div_scale_f32 v18, s[0:1], s45, s45, v8
	v_rcp_f32_e32 v19, v18
	v_mov_b32_e32 v4, s35
	v_add_co_u32_e32 v6, vcc, s34, v13
	v_addc_co_u32_e32 v7, vcc, v14, v4, vcc
	v_fma_f32 v4, -v18, v19, 1.0
	v_fmac_f32_e32 v19, v4, v19
	v_div_scale_f32 v4, vcc, v8, s45, v8
	global_store_byte v[6:7], v9, off offset:-1
	v_mul_f32_e32 v9, v4, v19
	v_fma_f32 v20, -v18, v9, v4
	v_fmac_f32_e32 v9, v20, v19
	v_fma_f32 v4, -v18, v9, v4
	v_div_fmas_f32 v4, v4, v19, v9
	v_div_fixup_f32 v8, v4, s45, v8
	v_and_b32_sdwa v18, v8, s49 dst_sel:DWORD dst_unused:UNUSED_PAD src0_sel:BYTE_3 src1_sel:DWORD
	v_and_b32_e32 v20, 0x7f800000, v8
	v_mov_b32_e32 v21, v5
	v_and_b32_e32 v4, 0x7fffff, v8
	v_or_b32_e32 v9, 0x7e, v18
	v_cmp_ne_u64_e32 vcc, s[16:17], v[20:21]
	s_and_saveexec_b64 s[0:1], vcc
	s_xor_b64 s[36:37], exec, s[0:1]
	s_cbranch_execz .LBB93_40
; %bb.27:                               ;   in Loop: Header=BB93_10 Depth=1
	v_and_b32_e32 v20, 0x7fffffff, v8
	v_mov_b32_e32 v21, v5
	v_cmp_gt_u64_e32 vcc, s[28:29], v[20:21]
	s_and_saveexec_b64 s[0:1], vcc
	s_xor_b64 s[38:39], exec, s[0:1]
	s_cbranch_execz .LBB93_39
; %bb.28:                               ;   in Loop: Header=BB93_10 Depth=1
	v_cmp_ne_u32_e32 vcc, 0, v8
	v_mov_b32_e32 v9, 0
	s_and_saveexec_b64 s[40:41], vcc
	s_cbranch_execz .LBB93_38
; %bb.29:                               ;   in Loop: Header=BB93_10 Depth=1
	v_bfe_u32 v8, v8, 23, 8
	v_sub_u32_e32 v19, 0x79, v8
	v_cmp_gt_u32_e32 vcc, s50, v8
	v_cndmask_b32_e32 v19, 0, v19, vcc
	v_cmp_eq_u32_e32 vcc, 0, v8
	v_cndmask_b32_e32 v19, v19, v16, vcc
	v_add_u32_e32 v9, 0xffffff81, v8
	v_or_b32_e32 v20, 0x800000, v4
	v_add_u32_e32 v8, 20, v19
	v_cndmask_b32_e32 v21, v9, v15, vcc
	v_cndmask_b32_e32 v4, v20, v4, vcc
	v_lshlrev_b64 v[8:9], v8, -1
	v_not_b32_e32 v8, v8
	v_lshrrev_b64 v[24:25], v19, v[4:5]
	v_not_b32_e32 v9, v9
	v_and_b32_e32 v8, v4, v8
	v_add_u32_e32 v20, 19, v19
	v_lshrrev_b32_e32 v4, 23, v24
	v_and_b32_e32 v9, 0, v9
	v_lshlrev_b64 v[22:23], v20, 1
	v_add3_u32 v20, v19, v21, v4
	v_bfe_u32 v4, v24, 20, 1
	v_add_u32_e32 v4, -1, v4
	v_cmp_eq_u64_e32 vcc, v[8:9], v[22:23]
	v_cndmask_b32_e32 v4, 0, v4, vcc
	v_add_u32_e32 v4, v4, v24
	v_and_b32_e32 v4, 0xfffff, v4
	v_add_co_u32_e32 v8, vcc, v4, v24
	v_add_u32_e32 v19, 6, v20
	v_addc_co_u32_e32 v9, vcc, 0, v25, vcc
	v_cmp_ne_u32_e32 vcc, 0, v19
                                        ; implicit-def: $vgpr4
	s_and_saveexec_b64 s[0:1], vcc
	s_xor_b64 s[0:1], exec, s[0:1]
; %bb.30:                               ;   in Loop: Header=BB93_10 Depth=1
	v_add_u32_e32 v4, 7, v20
	v_cmp_lt_u64_e32 vcc, s[30:31], v[8:9]
	v_cndmask_b32_e32 v4, v19, v4, vcc
	v_cndmask_b32_e64 v19, 0, 1, vcc
	v_lshrrev_b64 v[8:9], v19, v[8:9]
; %bb.31:                               ;   in Loop: Header=BB93_10 Depth=1
	s_andn2_saveexec_b64 s[0:1], s[0:1]
; %bb.32:                               ;   in Loop: Header=BB93_10 Depth=1
	v_bfe_u32 v4, v8, 23, 1
; %bb.33:                               ;   in Loop: Header=BB93_10 Depth=1
	s_or_b64 exec, exec, s[0:1]
	v_lshrrev_b64 v[8:9], 20, v[8:9]
	v_cmp_gt_i32_e32 vcc, 16, v4
	v_cndmask_b32_e32 v9, 0, v9, vcc
	v_cndmask_b32_e32 v8, 7, v8, vcc
	v_cmp_ne_u32_e32 vcc, 0, v4
	v_cmp_ne_u64_e64 s[0:1], 0, v[8:9]
	s_or_b64 s[0:1], vcc, s[0:1]
                                        ; implicit-def: $vgpr9
	s_and_saveexec_b64 s[52:53], s[0:1]
	s_xor_b64 s[0:1], exec, s[52:53]
; %bb.34:                               ;   in Loop: Header=BB93_10 Depth=1
	v_min_i32_e32 v4, 15, v4
	v_lshl_or_b32 v4, v4, 3, v18
	v_and_or_b32 v9, v8, 7, v4
                                        ; implicit-def: $vgpr18
; %bb.35:                               ;   in Loop: Header=BB93_10 Depth=1
	s_andn2_saveexec_b64 s[0:1], s[0:1]
; %bb.36:                               ;   in Loop: Header=BB93_10 Depth=1
	v_mov_b32_e32 v9, v18
; %bb.37:                               ;   in Loop: Header=BB93_10 Depth=1
	s_or_b64 exec, exec, s[0:1]
.LBB93_38:                              ;   in Loop: Header=BB93_10 Depth=1
	s_or_b64 exec, exec, s[40:41]
.LBB93_39:                              ;   in Loop: Header=BB93_10 Depth=1
	s_andn2_saveexec_b64 s[0:1], s[38:39]
	s_or_b64 exec, exec, s[0:1]
                                        ; implicit-def: $vgpr8
.LBB93_40:                              ;   in Loop: Header=BB93_10 Depth=1
	s_andn2_saveexec_b64 s[0:1], s[36:37]
	s_cbranch_execz .LBB93_9
; %bb.41:                               ;   in Loop: Header=BB93_10 Depth=1
	v_or_b32_sdwa v8, v8, s51 dst_sel:DWORD dst_unused:UNUSED_PAD src0_sel:BYTE_3 src1_sel:DWORD
	v_cmp_eq_u64_e32 vcc, 0, v[4:5]
	v_cndmask_b32_e32 v9, v8, v9, vcc
	s_branch .LBB93_9
.LBB93_42:
	s_or_b64 exec, exec, s[26:27]
	v_cmp_gt_i32_e32 vcc, s10, v0
	s_and_saveexec_b64 s[0:1], vcc
	s_cbranch_execz .LBB93_61
; %bb.43:
	s_mul_i32 s0, s6, s15
	s_mul_hi_u32 s1, s6, s14
	s_add_i32 s1, s1, s0
	s_mul_i32 s0, s6, s14
	s_lshl_b64 s[0:1], s[0:1], 2
	s_add_u32 s18, s18, s0
	s_addc_u32 s0, s19, s1
	s_ashr_i32 s1, s8, 31
	s_mul_i32 s1, s22, s1
	s_add_i32 s1, s42, s1
	s_add_i32 s1, s1, s43
	s_add_u32 s2, s2, s44
	s_addc_u32 s1, s3, s1
	s_ashr_i32 s3, s9, 31
	s_load_dword s4, s[4:5], 0x8c
	s_mul_i32 s7, s7, s3
	s_waitcnt lgkmcnt(0)
	s_load_dword s20, s[24:25], 0x0
	s_add_i32 s3, s33, s7
	s_add_i32 s3, s3, s11
	s_add_u32 s11, s2, s23
	s_addc_u32 s19, s1, s3
	s_and_b32 s21, s4, 0xffff
	s_mov_b64 s[2:3], 0
	v_mov_b32_e32 v6, s0
	v_mov_b32_e32 v3, 0
	s_movk_i32 s22, 0x80
	s_mov_b64 s[4:5], 0x7f800000
	s_mov_b64 s[6:7], 0x43e00001
	s_movk_i32 s23, 0x7a
	s_mov_b64 s[8:9], 0xffffff
	s_movk_i32 s24, 0x7f
	v_mov_b32_e32 v7, 0xffffff82
	v_mov_b32_e32 v8, 0x78
	s_branch .LBB93_45
.LBB93_44:                              ;   in Loop: Header=BB93_45 Depth=1
	s_or_b64 exec, exec, s[0:1]
	v_mov_b32_e32 v2, s19
	v_add_co_u32_e32 v10, vcc, s11, v0
	v_addc_co_u32_e32 v11, vcc, v2, v1, vcc
	v_add_u32_e32 v0, s21, v0
	v_cmp_le_i32_e32 vcc, s10, v0
	s_or_b64 s[2:3], vcc, s[2:3]
	global_store_byte v[10:11], v5, off
	s_andn2_b64 exec, exec, s[2:3]
	s_cbranch_execz .LBB93_61
.LBB93_45:                              ; =>This Inner Loop Header: Depth=1
	v_ashrrev_i32_e32 v1, 31, v0
	v_lshlrev_b64 v[4:5], 2, v[0:1]
	v_add_co_u32_e32 v4, vcc, s18, v4
	v_addc_co_u32_e32 v5, vcc, v6, v5, vcc
	global_load_ushort v2, v[4:5], off
	v_mov_b32_e32 v11, v3
	s_waitcnt vmcnt(0)
	v_lshlrev_b32_e32 v2, 16, v2
	s_waitcnt lgkmcnt(0)
	v_div_scale_f32 v4, s[0:1], s20, s20, v2
	v_rcp_f32_e32 v5, v4
	v_div_scale_f32 v9, vcc, v2, s20, v2
	v_fma_f32 v10, -v4, v5, 1.0
	v_fmac_f32_e32 v5, v10, v5
	v_mul_f32_e32 v10, v9, v5
	v_fma_f32 v12, -v4, v10, v9
	v_fmac_f32_e32 v10, v12, v5
	v_fma_f32 v4, -v4, v10, v9
	v_div_fmas_f32 v4, v4, v5, v10
	v_div_fixup_f32 v4, v4, s20, v2
	v_and_b32_sdwa v9, v4, s22 dst_sel:DWORD dst_unused:UNUSED_PAD src0_sel:BYTE_3 src1_sel:DWORD
	v_and_b32_e32 v10, 0x7f800000, v4
	v_and_b32_e32 v2, 0x7fffff, v4
	v_or_b32_e32 v5, 0x7e, v9
	v_cmp_ne_u64_e32 vcc, s[4:5], v[10:11]
	s_and_saveexec_b64 s[0:1], vcc
	s_xor_b64 s[12:13], exec, s[0:1]
	s_cbranch_execz .LBB93_59
; %bb.46:                               ;   in Loop: Header=BB93_45 Depth=1
	v_and_b32_e32 v10, 0x7fffffff, v4
	v_mov_b32_e32 v11, v3
	v_cmp_gt_u64_e32 vcc, s[6:7], v[10:11]
	s_and_saveexec_b64 s[0:1], vcc
	s_xor_b64 s[14:15], exec, s[0:1]
	s_cbranch_execz .LBB93_58
; %bb.47:                               ;   in Loop: Header=BB93_45 Depth=1
	v_cmp_ne_u32_e32 vcc, 0, v4
	v_mov_b32_e32 v5, 0
	s_and_saveexec_b64 s[16:17], vcc
	s_cbranch_execz .LBB93_57
; %bb.48:                               ;   in Loop: Header=BB93_45 Depth=1
	v_bfe_u32 v4, v4, 23, 8
	v_sub_u32_e32 v10, 0x79, v4
	v_cmp_gt_u32_e32 vcc, s23, v4
	v_cndmask_b32_e32 v10, 0, v10, vcc
	v_cmp_eq_u32_e32 vcc, 0, v4
	v_cndmask_b32_e32 v10, v10, v8, vcc
	v_add_u32_e32 v5, 0xffffff81, v4
	v_or_b32_e32 v11, 0x800000, v2
	v_add_u32_e32 v4, 20, v10
	v_cndmask_b32_e32 v16, v5, v7, vcc
	v_cndmask_b32_e32 v2, v11, v2, vcc
	v_lshlrev_b64 v[4:5], v4, -1
	v_not_b32_e32 v4, v4
	v_lshrrev_b64 v[14:15], v10, v[2:3]
	v_not_b32_e32 v5, v5
	v_and_b32_e32 v4, v2, v4
	v_add_u32_e32 v11, 19, v10
	v_lshrrev_b32_e32 v2, 23, v14
	v_and_b32_e32 v5, 0, v5
	v_lshlrev_b64 v[12:13], v11, 1
	v_add3_u32 v11, v10, v16, v2
	v_bfe_u32 v2, v14, 20, 1
	v_add_u32_e32 v2, -1, v2
	v_cmp_eq_u64_e32 vcc, v[4:5], v[12:13]
	v_cndmask_b32_e32 v2, 0, v2, vcc
	v_add_u32_e32 v2, v2, v14
	v_and_b32_e32 v2, 0xfffff, v2
	v_add_co_u32_e32 v4, vcc, v2, v14
	v_add_u32_e32 v10, 6, v11
	v_addc_co_u32_e32 v5, vcc, 0, v15, vcc
	v_cmp_ne_u32_e32 vcc, 0, v10
                                        ; implicit-def: $vgpr2
	s_and_saveexec_b64 s[0:1], vcc
	s_xor_b64 s[0:1], exec, s[0:1]
; %bb.49:                               ;   in Loop: Header=BB93_45 Depth=1
	v_add_u32_e32 v2, 7, v11
	v_cmp_lt_u64_e32 vcc, s[8:9], v[4:5]
	v_cndmask_b32_e32 v2, v10, v2, vcc
	v_cndmask_b32_e64 v10, 0, 1, vcc
	v_lshrrev_b64 v[4:5], v10, v[4:5]
; %bb.50:                               ;   in Loop: Header=BB93_45 Depth=1
	s_andn2_saveexec_b64 s[0:1], s[0:1]
; %bb.51:                               ;   in Loop: Header=BB93_45 Depth=1
	v_bfe_u32 v2, v4, 23, 1
; %bb.52:                               ;   in Loop: Header=BB93_45 Depth=1
	s_or_b64 exec, exec, s[0:1]
	v_lshrrev_b64 v[4:5], 20, v[4:5]
	v_cmp_gt_i32_e32 vcc, 16, v2
	v_cndmask_b32_e32 v5, 0, v5, vcc
	v_cndmask_b32_e32 v4, 7, v4, vcc
	v_cmp_ne_u32_e32 vcc, 0, v2
	v_cmp_ne_u64_e64 s[0:1], 0, v[4:5]
	s_or_b64 s[0:1], vcc, s[0:1]
                                        ; implicit-def: $vgpr5
	s_and_saveexec_b64 s[26:27], s[0:1]
	s_xor_b64 s[0:1], exec, s[26:27]
; %bb.53:                               ;   in Loop: Header=BB93_45 Depth=1
	v_min_i32_e32 v2, 15, v2
	v_lshl_or_b32 v2, v2, 3, v9
	v_and_or_b32 v5, v4, 7, v2
                                        ; implicit-def: $vgpr9
; %bb.54:                               ;   in Loop: Header=BB93_45 Depth=1
	s_andn2_saveexec_b64 s[0:1], s[0:1]
; %bb.55:                               ;   in Loop: Header=BB93_45 Depth=1
	v_mov_b32_e32 v5, v9
; %bb.56:                               ;   in Loop: Header=BB93_45 Depth=1
	s_or_b64 exec, exec, s[0:1]
.LBB93_57:                              ;   in Loop: Header=BB93_45 Depth=1
	s_or_b64 exec, exec, s[16:17]
.LBB93_58:                              ;   in Loop: Header=BB93_45 Depth=1
	s_andn2_saveexec_b64 s[0:1], s[14:15]
	s_or_b64 exec, exec, s[0:1]
                                        ; implicit-def: $vgpr4
.LBB93_59:                              ;   in Loop: Header=BB93_45 Depth=1
	s_andn2_saveexec_b64 s[0:1], s[12:13]
	s_cbranch_execz .LBB93_44
; %bb.60:                               ;   in Loop: Header=BB93_45 Depth=1
	v_or_b32_sdwa v4, v4, s24 dst_sel:DWORD dst_unused:UNUSED_PAD src0_sel:BYTE_3 src1_sel:DWORD
	v_cmp_eq_u64_e32 vcc, 0, v[2:3]
	v_cndmask_b32_e32 v5, v4, v5, vcc
	s_branch .LBB93_44
.LBB93_61:
	s_endpgm
.LBB93_62:
                                        ; implicit-def: $sgpr22_sgpr23
	s_branch .LBB93_6
	.section	.rodata,"a",@progbits
	.p2align	6, 0x0
	.amdhsa_kernel _ZN4vllm38concat_and_cache_mla_rope_fused_kernelIfN3c104HalfELb0E14__hip_bfloat16hLNS_18Fp8KVCacheDataTypeE1EEEvPKlPT_S8_PKS7_PKT0_illlliPT3_S6_iiiiPKf
		.amdhsa_group_segment_fixed_size 0
		.amdhsa_private_segment_fixed_size 0
		.amdhsa_kernarg_size 384
		.amdhsa_user_sgpr_count 6
		.amdhsa_user_sgpr_private_segment_buffer 1
		.amdhsa_user_sgpr_dispatch_ptr 0
		.amdhsa_user_sgpr_queue_ptr 0
		.amdhsa_user_sgpr_kernarg_segment_ptr 1
		.amdhsa_user_sgpr_dispatch_id 0
		.amdhsa_user_sgpr_flat_scratch_init 0
		.amdhsa_user_sgpr_kernarg_preload_length 0
		.amdhsa_user_sgpr_kernarg_preload_offset 0
		.amdhsa_user_sgpr_private_segment_size 0
		.amdhsa_uses_dynamic_stack 0
		.amdhsa_system_sgpr_private_segment_wavefront_offset 0
		.amdhsa_system_sgpr_workgroup_id_x 1
		.amdhsa_system_sgpr_workgroup_id_y 0
		.amdhsa_system_sgpr_workgroup_id_z 0
		.amdhsa_system_sgpr_workgroup_info 0
		.amdhsa_system_vgpr_workitem_id 0
		.amdhsa_next_free_vgpr 26
		.amdhsa_next_free_sgpr 54
		.amdhsa_accum_offset 28
		.amdhsa_reserve_vcc 1
		.amdhsa_reserve_flat_scratch 0
		.amdhsa_float_round_mode_32 0
		.amdhsa_float_round_mode_16_64 0
		.amdhsa_float_denorm_mode_32 3
		.amdhsa_float_denorm_mode_16_64 3
		.amdhsa_dx10_clamp 1
		.amdhsa_ieee_mode 1
		.amdhsa_fp16_overflow 0
		.amdhsa_tg_split 0
		.amdhsa_exception_fp_ieee_invalid_op 0
		.amdhsa_exception_fp_denorm_src 0
		.amdhsa_exception_fp_ieee_div_zero 0
		.amdhsa_exception_fp_ieee_overflow 0
		.amdhsa_exception_fp_ieee_underflow 0
		.amdhsa_exception_fp_ieee_inexact 0
		.amdhsa_exception_int_div_zero 0
	.end_amdhsa_kernel
	.section	.text._ZN4vllm38concat_and_cache_mla_rope_fused_kernelIfN3c104HalfELb0E14__hip_bfloat16hLNS_18Fp8KVCacheDataTypeE1EEEvPKlPT_S8_PKS7_PKT0_illlliPT3_S6_iiiiPKf,"axG",@progbits,_ZN4vllm38concat_and_cache_mla_rope_fused_kernelIfN3c104HalfELb0E14__hip_bfloat16hLNS_18Fp8KVCacheDataTypeE1EEEvPKlPT_S8_PKS7_PKT0_illlliPT3_S6_iiiiPKf,comdat
.Lfunc_end93:
	.size	_ZN4vllm38concat_and_cache_mla_rope_fused_kernelIfN3c104HalfELb0E14__hip_bfloat16hLNS_18Fp8KVCacheDataTypeE1EEEvPKlPT_S8_PKS7_PKT0_illlliPT3_S6_iiiiPKf, .Lfunc_end93-_ZN4vllm38concat_and_cache_mla_rope_fused_kernelIfN3c104HalfELb0E14__hip_bfloat16hLNS_18Fp8KVCacheDataTypeE1EEEvPKlPT_S8_PKS7_PKT0_illlliPT3_S6_iiiiPKf
                                        ; -- End function
	.section	.AMDGPU.csdata,"",@progbits
; Kernel info:
; codeLenInByte = 3652
; NumSgprs: 58
; NumVgprs: 26
; NumAgprs: 0
; TotalNumVgprs: 26
; ScratchSize: 0
; MemoryBound: 0
; FloatMode: 240
; IeeeMode: 1
; LDSByteSize: 0 bytes/workgroup (compile time only)
; SGPRBlocks: 7
; VGPRBlocks: 3
; NumSGPRsForWavesPerEU: 58
; NumVGPRsForWavesPerEU: 26
; AccumOffset: 28
; Occupancy: 8
; WaveLimiterHint : 1
; COMPUTE_PGM_RSRC2:SCRATCH_EN: 0
; COMPUTE_PGM_RSRC2:USER_SGPR: 6
; COMPUTE_PGM_RSRC2:TRAP_HANDLER: 0
; COMPUTE_PGM_RSRC2:TGID_X_EN: 1
; COMPUTE_PGM_RSRC2:TGID_Y_EN: 0
; COMPUTE_PGM_RSRC2:TGID_Z_EN: 0
; COMPUTE_PGM_RSRC2:TIDIG_COMP_CNT: 0
; COMPUTE_PGM_RSRC3_GFX90A:ACCUM_OFFSET: 6
; COMPUTE_PGM_RSRC3_GFX90A:TG_SPLIT: 0
	.section	.text._ZN4vllm38concat_and_cache_mla_rope_fused_kernelIfN3c108BFloat16ELb1E14__hip_bfloat16hLNS_18Fp8KVCacheDataTypeE1EEEvPKlPT_S8_PKS7_PKT0_illlliPT3_S6_iiiiPKf,"axG",@progbits,_ZN4vllm38concat_and_cache_mla_rope_fused_kernelIfN3c108BFloat16ELb1E14__hip_bfloat16hLNS_18Fp8KVCacheDataTypeE1EEEvPKlPT_S8_PKS7_PKT0_illlliPT3_S6_iiiiPKf,comdat
	.protected	_ZN4vllm38concat_and_cache_mla_rope_fused_kernelIfN3c108BFloat16ELb1E14__hip_bfloat16hLNS_18Fp8KVCacheDataTypeE1EEEvPKlPT_S8_PKS7_PKT0_illlliPT3_S6_iiiiPKf ; -- Begin function _ZN4vllm38concat_and_cache_mla_rope_fused_kernelIfN3c108BFloat16ELb1E14__hip_bfloat16hLNS_18Fp8KVCacheDataTypeE1EEEvPKlPT_S8_PKS7_PKT0_illlliPT3_S6_iiiiPKf
	.globl	_ZN4vllm38concat_and_cache_mla_rope_fused_kernelIfN3c108BFloat16ELb1E14__hip_bfloat16hLNS_18Fp8KVCacheDataTypeE1EEEvPKlPT_S8_PKS7_PKT0_illlliPT3_S6_iiiiPKf
	.p2align	8
	.type	_ZN4vllm38concat_and_cache_mla_rope_fused_kernelIfN3c108BFloat16ELb1E14__hip_bfloat16hLNS_18Fp8KVCacheDataTypeE1EEEvPKlPT_S8_PKS7_PKT0_illlliPT3_S6_iiiiPKf,@function
_ZN4vllm38concat_and_cache_mla_rope_fused_kernelIfN3c108BFloat16ELb1E14__hip_bfloat16hLNS_18Fp8KVCacheDataTypeE1EEEvPKlPT_S8_PKS7_PKT0_illlliPT3_S6_iiiiPKf: ; @_ZN4vllm38concat_and_cache_mla_rope_fused_kernelIfN3c108BFloat16ELb1E14__hip_bfloat16hLNS_18Fp8KVCacheDataTypeE1EEEvPKlPT_S8_PKS7_PKT0_illlliPT3_S6_iiiiPKf
; %bb.0:
	s_load_dwordx2 s[2:3], s[4:5], 0x60
	s_mov_b32 s7, 0
	s_lshl_b64 s[0:1], s[6:7], 3
	s_waitcnt lgkmcnt(0)
	s_add_u32 s2, s2, s0
	s_addc_u32 s3, s3, s1
	s_load_dwordx2 s[26:27], s[2:3], 0x0
	s_waitcnt lgkmcnt(0)
	v_cmp_lt_i64_e64 s[2:3], s[26:27], 0
	s_and_b64 vcc, exec, s[2:3]
	s_cbranch_vccnz .LBB94_61
; %bb.1:
	s_load_dword s7, s[4:5], 0x28
	s_load_dwordx2 s[2:3], s[4:5], 0x0
	s_load_dwordx4 s[16:19], s[4:5], 0x10
	s_waitcnt lgkmcnt(0)
	s_ashr_i32 s22, s7, 31
	s_add_u32 s0, s2, s0
	s_addc_u32 s1, s3, s1
	s_load_dwordx2 s[20:21], s[0:1], 0x0
	s_load_dwordx2 s[28:29], s[4:5], 0x20
	s_load_dwordx8 s[8:15], s[4:5], 0x30
	s_load_dwordx2 s[2:3], s[4:5], 0x58
	s_load_dword s23, s[4:5], 0x50
	s_waitcnt lgkmcnt(0)
	s_mul_i32 s0, s20, s22
	s_mul_hi_u32 s1, s20, s7
	s_mul_i32 s21, s21, s7
	s_add_i32 s0, s1, s0
	s_add_i32 s31, s0, s21
	s_lshr_b32 s0, s7, 31
	s_mul_i32 s30, s20, s7
	s_add_i32 s7, s7, s0
	s_ashr_i32 s20, s7, 1
	s_mul_i32 s7, s20, s23
	v_cmp_gt_i32_e32 vcc, s7, v0
	s_and_saveexec_b64 s[0:1], vcc
	s_cbranch_execz .LBB94_4
; %bb.2:
	s_lshl_b64 s[22:23], s[30:31], 1
	s_add_u32 s33, s28, s22
	s_addc_u32 s24, s29, s23
	s_load_dwordx2 s[22:23], s[4:5], 0x8
	s_mul_i32 s9, s6, s9
	s_mul_hi_u32 s25, s6, s8
	s_add_i32 s9, s25, s9
	s_load_dword s25, s[4:5], 0x8c
	s_mul_i32 s8, s6, s8
	s_ashr_i32 s21, s20, 31
	s_lshl_b64 s[8:9], s[8:9], 2
	s_waitcnt lgkmcnt(0)
	s_add_u32 s34, s22, s8
	s_addc_u32 s38, s23, s9
	s_abs_i32 s35, s20
	v_cvt_f32_u32_e32 v1, s35
	s_sub_i32 s8, 0, s35
	s_and_b32 s36, s25, 0xffff
	v_mov_b32_e32 v3, s24
	v_rcp_iflag_f32_e32 v1, v1
	s_lshl_b64 s[22:23], s[20:21], 1
	s_lshl_b64 s[24:25], s[20:21], 2
	s_sub_i32 s37, 0, s20
	v_mul_f32_e32 v1, 0x4f7ffffe, v1
	v_cvt_u32_f32_e32 v1, v1
	v_mov_b32_e32 v4, s23
	v_mov_b32_e32 v5, s38
	;; [unrolled: 1-line block ×3, first 2 shown]
	v_mul_lo_u32 v2, s8, v1
	v_mul_hi_u32 v2, v1, v2
	v_add_u32_e32 v1, v1, v2
	s_mov_b64 s[8:9], 0
	v_mov_b32_e32 v2, v0
.LBB94_3:                               ; =>This Inner Loop Header: Depth=1
	v_sub_u32_e32 v8, 0, v2
	v_max_i32_e32 v8, v2, v8
	v_mul_hi_u32 v9, v8, v1
	v_mul_lo_u32 v10, v9, s35
	v_sub_u32_e32 v8, v8, v10
	v_add_u32_e32 v11, 1, v9
	v_cmp_le_u32_e32 vcc, s35, v8
	v_subrev_u32_e32 v10, s35, v8
	v_cndmask_b32_e32 v9, v9, v11, vcc
	v_cndmask_b32_e32 v8, v8, v10, vcc
	v_ashrrev_i32_e32 v7, 31, v2
	v_add_u32_e32 v10, 1, v9
	v_cmp_le_u32_e32 vcc, s35, v8
	v_xor_b32_e32 v7, s21, v7
	v_cndmask_b32_e32 v8, v9, v10, vcc
	v_xor_b32_e32 v8, v8, v7
	v_sub_u32_e32 v7, v8, v7
	v_mad_u64_u32 v[8:9], s[38:39], s37, v7, v[2:3]
	v_ashrrev_i32_e32 v12, 31, v7
	v_ashrrev_i32_e32 v9, 31, v8
	v_mul_lo_u32 v14, v7, s11
	v_mad_u64_u32 v[10:11], s[38:39], v7, s10, 0
	v_mul_lo_u32 v7, v12, s10
	v_lshlrev_b64 v[12:13], 1, v[8:9]
	v_add_co_u32_e32 v12, vcc, s33, v12
	v_addc_co_u32_e32 v13, vcc, v3, v13, vcc
	v_add3_u32 v11, v11, v14, v7
	v_add_co_u32_e32 v14, vcc, s22, v12
	v_lshlrev_b64 v[10:11], 2, v[10:11]
	v_addc_co_u32_e32 v15, vcc, v13, v4, vcc
	v_add_co_u32_e32 v7, vcc, s34, v10
	v_lshlrev_b64 v[8:9], 2, v[8:9]
	v_addc_co_u32_e32 v10, vcc, v5, v11, vcc
	v_add_co_u32_e32 v8, vcc, v7, v8
	v_addc_co_u32_e32 v9, vcc, v10, v9, vcc
	global_load_ushort v16, v[12:13], off
	global_load_ushort v17, v[14:15], off
	v_add_co_u32_e32 v10, vcc, s24, v8
	v_addc_co_u32_e32 v11, vcc, v9, v6, vcc
	global_load_dword v7, v[8:9], off
	global_load_dword v12, v[10:11], off
	v_add_u32_e32 v2, s36, v2
	v_cmp_le_i32_e32 vcc, s7, v2
	s_or_b64 s[8:9], vcc, s[8:9]
	s_waitcnt vmcnt(3)
	v_lshlrev_b32_e32 v13, 16, v16
	s_waitcnt vmcnt(2)
	v_lshlrev_b32_e32 v14, 16, v17
	s_waitcnt vmcnt(1)
	v_mul_f32_e32 v15, v7, v14
	s_waitcnt vmcnt(0)
	v_mul_f32_e32 v14, v12, v14
	v_fma_f32 v7, v7, v13, -v14
	v_fmac_f32_e32 v15, v12, v13
	global_store_dword v[8:9], v7, off
	global_store_dword v[10:11], v15, off
	s_andn2_b64 exec, exec, s[8:9]
	s_cbranch_execnz .LBB94_3
.LBB94_4:
	s_or_b64 exec, exec, s[0:1]
	s_load_dwordx4 s[8:11], s[4:5], 0x68
	s_waitcnt lgkmcnt(0)
	s_ashr_i32 s35, s11, 31
	s_mov_b32 s34, s11
	s_or_b64 s[0:1], s[26:27], s[34:35]
	s_mov_b32 s0, 0
	s_cmp_lg_u64 s[0:1], 0
	s_cbranch_scc0 .LBB94_62
; %bb.5:
	s_add_u32 s0, s34, s35
	s_mov_b32 s22, s35
	s_mov_b32 s23, s35
	s_addc_u32 s1, s35, s35
	s_xor_b64 s[36:37], s[0:1], s[22:23]
	v_cvt_f32_u32_e32 v1, s36
	v_cvt_f32_u32_e32 v2, s37
	s_sub_u32 s0, 0, s36
	s_subb_u32 s1, 0, s37
	v_madmk_f32 v1, v2, 0x4f800000, v1
	v_rcp_f32_e32 v1, v1
	v_mul_f32_e32 v1, 0x5f7ffffc, v1
	v_mul_f32_e32 v2, 0x2f800000, v1
	v_trunc_f32_e32 v2, v2
	v_madmk_f32 v1, v2, 0xcf800000, v1
	v_cvt_u32_f32_e32 v2, v2
	v_cvt_u32_f32_e32 v1, v1
	v_readfirstlane_b32 s7, v2
	v_readfirstlane_b32 s11, v1
	s_mul_i32 s21, s0, s7
	s_mul_hi_u32 s38, s0, s11
	s_mul_i32 s33, s1, s11
	s_add_i32 s21, s38, s21
	s_add_i32 s21, s21, s33
	s_mul_i32 s39, s0, s11
	s_mul_hi_u32 s33, s11, s21
	s_mul_i32 s38, s11, s21
	s_mul_hi_u32 s11, s11, s39
	s_add_u32 s11, s11, s38
	s_addc_u32 s33, 0, s33
	s_mul_hi_u32 s40, s7, s39
	s_mul_i32 s39, s7, s39
	s_add_u32 s11, s11, s39
	s_mul_hi_u32 s38, s7, s21
	s_addc_u32 s11, s33, s40
	s_addc_u32 s33, s38, 0
	s_mul_i32 s21, s7, s21
	s_add_u32 s11, s11, s21
	s_addc_u32 s21, 0, s33
	v_add_co_u32_e32 v1, vcc, s11, v1
	s_cmp_lg_u64 vcc, 0
	s_addc_u32 s7, s7, s21
	v_readfirstlane_b32 s21, v1
	s_mul_i32 s11, s0, s7
	s_mul_hi_u32 s33, s0, s21
	s_add_i32 s11, s33, s11
	s_mul_i32 s1, s1, s21
	s_add_i32 s11, s11, s1
	s_mul_i32 s0, s0, s21
	s_mul_hi_u32 s33, s7, s0
	s_mul_i32 s38, s7, s0
	s_mul_i32 s40, s21, s11
	s_mul_hi_u32 s0, s21, s0
	s_mul_hi_u32 s39, s21, s11
	s_add_u32 s0, s0, s40
	s_addc_u32 s21, 0, s39
	s_add_u32 s0, s0, s38
	s_mul_hi_u32 s1, s7, s11
	s_addc_u32 s0, s21, s33
	s_addc_u32 s1, s1, 0
	s_mul_i32 s11, s7, s11
	s_add_u32 s0, s0, s11
	s_addc_u32 s1, 0, s1
	v_add_co_u32_e32 v1, vcc, s0, v1
	s_cmp_lg_u64 vcc, 0
	s_addc_u32 s7, s7, s1
	s_ashr_i32 s38, s27, 31
	s_add_u32 s0, s26, s38
	s_mov_b32 s39, s38
	s_addc_u32 s1, s27, s38
	s_xor_b64 s[40:41], s[0:1], s[38:39]
	v_readfirstlane_b32 s11, v1
	s_mul_i32 s1, s40, s7
	s_mul_hi_u32 s21, s40, s11
	s_mul_hi_u32 s0, s40, s7
	s_add_u32 s1, s21, s1
	s_addc_u32 s0, 0, s0
	s_mul_hi_u32 s33, s41, s11
	s_mul_i32 s11, s41, s11
	s_add_u32 s1, s1, s11
	s_mul_hi_u32 s21, s41, s7
	s_addc_u32 s0, s0, s33
	s_addc_u32 s1, s21, 0
	s_mul_i32 s7, s41, s7
	s_add_u32 s7, s0, s7
	s_addc_u32 s11, 0, s1
	s_mul_i32 s0, s36, s11
	s_mul_hi_u32 s1, s36, s7
	s_add_i32 s0, s1, s0
	s_mul_i32 s1, s37, s7
	s_add_i32 s21, s0, s1
	s_mul_i32 s1, s36, s7
	v_mov_b32_e32 v1, s1
	s_sub_i32 s0, s41, s21
	v_sub_co_u32_e32 v1, vcc, s40, v1
	s_cmp_lg_u64 vcc, 0
	s_subb_u32 s33, s0, s37
	v_subrev_co_u32_e64 v2, s[0:1], s36, v1
	s_cmp_lg_u64 s[0:1], 0
	s_subb_u32 s0, s33, 0
	s_cmp_ge_u32 s0, s37
	v_readfirstlane_b32 s33, v2
	s_cselect_b32 s1, -1, 0
	s_cmp_ge_u32 s33, s36
	s_cselect_b32 s33, -1, 0
	s_cmp_eq_u32 s0, s37
	s_cselect_b32 s0, s33, s1
	s_add_u32 s1, s7, 1
	s_addc_u32 s33, s11, 0
	s_add_u32 s40, s7, 2
	s_addc_u32 s42, s11, 0
	s_cmp_lg_u32 s0, 0
	s_cselect_b32 s0, s40, s1
	s_cselect_b32 s1, s42, s33
	s_cmp_lg_u64 vcc, 0
	s_subb_u32 s21, s41, s21
	s_cmp_ge_u32 s21, s37
	v_readfirstlane_b32 s40, v1
	s_cselect_b32 s33, -1, 0
	s_cmp_ge_u32 s40, s36
	s_cselect_b32 s36, -1, 0
	s_cmp_eq_u32 s21, s37
	s_cselect_b32 s21, s36, s33
	s_cmp_lg_u32 s21, 0
	s_cselect_b32 s1, s1, s11
	s_cselect_b32 s0, s0, s7
	s_xor_b64 s[22:23], s[38:39], s[22:23]
	s_xor_b64 s[0:1], s[0:1], s[22:23]
	s_sub_u32 s22, s0, s22
	s_subb_u32 s23, s1, s23
	s_cbranch_execnz .LBB94_7
.LBB94_6:
	v_cvt_f32_u32_e32 v1, s34
	s_sub_i32 s0, 0, s34
	s_mov_b32 s23, 0
	v_rcp_iflag_f32_e32 v1, v1
	v_mul_f32_e32 v1, 0x4f7ffffe, v1
	v_cvt_u32_f32_e32 v1, v1
	v_readfirstlane_b32 s1, v1
	s_mul_i32 s0, s0, s1
	s_mul_hi_u32 s0, s1, s0
	s_add_i32 s1, s1, s0
	s_mul_hi_u32 s0, s26, s1
	s_mul_i32 s7, s0, s34
	s_sub_i32 s7, s26, s7
	s_add_i32 s1, s0, 1
	s_sub_i32 s11, s7, s34
	s_cmp_ge_u32 s7, s34
	s_cselect_b32 s0, s1, s0
	s_cselect_b32 s7, s11, s7
	s_add_i32 s1, s0, 1
	s_cmp_ge_u32 s7, s34
	s_cselect_b32 s22, s1, s0
.LBB94_7:
	s_mul_i32 s0, s22, s35
	s_mul_hi_u32 s1, s22, s34
	s_load_dwordx2 s[24:25], s[4:5], 0x78
	s_add_i32 s0, s1, s0
	s_mul_i32 s1, s23, s34
	s_add_i32 s0, s0, s1
	s_mul_i32 s1, s22, s34
	s_sub_u32 s7, s26, s1
	s_subb_u32 s11, s27, s0
	v_cmp_gt_i32_e32 vcc, s20, v0
	s_mul_hi_u32 s46, s22, s8
	s_mul_i32 s47, s23, s8
	s_mul_i32 s48, s22, s8
	s_mul_hi_u32 s33, s7, s9
	s_mul_i32 s11, s11, s9
	s_mul_i32 s23, s7, s9
	s_and_saveexec_b64 s[26:27], vcc
	s_cbranch_execz .LBB94_42
; %bb.8:
	s_ashr_i32 s0, s8, 31
	s_ashr_i32 s1, s9, 31
	s_mul_i32 s0, s22, s0
	s_mul_i32 s1, s7, s1
	s_add_i32 s0, s46, s0
	s_add_i32 s1, s33, s1
	s_ashr_i32 s21, s20, 31
	s_add_i32 s0, s0, s47
	s_add_i32 s1, s1, s11
	s_add_u32 s34, s48, s23
	s_load_dword s36, s[4:5], 0x8c
	s_addc_u32 s35, s0, s1
	s_add_u32 s0, s34, s2
	s_addc_u32 s1, s35, s3
	s_ashr_i32 s37, s10, 31
	s_add_u32 s49, s0, s10
	s_addc_u32 s50, s1, s37
	s_waitcnt lgkmcnt(0)
	s_and_b32 s52, s36, 0xffff
	s_lshl_b64 s[0:1], s[30:31], 1
	s_add_u32 s0, s28, s0
	v_lshlrev_b32_e32 v1, 1, v0
	s_addc_u32 s1, s29, s1
	v_mov_b32_e32 v2, s1
	v_add_co_u32_e32 v4, vcc, s0, v1
	s_mul_i32 s0, s13, s6
	s_mul_hi_u32 s1, s12, s6
	s_add_i32 s1, s1, s0
	s_mul_i32 s0, s12, s6
	s_lshl_b32 s54, s52, 1
	s_lshl_b64 s[28:29], s[20:21], 1
	s_lshl_b64 s[30:31], s[20:21], 2
	;; [unrolled: 1-line block ×3, first 2 shown]
	s_add_u32 s0, s16, s0
	v_addc_co_u32_e32 v5, vcc, 0, v2, vcc
	v_lshlrev_b32_e32 v1, 2, v0
	s_addc_u32 s1, s17, s1
	s_lshl_b32 s55, s52, 2
	v_add_co_u32_e32 v6, vcc, s0, v1
	s_add_u32 s0, s34, s20
	s_load_dword s51, s[24:25], 0x0
	v_mov_b32_e32 v2, s1
	s_addc_u32 s1, s35, s21
	s_add_u32 s0, s0, s10
	s_addc_u32 s1, s1, s37
	s_mov_b32 s53, 0
	s_add_u32 s21, s2, s0
	v_mov_b32_e32 v3, 0
	v_addc_co_u32_e32 v7, vcc, 0, v2, vcc
	s_mov_b32 s56, s53
	s_addc_u32 s57, s3, s1
	s_mov_b64 s[12:13], 0
	v_mov_b32_e32 v1, s29
	v_mov_b32_e32 v10, s31
	s_movk_i32 s29, 0x80
	s_mov_b64 s[16:17], 0x7f800000
	s_mov_b64 s[34:35], 0x43e00001
	s_movk_i32 s31, 0x7a
	s_mov_b64 s[36:37], 0xffffff
	s_movk_i32 s58, 0x7f
	v_mov_b32_e32 v11, 0xffffff82
	v_mov_b32_e32 v12, 0x78
	s_mov_b64 s[38:39], 0
	s_branch .LBB94_10
.LBB94_9:                               ;   in Loop: Header=BB94_10 Depth=1
	s_or_b64 exec, exec, s[0:1]
	s_add_u32 s38, s38, s52
	v_mov_b32_e32 v2, s57
	v_add_co_u32_e32 v14, vcc, s21, v0
	s_addc_u32 s39, s39, 0
	v_addc_co_u32_e32 v15, vcc, 0, v2, vcc
	s_add_u32 s21, s21, s52
	v_mov_b32_e32 v8, s53
	v_add_co_u32_e32 v4, vcc, s54, v4
	s_addc_u32 s57, s57, 0
	v_add_u32_e32 v2, s38, v0
	v_addc_co_u32_e32 v5, vcc, v5, v8, vcc
	s_add_u32 s49, s49, s52
	s_addc_u32 s50, s50, 0
	v_cmp_le_i32_e32 vcc, s20, v2
	v_mov_b32_e32 v8, s56
	s_or_b64 s[12:13], vcc, s[12:13]
	v_add_co_u32_e32 v6, vcc, s55, v6
	v_addc_co_u32_e32 v7, vcc, v7, v8, vcc
	global_store_byte v[14:15], v9, off
	s_andn2_b64 exec, exec, s[12:13]
	s_cbranch_execz .LBB94_42
.LBB94_10:                              ; =>This Inner Loop Header: Depth=1
	v_add_co_u32_e32 v8, vcc, s28, v4
	v_addc_co_u32_e32 v9, vcc, v5, v1, vcc
	global_load_ushort v2, v[4:5], off
	global_load_ushort v13, v[8:9], off
	v_add_co_u32_e32 v8, vcc, s30, v6
	v_addc_co_u32_e32 v9, vcc, v7, v10, vcc
	global_load_dword v14, v[8:9], off
	global_load_dword v15, v[6:7], off
	v_mov_b32_e32 v17, v3
	s_waitcnt vmcnt(3)
	v_lshlrev_b32_e32 v2, 16, v2
	s_waitcnt vmcnt(2)
	v_lshlrev_b32_e32 v13, 16, v13
	s_waitcnt vmcnt(1)
	v_mul_f32_e32 v16, v14, v13
	s_waitcnt vmcnt(0)
	v_mul_f32_e32 v13, v15, v13
	v_fma_f32 v15, v15, v2, -v16
	v_fmac_f32_e32 v13, v14, v2
	v_lshlrev_b32_e32 v2, 16, v15
	s_waitcnt lgkmcnt(0)
	v_div_scale_f32 v14, s[0:1], s51, s51, v2
	global_store_dword v[6:7], v15, off
	v_rcp_f32_e32 v15, v14
	global_store_dword v[8:9], v13, off
	v_div_scale_f32 v8, vcc, v2, s51, v2
	v_fma_f32 v9, -v14, v15, 1.0
	v_fmac_f32_e32 v15, v9, v15
	v_mul_f32_e32 v9, v8, v15
	v_fma_f32 v16, -v14, v9, v8
	v_fmac_f32_e32 v9, v16, v15
	v_fma_f32 v8, -v14, v9, v8
	v_div_fmas_f32 v8, v8, v15, v9
	v_div_fixup_f32 v8, v8, s51, v2
	v_and_b32_sdwa v14, v8, s29 dst_sel:DWORD dst_unused:UNUSED_PAD src0_sel:BYTE_3 src1_sel:DWORD
	v_and_b32_e32 v16, 0x7f800000, v8
	v_and_b32_e32 v2, 0x7fffff, v8
	v_or_b32_e32 v9, 0x7e, v14
	v_cmp_ne_u64_e32 vcc, s[16:17], v[16:17]
	s_and_saveexec_b64 s[0:1], vcc
	s_xor_b64 s[40:41], exec, s[0:1]
	s_cbranch_execz .LBB94_24
; %bb.11:                               ;   in Loop: Header=BB94_10 Depth=1
	v_and_b32_e32 v16, 0x7fffffff, v8
	v_mov_b32_e32 v17, v3
	v_cmp_gt_u64_e32 vcc, s[34:35], v[16:17]
	s_and_saveexec_b64 s[0:1], vcc
	s_xor_b64 s[42:43], exec, s[0:1]
	s_cbranch_execz .LBB94_23
; %bb.12:                               ;   in Loop: Header=BB94_10 Depth=1
	v_cmp_ne_u32_e32 vcc, 0, v8
	v_mov_b32_e32 v9, 0
	s_and_saveexec_b64 s[44:45], vcc
	s_cbranch_execz .LBB94_22
; %bb.13:                               ;   in Loop: Header=BB94_10 Depth=1
	v_bfe_u32 v8, v8, 23, 8
	v_sub_u32_e32 v15, 0x79, v8
	v_cmp_gt_u32_e32 vcc, s31, v8
	v_cndmask_b32_e32 v15, 0, v15, vcc
	v_cmp_eq_u32_e32 vcc, 0, v8
	v_cndmask_b32_e32 v15, v15, v12, vcc
	v_add_u32_e32 v9, 0xffffff81, v8
	v_or_b32_e32 v16, 0x800000, v2
	v_add_u32_e32 v8, 20, v15
	v_cndmask_b32_e32 v17, v9, v11, vcc
	v_cndmask_b32_e32 v2, v16, v2, vcc
	v_lshlrev_b64 v[8:9], v8, -1
	v_not_b32_e32 v8, v8
	v_lshrrev_b64 v[20:21], v15, v[2:3]
	v_not_b32_e32 v9, v9
	v_and_b32_e32 v8, v2, v8
	v_add_u32_e32 v16, 19, v15
	v_lshrrev_b32_e32 v2, 23, v20
	v_and_b32_e32 v9, 0, v9
	v_lshlrev_b64 v[18:19], v16, 1
	v_add3_u32 v16, v15, v17, v2
	v_bfe_u32 v2, v20, 20, 1
	v_add_u32_e32 v2, -1, v2
	v_cmp_eq_u64_e32 vcc, v[8:9], v[18:19]
	v_cndmask_b32_e32 v2, 0, v2, vcc
	v_add_u32_e32 v2, v2, v20
	v_and_b32_e32 v2, 0xfffff, v2
	v_add_co_u32_e32 v8, vcc, v2, v20
	v_add_u32_e32 v15, 6, v16
	v_addc_co_u32_e32 v9, vcc, 0, v21, vcc
	v_cmp_ne_u32_e32 vcc, 0, v15
                                        ; implicit-def: $vgpr2
	s_and_saveexec_b64 s[0:1], vcc
	s_xor_b64 s[0:1], exec, s[0:1]
; %bb.14:                               ;   in Loop: Header=BB94_10 Depth=1
	v_add_u32_e32 v2, 7, v16
	v_cmp_lt_u64_e32 vcc, s[36:37], v[8:9]
	v_cndmask_b32_e32 v2, v15, v2, vcc
	v_cndmask_b32_e64 v15, 0, 1, vcc
	v_lshrrev_b64 v[8:9], v15, v[8:9]
; %bb.15:                               ;   in Loop: Header=BB94_10 Depth=1
	s_andn2_saveexec_b64 s[0:1], s[0:1]
; %bb.16:                               ;   in Loop: Header=BB94_10 Depth=1
	v_bfe_u32 v2, v8, 23, 1
; %bb.17:                               ;   in Loop: Header=BB94_10 Depth=1
	s_or_b64 exec, exec, s[0:1]
	v_lshrrev_b64 v[8:9], 20, v[8:9]
	v_cmp_gt_i32_e32 vcc, 16, v2
	v_cndmask_b32_e32 v9, 0, v9, vcc
	v_cndmask_b32_e32 v8, 7, v8, vcc
	v_cmp_ne_u32_e32 vcc, 0, v2
	v_cmp_ne_u64_e64 s[0:1], 0, v[8:9]
	s_or_b64 s[0:1], vcc, s[0:1]
                                        ; implicit-def: $vgpr9
	s_and_saveexec_b64 s[60:61], s[0:1]
	s_xor_b64 s[0:1], exec, s[60:61]
; %bb.18:                               ;   in Loop: Header=BB94_10 Depth=1
	v_min_i32_e32 v2, 15, v2
	v_lshl_or_b32 v2, v2, 3, v14
	v_and_or_b32 v9, v8, 7, v2
                                        ; implicit-def: $vgpr14
; %bb.19:                               ;   in Loop: Header=BB94_10 Depth=1
	s_andn2_saveexec_b64 s[0:1], s[0:1]
; %bb.20:                               ;   in Loop: Header=BB94_10 Depth=1
	v_mov_b32_e32 v9, v14
; %bb.21:                               ;   in Loop: Header=BB94_10 Depth=1
	s_or_b64 exec, exec, s[0:1]
.LBB94_22:                              ;   in Loop: Header=BB94_10 Depth=1
	s_or_b64 exec, exec, s[44:45]
.LBB94_23:                              ;   in Loop: Header=BB94_10 Depth=1
	s_andn2_saveexec_b64 s[0:1], s[42:43]
	s_or_b64 exec, exec, s[0:1]
                                        ; implicit-def: $vgpr8
.LBB94_24:                              ;   in Loop: Header=BB94_10 Depth=1
	s_andn2_saveexec_b64 s[0:1], s[40:41]
; %bb.25:                               ;   in Loop: Header=BB94_10 Depth=1
	v_or_b32_sdwa v8, v8, s58 dst_sel:DWORD dst_unused:UNUSED_PAD src0_sel:BYTE_3 src1_sel:DWORD
	v_cmp_eq_u64_e32 vcc, 0, v[2:3]
	v_cndmask_b32_e32 v9, v8, v9, vcc
; %bb.26:                               ;   in Loop: Header=BB94_10 Depth=1
	s_or_b64 exec, exec, s[0:1]
	v_lshlrev_b32_e32 v8, 16, v13
	v_div_scale_f32 v13, s[0:1], s51, s51, v8
	v_rcp_f32_e32 v16, v13
	v_mov_b32_e32 v2, s50
	v_add_co_u32_e32 v14, vcc, s49, v0
	v_addc_co_u32_e32 v15, vcc, 0, v2, vcc
	v_fma_f32 v2, -v13, v16, 1.0
	v_fmac_f32_e32 v16, v2, v16
	v_div_scale_f32 v2, vcc, v8, s51, v8
	global_store_byte v[14:15], v9, off
	v_mul_f32_e32 v9, v2, v16
	v_fma_f32 v14, -v13, v9, v2
	v_fmac_f32_e32 v9, v14, v16
	v_fma_f32 v2, -v13, v9, v2
	v_div_fmas_f32 v2, v2, v16, v9
	v_div_fixup_f32 v8, v2, s51, v8
	v_and_b32_sdwa v13, v8, s29 dst_sel:DWORD dst_unused:UNUSED_PAD src0_sel:BYTE_3 src1_sel:DWORD
	v_and_b32_e32 v14, 0x7f800000, v8
	v_mov_b32_e32 v15, v3
	v_and_b32_e32 v2, 0x7fffff, v8
	v_or_b32_e32 v9, 0x7e, v13
	v_cmp_ne_u64_e32 vcc, s[16:17], v[14:15]
	s_and_saveexec_b64 s[0:1], vcc
	s_xor_b64 s[40:41], exec, s[0:1]
	s_cbranch_execz .LBB94_40
; %bb.27:                               ;   in Loop: Header=BB94_10 Depth=1
	v_and_b32_e32 v14, 0x7fffffff, v8
	v_mov_b32_e32 v15, v3
	v_cmp_gt_u64_e32 vcc, s[34:35], v[14:15]
	s_and_saveexec_b64 s[0:1], vcc
	s_xor_b64 s[42:43], exec, s[0:1]
	s_cbranch_execz .LBB94_39
; %bb.28:                               ;   in Loop: Header=BB94_10 Depth=1
	v_cmp_ne_u32_e32 vcc, 0, v8
	v_mov_b32_e32 v9, 0
	s_and_saveexec_b64 s[44:45], vcc
	s_cbranch_execz .LBB94_38
; %bb.29:                               ;   in Loop: Header=BB94_10 Depth=1
	v_bfe_u32 v8, v8, 23, 8
	v_sub_u32_e32 v14, 0x79, v8
	v_cmp_gt_u32_e32 vcc, s31, v8
	v_cndmask_b32_e32 v14, 0, v14, vcc
	v_cmp_eq_u32_e32 vcc, 0, v8
	v_cndmask_b32_e32 v14, v14, v12, vcc
	v_add_u32_e32 v9, 0xffffff81, v8
	v_or_b32_e32 v15, 0x800000, v2
	v_add_u32_e32 v8, 20, v14
	v_cndmask_b32_e32 v20, v9, v11, vcc
	v_cndmask_b32_e32 v2, v15, v2, vcc
	v_lshlrev_b64 v[8:9], v8, -1
	v_not_b32_e32 v8, v8
	v_lshrrev_b64 v[18:19], v14, v[2:3]
	v_not_b32_e32 v9, v9
	v_and_b32_e32 v8, v2, v8
	v_add_u32_e32 v15, 19, v14
	v_lshrrev_b32_e32 v2, 23, v18
	v_and_b32_e32 v9, 0, v9
	v_lshlrev_b64 v[16:17], v15, 1
	v_add3_u32 v15, v14, v20, v2
	v_bfe_u32 v2, v18, 20, 1
	v_add_u32_e32 v2, -1, v2
	v_cmp_eq_u64_e32 vcc, v[8:9], v[16:17]
	v_cndmask_b32_e32 v2, 0, v2, vcc
	v_add_u32_e32 v2, v2, v18
	v_and_b32_e32 v2, 0xfffff, v2
	v_add_co_u32_e32 v8, vcc, v2, v18
	v_add_u32_e32 v14, 6, v15
	v_addc_co_u32_e32 v9, vcc, 0, v19, vcc
	v_cmp_ne_u32_e32 vcc, 0, v14
                                        ; implicit-def: $vgpr2
	s_and_saveexec_b64 s[0:1], vcc
	s_xor_b64 s[0:1], exec, s[0:1]
; %bb.30:                               ;   in Loop: Header=BB94_10 Depth=1
	v_add_u32_e32 v2, 7, v15
	v_cmp_lt_u64_e32 vcc, s[36:37], v[8:9]
	v_cndmask_b32_e32 v2, v14, v2, vcc
	v_cndmask_b32_e64 v14, 0, 1, vcc
	v_lshrrev_b64 v[8:9], v14, v[8:9]
; %bb.31:                               ;   in Loop: Header=BB94_10 Depth=1
	s_andn2_saveexec_b64 s[0:1], s[0:1]
; %bb.32:                               ;   in Loop: Header=BB94_10 Depth=1
	v_bfe_u32 v2, v8, 23, 1
; %bb.33:                               ;   in Loop: Header=BB94_10 Depth=1
	s_or_b64 exec, exec, s[0:1]
	v_lshrrev_b64 v[8:9], 20, v[8:9]
	v_cmp_gt_i32_e32 vcc, 16, v2
	v_cndmask_b32_e32 v9, 0, v9, vcc
	v_cndmask_b32_e32 v8, 7, v8, vcc
	v_cmp_ne_u32_e32 vcc, 0, v2
	v_cmp_ne_u64_e64 s[0:1], 0, v[8:9]
	s_or_b64 s[0:1], vcc, s[0:1]
                                        ; implicit-def: $vgpr9
	s_and_saveexec_b64 s[60:61], s[0:1]
	s_xor_b64 s[0:1], exec, s[60:61]
; %bb.34:                               ;   in Loop: Header=BB94_10 Depth=1
	v_min_i32_e32 v2, 15, v2
	v_lshl_or_b32 v2, v2, 3, v13
	v_and_or_b32 v9, v8, 7, v2
                                        ; implicit-def: $vgpr13
; %bb.35:                               ;   in Loop: Header=BB94_10 Depth=1
	s_andn2_saveexec_b64 s[0:1], s[0:1]
; %bb.36:                               ;   in Loop: Header=BB94_10 Depth=1
	v_mov_b32_e32 v9, v13
; %bb.37:                               ;   in Loop: Header=BB94_10 Depth=1
	s_or_b64 exec, exec, s[0:1]
.LBB94_38:                              ;   in Loop: Header=BB94_10 Depth=1
	s_or_b64 exec, exec, s[44:45]
.LBB94_39:                              ;   in Loop: Header=BB94_10 Depth=1
	s_andn2_saveexec_b64 s[0:1], s[42:43]
	s_or_b64 exec, exec, s[0:1]
                                        ; implicit-def: $vgpr8
.LBB94_40:                              ;   in Loop: Header=BB94_10 Depth=1
	s_andn2_saveexec_b64 s[0:1], s[40:41]
	s_cbranch_execz .LBB94_9
; %bb.41:                               ;   in Loop: Header=BB94_10 Depth=1
	v_or_b32_sdwa v8, v8, s58 dst_sel:DWORD dst_unused:UNUSED_PAD src0_sel:BYTE_3 src1_sel:DWORD
	v_cmp_eq_u64_e32 vcc, 0, v[2:3]
	v_cndmask_b32_e32 v9, v8, v9, vcc
	s_branch .LBB94_9
.LBB94_42:
	s_or_b64 exec, exec, s[26:27]
	v_cmp_gt_i32_e32 vcc, s10, v0
	s_and_saveexec_b64 s[0:1], vcc
	s_cbranch_execz .LBB94_61
; %bb.43:
	s_mul_i32 s0, s6, s15
	s_mul_hi_u32 s1, s6, s14
	s_add_i32 s1, s1, s0
	s_mul_i32 s0, s6, s14
	s_lshl_b64 s[0:1], s[0:1], 2
	s_add_u32 s18, s18, s0
	s_addc_u32 s0, s19, s1
	s_ashr_i32 s1, s8, 31
	s_mul_i32 s1, s22, s1
	s_add_i32 s1, s46, s1
	s_add_i32 s1, s1, s47
	s_add_u32 s2, s2, s48
	s_addc_u32 s1, s3, s1
	s_ashr_i32 s3, s9, 31
	s_load_dword s4, s[4:5], 0x8c
	s_mul_i32 s7, s7, s3
	s_waitcnt lgkmcnt(0)
	s_load_dword s20, s[24:25], 0x0
	s_add_i32 s3, s33, s7
	s_add_i32 s3, s3, s11
	s_add_u32 s11, s2, s23
	s_addc_u32 s19, s1, s3
	s_and_b32 s21, s4, 0xffff
	s_mov_b64 s[2:3], 0
	v_mov_b32_e32 v6, s0
	v_mov_b32_e32 v3, 0
	s_movk_i32 s22, 0x80
	s_mov_b64 s[4:5], 0x7f800000
	s_mov_b64 s[6:7], 0x43e00001
	s_movk_i32 s23, 0x7a
	s_mov_b64 s[8:9], 0xffffff
	s_movk_i32 s24, 0x7f
	v_mov_b32_e32 v7, 0xffffff82
	v_mov_b32_e32 v8, 0x78
	s_branch .LBB94_45
.LBB94_44:                              ;   in Loop: Header=BB94_45 Depth=1
	s_or_b64 exec, exec, s[0:1]
	v_mov_b32_e32 v2, s19
	v_add_co_u32_e32 v10, vcc, s11, v0
	v_addc_co_u32_e32 v11, vcc, v2, v1, vcc
	v_add_u32_e32 v0, s21, v0
	v_cmp_le_i32_e32 vcc, s10, v0
	s_or_b64 s[2:3], vcc, s[2:3]
	global_store_byte v[10:11], v5, off
	s_andn2_b64 exec, exec, s[2:3]
	s_cbranch_execz .LBB94_61
.LBB94_45:                              ; =>This Inner Loop Header: Depth=1
	v_ashrrev_i32_e32 v1, 31, v0
	v_lshlrev_b64 v[4:5], 2, v[0:1]
	v_add_co_u32_e32 v4, vcc, s18, v4
	v_addc_co_u32_e32 v5, vcc, v6, v5, vcc
	global_load_ushort v2, v[4:5], off
	v_mov_b32_e32 v11, v3
	s_waitcnt vmcnt(0)
	v_lshlrev_b32_e32 v2, 16, v2
	s_waitcnt lgkmcnt(0)
	v_div_scale_f32 v4, s[0:1], s20, s20, v2
	v_rcp_f32_e32 v5, v4
	v_div_scale_f32 v9, vcc, v2, s20, v2
	v_fma_f32 v10, -v4, v5, 1.0
	v_fmac_f32_e32 v5, v10, v5
	v_mul_f32_e32 v10, v9, v5
	v_fma_f32 v12, -v4, v10, v9
	v_fmac_f32_e32 v10, v12, v5
	v_fma_f32 v4, -v4, v10, v9
	v_div_fmas_f32 v4, v4, v5, v10
	v_div_fixup_f32 v4, v4, s20, v2
	v_and_b32_sdwa v9, v4, s22 dst_sel:DWORD dst_unused:UNUSED_PAD src0_sel:BYTE_3 src1_sel:DWORD
	v_and_b32_e32 v10, 0x7f800000, v4
	v_and_b32_e32 v2, 0x7fffff, v4
	v_or_b32_e32 v5, 0x7e, v9
	v_cmp_ne_u64_e32 vcc, s[4:5], v[10:11]
	s_and_saveexec_b64 s[0:1], vcc
	s_xor_b64 s[12:13], exec, s[0:1]
	s_cbranch_execz .LBB94_59
; %bb.46:                               ;   in Loop: Header=BB94_45 Depth=1
	v_and_b32_e32 v10, 0x7fffffff, v4
	v_mov_b32_e32 v11, v3
	v_cmp_gt_u64_e32 vcc, s[6:7], v[10:11]
	s_and_saveexec_b64 s[0:1], vcc
	s_xor_b64 s[14:15], exec, s[0:1]
	s_cbranch_execz .LBB94_58
; %bb.47:                               ;   in Loop: Header=BB94_45 Depth=1
	v_cmp_ne_u32_e32 vcc, 0, v4
	v_mov_b32_e32 v5, 0
	s_and_saveexec_b64 s[16:17], vcc
	s_cbranch_execz .LBB94_57
; %bb.48:                               ;   in Loop: Header=BB94_45 Depth=1
	v_bfe_u32 v4, v4, 23, 8
	v_sub_u32_e32 v10, 0x79, v4
	v_cmp_gt_u32_e32 vcc, s23, v4
	v_cndmask_b32_e32 v10, 0, v10, vcc
	v_cmp_eq_u32_e32 vcc, 0, v4
	v_cndmask_b32_e32 v10, v10, v8, vcc
	v_add_u32_e32 v5, 0xffffff81, v4
	v_or_b32_e32 v11, 0x800000, v2
	v_add_u32_e32 v4, 20, v10
	v_cndmask_b32_e32 v16, v5, v7, vcc
	v_cndmask_b32_e32 v2, v11, v2, vcc
	v_lshlrev_b64 v[4:5], v4, -1
	v_not_b32_e32 v4, v4
	v_lshrrev_b64 v[14:15], v10, v[2:3]
	v_not_b32_e32 v5, v5
	v_and_b32_e32 v4, v2, v4
	v_add_u32_e32 v11, 19, v10
	v_lshrrev_b32_e32 v2, 23, v14
	v_and_b32_e32 v5, 0, v5
	v_lshlrev_b64 v[12:13], v11, 1
	v_add3_u32 v11, v10, v16, v2
	v_bfe_u32 v2, v14, 20, 1
	v_add_u32_e32 v2, -1, v2
	v_cmp_eq_u64_e32 vcc, v[4:5], v[12:13]
	v_cndmask_b32_e32 v2, 0, v2, vcc
	v_add_u32_e32 v2, v2, v14
	v_and_b32_e32 v2, 0xfffff, v2
	v_add_co_u32_e32 v4, vcc, v2, v14
	v_add_u32_e32 v10, 6, v11
	v_addc_co_u32_e32 v5, vcc, 0, v15, vcc
	v_cmp_ne_u32_e32 vcc, 0, v10
                                        ; implicit-def: $vgpr2
	s_and_saveexec_b64 s[0:1], vcc
	s_xor_b64 s[0:1], exec, s[0:1]
; %bb.49:                               ;   in Loop: Header=BB94_45 Depth=1
	v_add_u32_e32 v2, 7, v11
	v_cmp_lt_u64_e32 vcc, s[8:9], v[4:5]
	v_cndmask_b32_e32 v2, v10, v2, vcc
	v_cndmask_b32_e64 v10, 0, 1, vcc
	v_lshrrev_b64 v[4:5], v10, v[4:5]
; %bb.50:                               ;   in Loop: Header=BB94_45 Depth=1
	s_andn2_saveexec_b64 s[0:1], s[0:1]
; %bb.51:                               ;   in Loop: Header=BB94_45 Depth=1
	v_bfe_u32 v2, v4, 23, 1
; %bb.52:                               ;   in Loop: Header=BB94_45 Depth=1
	s_or_b64 exec, exec, s[0:1]
	v_lshrrev_b64 v[4:5], 20, v[4:5]
	v_cmp_gt_i32_e32 vcc, 16, v2
	v_cndmask_b32_e32 v5, 0, v5, vcc
	v_cndmask_b32_e32 v4, 7, v4, vcc
	v_cmp_ne_u32_e32 vcc, 0, v2
	v_cmp_ne_u64_e64 s[0:1], 0, v[4:5]
	s_or_b64 s[0:1], vcc, s[0:1]
                                        ; implicit-def: $vgpr5
	s_and_saveexec_b64 s[26:27], s[0:1]
	s_xor_b64 s[0:1], exec, s[26:27]
; %bb.53:                               ;   in Loop: Header=BB94_45 Depth=1
	v_min_i32_e32 v2, 15, v2
	v_lshl_or_b32 v2, v2, 3, v9
	v_and_or_b32 v5, v4, 7, v2
                                        ; implicit-def: $vgpr9
; %bb.54:                               ;   in Loop: Header=BB94_45 Depth=1
	s_andn2_saveexec_b64 s[0:1], s[0:1]
; %bb.55:                               ;   in Loop: Header=BB94_45 Depth=1
	v_mov_b32_e32 v5, v9
; %bb.56:                               ;   in Loop: Header=BB94_45 Depth=1
	s_or_b64 exec, exec, s[0:1]
.LBB94_57:                              ;   in Loop: Header=BB94_45 Depth=1
	s_or_b64 exec, exec, s[16:17]
.LBB94_58:                              ;   in Loop: Header=BB94_45 Depth=1
	s_andn2_saveexec_b64 s[0:1], s[14:15]
	s_or_b64 exec, exec, s[0:1]
                                        ; implicit-def: $vgpr4
.LBB94_59:                              ;   in Loop: Header=BB94_45 Depth=1
	s_andn2_saveexec_b64 s[0:1], s[12:13]
	s_cbranch_execz .LBB94_44
; %bb.60:                               ;   in Loop: Header=BB94_45 Depth=1
	v_or_b32_sdwa v4, v4, s24 dst_sel:DWORD dst_unused:UNUSED_PAD src0_sel:BYTE_3 src1_sel:DWORD
	v_cmp_eq_u64_e32 vcc, 0, v[2:3]
	v_cndmask_b32_e32 v5, v4, v5, vcc
	s_branch .LBB94_44
.LBB94_61:
	s_endpgm
.LBB94_62:
                                        ; implicit-def: $sgpr22_sgpr23
	s_branch .LBB94_6
	.section	.rodata,"a",@progbits
	.p2align	6, 0x0
	.amdhsa_kernel _ZN4vllm38concat_and_cache_mla_rope_fused_kernelIfN3c108BFloat16ELb1E14__hip_bfloat16hLNS_18Fp8KVCacheDataTypeE1EEEvPKlPT_S8_PKS7_PKT0_illlliPT3_S6_iiiiPKf
		.amdhsa_group_segment_fixed_size 0
		.amdhsa_private_segment_fixed_size 0
		.amdhsa_kernarg_size 384
		.amdhsa_user_sgpr_count 6
		.amdhsa_user_sgpr_private_segment_buffer 1
		.amdhsa_user_sgpr_dispatch_ptr 0
		.amdhsa_user_sgpr_queue_ptr 0
		.amdhsa_user_sgpr_kernarg_segment_ptr 1
		.amdhsa_user_sgpr_dispatch_id 0
		.amdhsa_user_sgpr_flat_scratch_init 0
		.amdhsa_user_sgpr_kernarg_preload_length 0
		.amdhsa_user_sgpr_kernarg_preload_offset 0
		.amdhsa_user_sgpr_private_segment_size 0
		.amdhsa_uses_dynamic_stack 0
		.amdhsa_system_sgpr_private_segment_wavefront_offset 0
		.amdhsa_system_sgpr_workgroup_id_x 1
		.amdhsa_system_sgpr_workgroup_id_y 0
		.amdhsa_system_sgpr_workgroup_id_z 0
		.amdhsa_system_sgpr_workgroup_info 0
		.amdhsa_system_vgpr_workitem_id 0
		.amdhsa_next_free_vgpr 22
		.amdhsa_next_free_sgpr 62
		.amdhsa_accum_offset 24
		.amdhsa_reserve_vcc 1
		.amdhsa_reserve_flat_scratch 0
		.amdhsa_float_round_mode_32 0
		.amdhsa_float_round_mode_16_64 0
		.amdhsa_float_denorm_mode_32 3
		.amdhsa_float_denorm_mode_16_64 3
		.amdhsa_dx10_clamp 1
		.amdhsa_ieee_mode 1
		.amdhsa_fp16_overflow 0
		.amdhsa_tg_split 0
		.amdhsa_exception_fp_ieee_invalid_op 0
		.amdhsa_exception_fp_denorm_src 0
		.amdhsa_exception_fp_ieee_div_zero 0
		.amdhsa_exception_fp_ieee_overflow 0
		.amdhsa_exception_fp_ieee_underflow 0
		.amdhsa_exception_fp_ieee_inexact 0
		.amdhsa_exception_int_div_zero 0
	.end_amdhsa_kernel
	.section	.text._ZN4vllm38concat_and_cache_mla_rope_fused_kernelIfN3c108BFloat16ELb1E14__hip_bfloat16hLNS_18Fp8KVCacheDataTypeE1EEEvPKlPT_S8_PKS7_PKT0_illlliPT3_S6_iiiiPKf,"axG",@progbits,_ZN4vllm38concat_and_cache_mla_rope_fused_kernelIfN3c108BFloat16ELb1E14__hip_bfloat16hLNS_18Fp8KVCacheDataTypeE1EEEvPKlPT_S8_PKS7_PKT0_illlliPT3_S6_iiiiPKf,comdat
.Lfunc_end94:
	.size	_ZN4vllm38concat_and_cache_mla_rope_fused_kernelIfN3c108BFloat16ELb1E14__hip_bfloat16hLNS_18Fp8KVCacheDataTypeE1EEEvPKlPT_S8_PKS7_PKT0_illlliPT3_S6_iiiiPKf, .Lfunc_end94-_ZN4vllm38concat_and_cache_mla_rope_fused_kernelIfN3c108BFloat16ELb1E14__hip_bfloat16hLNS_18Fp8KVCacheDataTypeE1EEEvPKlPT_S8_PKS7_PKT0_illlliPT3_S6_iiiiPKf
                                        ; -- End function
	.section	.AMDGPU.csdata,"",@progbits
; Kernel info:
; codeLenInByte = 3700
; NumSgprs: 66
; NumVgprs: 22
; NumAgprs: 0
; TotalNumVgprs: 22
; ScratchSize: 0
; MemoryBound: 0
; FloatMode: 240
; IeeeMode: 1
; LDSByteSize: 0 bytes/workgroup (compile time only)
; SGPRBlocks: 8
; VGPRBlocks: 2
; NumSGPRsForWavesPerEU: 66
; NumVGPRsForWavesPerEU: 22
; AccumOffset: 24
; Occupancy: 8
; WaveLimiterHint : 1
; COMPUTE_PGM_RSRC2:SCRATCH_EN: 0
; COMPUTE_PGM_RSRC2:USER_SGPR: 6
; COMPUTE_PGM_RSRC2:TRAP_HANDLER: 0
; COMPUTE_PGM_RSRC2:TGID_X_EN: 1
; COMPUTE_PGM_RSRC2:TGID_Y_EN: 0
; COMPUTE_PGM_RSRC2:TGID_Z_EN: 0
; COMPUTE_PGM_RSRC2:TIDIG_COMP_CNT: 0
; COMPUTE_PGM_RSRC3_GFX90A:ACCUM_OFFSET: 5
; COMPUTE_PGM_RSRC3_GFX90A:TG_SPLIT: 0
	.section	.text._ZN4vllm38concat_and_cache_mla_rope_fused_kernelIfN3c108BFloat16ELb0E14__hip_bfloat16hLNS_18Fp8KVCacheDataTypeE1EEEvPKlPT_S8_PKS7_PKT0_illlliPT3_S6_iiiiPKf,"axG",@progbits,_ZN4vllm38concat_and_cache_mla_rope_fused_kernelIfN3c108BFloat16ELb0E14__hip_bfloat16hLNS_18Fp8KVCacheDataTypeE1EEEvPKlPT_S8_PKS7_PKT0_illlliPT3_S6_iiiiPKf,comdat
	.protected	_ZN4vllm38concat_and_cache_mla_rope_fused_kernelIfN3c108BFloat16ELb0E14__hip_bfloat16hLNS_18Fp8KVCacheDataTypeE1EEEvPKlPT_S8_PKS7_PKT0_illlliPT3_S6_iiiiPKf ; -- Begin function _ZN4vllm38concat_and_cache_mla_rope_fused_kernelIfN3c108BFloat16ELb0E14__hip_bfloat16hLNS_18Fp8KVCacheDataTypeE1EEEvPKlPT_S8_PKS7_PKT0_illlliPT3_S6_iiiiPKf
	.globl	_ZN4vllm38concat_and_cache_mla_rope_fused_kernelIfN3c108BFloat16ELb0E14__hip_bfloat16hLNS_18Fp8KVCacheDataTypeE1EEEvPKlPT_S8_PKS7_PKT0_illlliPT3_S6_iiiiPKf
	.p2align	8
	.type	_ZN4vllm38concat_and_cache_mla_rope_fused_kernelIfN3c108BFloat16ELb0E14__hip_bfloat16hLNS_18Fp8KVCacheDataTypeE1EEEvPKlPT_S8_PKS7_PKT0_illlliPT3_S6_iiiiPKf,@function
_ZN4vllm38concat_and_cache_mla_rope_fused_kernelIfN3c108BFloat16ELb0E14__hip_bfloat16hLNS_18Fp8KVCacheDataTypeE1EEEvPKlPT_S8_PKS7_PKT0_illlliPT3_S6_iiiiPKf: ; @_ZN4vllm38concat_and_cache_mla_rope_fused_kernelIfN3c108BFloat16ELb0E14__hip_bfloat16hLNS_18Fp8KVCacheDataTypeE1EEEvPKlPT_S8_PKS7_PKT0_illlliPT3_S6_iiiiPKf
; %bb.0:
	s_load_dwordx2 s[2:3], s[4:5], 0x60
	s_mov_b32 s7, 0
	s_lshl_b64 s[0:1], s[6:7], 3
	s_waitcnt lgkmcnt(0)
	s_add_u32 s2, s2, s0
	s_addc_u32 s3, s3, s1
	s_load_dwordx2 s[26:27], s[2:3], 0x0
	s_waitcnt lgkmcnt(0)
	v_cmp_lt_i64_e64 s[2:3], s[26:27], 0
	s_and_b64 vcc, exec, s[2:3]
	s_cbranch_vccnz .LBB95_61
; %bb.1:
	s_load_dword s7, s[4:5], 0x28
	s_load_dwordx2 s[2:3], s[4:5], 0x0
	s_load_dwordx4 s[16:19], s[4:5], 0x10
	v_lshlrev_b32_e32 v1, 1, v0
	s_waitcnt lgkmcnt(0)
	s_ashr_i32 s22, s7, 31
	s_add_u32 s0, s2, s0
	s_addc_u32 s1, s3, s1
	s_load_dwordx2 s[20:21], s[0:1], 0x0
	s_load_dwordx2 s[28:29], s[4:5], 0x20
	s_load_dwordx8 s[8:15], s[4:5], 0x30
	s_load_dwordx2 s[2:3], s[4:5], 0x58
	s_load_dword s23, s[4:5], 0x50
	s_waitcnt lgkmcnt(0)
	s_mul_i32 s0, s20, s22
	s_mul_hi_u32 s1, s20, s7
	s_mul_i32 s21, s21, s7
	s_add_i32 s0, s1, s0
	s_add_i32 s31, s0, s21
	s_lshr_b32 s0, s7, 31
	s_mul_i32 s30, s20, s7
	s_add_i32 s7, s7, s0
	s_ashr_i32 s20, s7, 1
	s_mul_i32 s7, s20, s23
	v_cmp_gt_i32_e32 vcc, s7, v0
	s_and_saveexec_b64 s[0:1], vcc
	s_cbranch_execz .LBB95_4
; %bb.2:
	s_lshl_b64 s[22:23], s[30:31], 1
	s_add_u32 s24, s28, s22
	s_addc_u32 s38, s29, s23
	s_load_dwordx2 s[22:23], s[4:5], 0x8
	s_load_dword s34, s[4:5], 0x8c
	s_mul_i32 s9, s6, s9
	s_mul_hi_u32 s25, s6, s8
	s_add_i32 s9, s25, s9
	s_mul_i32 s8, s6, s8
	s_ashr_i32 s21, s20, 31
	s_lshl_b64 s[8:9], s[8:9], 2
	s_waitcnt lgkmcnt(0)
	s_add_u32 s25, s22, s8
	s_addc_u32 s39, s23, s9
	s_abs_i32 s33, s20
	v_cvt_f32_u32_e32 v2, s33
	s_sub_i32 s8, 0, s33
	s_and_b32 s34, s34, 0xffff
	s_lshl_b64 s[22:23], s[20:21], 1
	v_rcp_iflag_f32_e32 v2, v2
	s_sub_i32 s35, 0, s20
	s_lshl_b32 s37, s34, 1
	v_mov_b32_e32 v5, s38
	v_mul_f32_e32 v2, 0x4f7ffffe, v2
	v_cvt_u32_f32_e32 v2, v2
	v_mov_b32_e32 v6, s23
	v_mov_b32_e32 v7, s39
	;; [unrolled: 1-line block ×3, first 2 shown]
	v_mul_lo_u32 v3, s8, v2
	v_mul_hi_u32 v3, v2, v3
	s_lshl_b32 s8, s20, 1
	v_add_u32_e32 v3, v2, v3
	s_sub_i32 s36, 0, s8
	s_mov_b64 s[8:9], 0
	v_mov_b32_e32 v2, v1
.LBB95_3:                               ; =>This Inner Loop Header: Depth=1
	v_sub_u32_e32 v9, 0, v4
	v_max_i32_e32 v9, v4, v9
	v_mul_hi_u32 v10, v9, v3
	v_mul_lo_u32 v11, v10, s33
	v_sub_u32_e32 v9, v9, v11
	v_add_u32_e32 v12, 1, v10
	v_cmp_le_u32_e32 vcc, s33, v9
	v_subrev_u32_e32 v11, s33, v9
	v_cndmask_b32_e32 v10, v10, v12, vcc
	v_cndmask_b32_e32 v9, v9, v11, vcc
	v_ashrrev_i32_e32 v8, 31, v4
	v_add_u32_e32 v11, 1, v10
	v_cmp_le_u32_e32 vcc, s33, v9
	v_xor_b32_e32 v8, s21, v8
	v_cndmask_b32_e32 v9, v10, v11, vcc
	v_xor_b32_e32 v9, v9, v8
	v_sub_u32_e32 v12, v9, v8
	v_mad_u64_u32 v[8:9], s[38:39], s35, v12, v[4:5]
	v_ashrrev_i32_e32 v9, 31, v8
	v_lshlrev_b64 v[8:9], 1, v[8:9]
	v_ashrrev_i32_e32 v14, 31, v12
	v_add_co_u32_e32 v8, vcc, s24, v8
	v_mul_lo_u32 v15, v12, s11
	v_mad_u64_u32 v[10:11], s[38:39], v12, s10, 0
	v_mul_lo_u32 v14, v14, s10
	v_addc_co_u32_e32 v9, vcc, v5, v9, vcc
	v_add3_u32 v11, v11, v15, v14
	v_add_co_u32_e32 v14, vcc, s22, v8
	v_mad_u64_u32 v[12:13], s[38:39], s36, v12, v[2:3]
	v_lshlrev_b64 v[10:11], 2, v[10:11]
	v_addc_co_u32_e32 v15, vcc, v9, v6, vcc
	v_ashrrev_i32_e32 v13, 31, v12
	v_add_co_u32_e32 v10, vcc, s25, v10
	v_lshlrev_b64 v[12:13], 2, v[12:13]
	v_addc_co_u32_e32 v11, vcc, v7, v11, vcc
	global_load_ushort v16, v[8:9], off
	global_load_ushort v17, v[14:15], off
	v_add_co_u32_e32 v8, vcc, v10, v12
	v_addc_co_u32_e32 v9, vcc, v11, v13, vcc
	global_load_dwordx2 v[10:11], v[8:9], off
	v_add_u32_e32 v4, s34, v4
	v_cmp_le_i32_e32 vcc, s7, v4
	v_add_u32_e32 v2, s37, v2
	s_or_b64 s[8:9], vcc, s[8:9]
	s_waitcnt vmcnt(2)
	v_lshlrev_b32_e32 v14, 16, v16
	s_waitcnt vmcnt(1)
	v_lshlrev_b32_e32 v12, 16, v17
	s_waitcnt vmcnt(0)
	v_mul_f32_e32 v15, v11, v12
	v_mul_f32_e32 v13, v10, v12
	v_fma_f32 v12, v10, v14, -v15
	v_fmac_f32_e32 v13, v11, v14
	global_store_dwordx2 v[8:9], v[12:13], off
	s_andn2_b64 exec, exec, s[8:9]
	s_cbranch_execnz .LBB95_3
.LBB95_4:
	s_or_b64 exec, exec, s[0:1]
	s_load_dwordx4 s[8:11], s[4:5], 0x68
	s_waitcnt lgkmcnt(0)
	s_ashr_i32 s35, s11, 31
	s_mov_b32 s34, s11
	s_or_b64 s[0:1], s[26:27], s[34:35]
	s_mov_b32 s0, 0
	s_cmp_lg_u64 s[0:1], 0
	s_cbranch_scc0 .LBB95_62
; %bb.5:
	s_add_u32 s0, s34, s35
	s_mov_b32 s22, s35
	s_mov_b32 s23, s35
	s_addc_u32 s1, s35, s35
	s_xor_b64 s[36:37], s[0:1], s[22:23]
	v_cvt_f32_u32_e32 v2, s36
	v_cvt_f32_u32_e32 v3, s37
	s_sub_u32 s0, 0, s36
	s_subb_u32 s1, 0, s37
	v_madmk_f32 v2, v3, 0x4f800000, v2
	v_rcp_f32_e32 v2, v2
	v_mul_f32_e32 v2, 0x5f7ffffc, v2
	v_mul_f32_e32 v3, 0x2f800000, v2
	v_trunc_f32_e32 v3, v3
	v_madmk_f32 v2, v3, 0xcf800000, v2
	v_cvt_u32_f32_e32 v3, v3
	v_cvt_u32_f32_e32 v2, v2
	v_readfirstlane_b32 s7, v3
	v_readfirstlane_b32 s11, v2
	s_mul_i32 s21, s0, s7
	s_mul_hi_u32 s38, s0, s11
	s_mul_i32 s33, s1, s11
	s_add_i32 s21, s38, s21
	s_add_i32 s21, s21, s33
	s_mul_i32 s39, s0, s11
	s_mul_hi_u32 s33, s11, s21
	s_mul_i32 s38, s11, s21
	s_mul_hi_u32 s11, s11, s39
	s_add_u32 s11, s11, s38
	s_addc_u32 s33, 0, s33
	s_mul_hi_u32 s40, s7, s39
	s_mul_i32 s39, s7, s39
	s_add_u32 s11, s11, s39
	s_mul_hi_u32 s38, s7, s21
	s_addc_u32 s11, s33, s40
	s_addc_u32 s33, s38, 0
	s_mul_i32 s21, s7, s21
	s_add_u32 s11, s11, s21
	s_addc_u32 s21, 0, s33
	v_add_co_u32_e32 v2, vcc, s11, v2
	s_cmp_lg_u64 vcc, 0
	s_addc_u32 s7, s7, s21
	v_readfirstlane_b32 s21, v2
	s_mul_i32 s11, s0, s7
	s_mul_hi_u32 s33, s0, s21
	s_add_i32 s11, s33, s11
	s_mul_i32 s1, s1, s21
	s_add_i32 s11, s11, s1
	s_mul_i32 s0, s0, s21
	s_mul_hi_u32 s33, s7, s0
	s_mul_i32 s38, s7, s0
	s_mul_i32 s40, s21, s11
	s_mul_hi_u32 s0, s21, s0
	s_mul_hi_u32 s39, s21, s11
	s_add_u32 s0, s0, s40
	s_addc_u32 s21, 0, s39
	s_add_u32 s0, s0, s38
	s_mul_hi_u32 s1, s7, s11
	s_addc_u32 s0, s21, s33
	s_addc_u32 s1, s1, 0
	s_mul_i32 s11, s7, s11
	s_add_u32 s0, s0, s11
	s_addc_u32 s1, 0, s1
	v_add_co_u32_e32 v2, vcc, s0, v2
	s_cmp_lg_u64 vcc, 0
	s_addc_u32 s7, s7, s1
	s_ashr_i32 s38, s27, 31
	s_add_u32 s0, s26, s38
	s_mov_b32 s39, s38
	s_addc_u32 s1, s27, s38
	s_xor_b64 s[40:41], s[0:1], s[38:39]
	v_readfirstlane_b32 s11, v2
	s_mul_i32 s1, s40, s7
	s_mul_hi_u32 s21, s40, s11
	s_mul_hi_u32 s0, s40, s7
	s_add_u32 s1, s21, s1
	s_addc_u32 s0, 0, s0
	s_mul_hi_u32 s33, s41, s11
	s_mul_i32 s11, s41, s11
	s_add_u32 s1, s1, s11
	s_mul_hi_u32 s21, s41, s7
	s_addc_u32 s0, s0, s33
	s_addc_u32 s1, s21, 0
	s_mul_i32 s7, s41, s7
	s_add_u32 s7, s0, s7
	s_addc_u32 s11, 0, s1
	s_mul_i32 s0, s36, s11
	s_mul_hi_u32 s1, s36, s7
	s_add_i32 s0, s1, s0
	s_mul_i32 s1, s37, s7
	s_add_i32 s21, s0, s1
	s_mul_i32 s1, s36, s7
	v_mov_b32_e32 v2, s1
	s_sub_i32 s0, s41, s21
	v_sub_co_u32_e32 v2, vcc, s40, v2
	s_cmp_lg_u64 vcc, 0
	s_subb_u32 s33, s0, s37
	v_subrev_co_u32_e64 v3, s[0:1], s36, v2
	s_cmp_lg_u64 s[0:1], 0
	s_subb_u32 s0, s33, 0
	s_cmp_ge_u32 s0, s37
	v_readfirstlane_b32 s33, v3
	s_cselect_b32 s1, -1, 0
	s_cmp_ge_u32 s33, s36
	s_cselect_b32 s33, -1, 0
	s_cmp_eq_u32 s0, s37
	s_cselect_b32 s0, s33, s1
	s_add_u32 s1, s7, 1
	s_addc_u32 s33, s11, 0
	s_add_u32 s40, s7, 2
	s_addc_u32 s42, s11, 0
	s_cmp_lg_u32 s0, 0
	s_cselect_b32 s0, s40, s1
	s_cselect_b32 s1, s42, s33
	s_cmp_lg_u64 vcc, 0
	s_subb_u32 s21, s41, s21
	s_cmp_ge_u32 s21, s37
	v_readfirstlane_b32 s40, v2
	s_cselect_b32 s33, -1, 0
	s_cmp_ge_u32 s40, s36
	s_cselect_b32 s36, -1, 0
	s_cmp_eq_u32 s21, s37
	s_cselect_b32 s21, s36, s33
	s_cmp_lg_u32 s21, 0
	s_cselect_b32 s1, s1, s11
	s_cselect_b32 s0, s0, s7
	s_xor_b64 s[22:23], s[38:39], s[22:23]
	s_xor_b64 s[0:1], s[0:1], s[22:23]
	s_sub_u32 s22, s0, s22
	s_subb_u32 s23, s1, s23
	s_cbranch_execnz .LBB95_7
.LBB95_6:
	v_cvt_f32_u32_e32 v2, s34
	s_sub_i32 s0, 0, s34
	s_mov_b32 s23, 0
	v_rcp_iflag_f32_e32 v2, v2
	v_mul_f32_e32 v2, 0x4f7ffffe, v2
	v_cvt_u32_f32_e32 v2, v2
	v_readfirstlane_b32 s1, v2
	s_mul_i32 s0, s0, s1
	s_mul_hi_u32 s0, s1, s0
	s_add_i32 s1, s1, s0
	s_mul_hi_u32 s0, s26, s1
	s_mul_i32 s7, s0, s34
	s_sub_i32 s7, s26, s7
	s_add_i32 s1, s0, 1
	s_sub_i32 s11, s7, s34
	s_cmp_ge_u32 s7, s34
	s_cselect_b32 s0, s1, s0
	s_cselect_b32 s7, s11, s7
	s_add_i32 s1, s0, 1
	s_cmp_ge_u32 s7, s34
	s_cselect_b32 s22, s1, s0
.LBB95_7:
	s_mul_i32 s0, s22, s35
	s_mul_hi_u32 s1, s22, s34
	s_load_dwordx2 s[24:25], s[4:5], 0x78
	s_add_i32 s0, s1, s0
	s_mul_i32 s1, s23, s34
	s_add_i32 s0, s0, s1
	s_mul_i32 s1, s22, s34
	s_sub_u32 s7, s26, s1
	s_subb_u32 s11, s27, s0
	v_cmp_gt_i32_e32 vcc, s20, v0
	s_mul_hi_u32 s42, s22, s8
	s_mul_i32 s43, s23, s8
	s_mul_i32 s44, s22, s8
	s_mul_hi_u32 s33, s7, s9
	s_mul_i32 s11, s11, s9
	s_mul_i32 s23, s7, s9
	s_and_saveexec_b64 s[26:27], vcc
	s_cbranch_execz .LBB95_42
; %bb.8:
	s_ashr_i32 s0, s8, 31
	s_mul_i32 s0, s22, s0
	s_load_dword s1, s[4:5], 0x8c
	s_add_i32 s0, s42, s0
	s_add_i32 s34, s0, s43
	s_ashr_i32 s0, s9, 31
	s_mul_i32 s0, s7, s0
	s_add_i32 s0, s33, s0
	s_ashr_i32 s21, s20, 31
	s_add_i32 s35, s0, s11
	s_ashr_i32 s36, s10, 31
	s_waitcnt lgkmcnt(0)
	s_and_b32 s46, s1, 0xffff
	s_lshl_b64 s[0:1], s[30:31], 1
	s_add_u32 s0, s28, s0
	s_addc_u32 s1, s29, s1
	v_mov_b32_e32 v3, s1
	v_add_co_u32_e32 v2, vcc, s0, v1
	s_mul_i32 s0, s13, s6
	s_mul_hi_u32 s1, s12, s6
	s_add_i32 s1, s1, s0
	s_mul_i32 s0, s12, s6
	s_lshl_b32 s48, s46, 1
	s_lshl_b64 s[28:29], s[20:21], 1
	s_lshl_b64 s[0:1], s[0:1], 2
	s_add_u32 s0, s16, s0
	v_addc_co_u32_e32 v3, vcc, 0, v3, vcc
	v_lshlrev_b32_e32 v4, 3, v0
	s_addc_u32 s1, s17, s1
	s_lshl_b32 s21, s46, 3
	v_add_co_u32_e32 v4, vcc, s0, v4
	s_add_u32 s0, s44, s23
	v_mov_b32_e32 v5, s1
	s_addc_u32 s1, s34, s35
	s_add_u32 s12, s2, s10
	v_addc_co_u32_e32 v5, vcc, 0, v5, vcc
	s_addc_u32 s13, s3, s36
	v_add_co_u32_e32 v4, vcc, 4, v4
	s_add_u32 s0, s12, s0
	s_load_dword s45, s[24:25], 0x0
	v_addc_co_u32_e32 v5, vcc, 0, v5, vcc
	s_addc_u32 s1, s13, s1
	v_mov_b32_e32 v6, s1
	v_add_co_u32_e32 v1, vcc, s0, v1
	v_addc_co_u32_e32 v7, vcc, 0, v6, vcc
	s_mov_b32 s47, 0
	v_add_co_u32_e32 v6, vcc, 1, v1
	s_mov_b32 s49, s47
	v_addc_co_u32_e32 v7, vcc, 0, v7, vcc
	s_mov_b64 s[12:13], 0
	v_mov_b32_e32 v1, s29
	v_mov_b32_e32 v9, 0
	s_movk_i32 s29, 0x80
	s_mov_b64 s[16:17], 0x7f800000
	s_mov_b64 s[30:31], 0x43e00001
	s_movk_i32 s50, 0x7a
	s_mov_b64 s[34:35], 0xffffff
	s_movk_i32 s51, 0x7f
	v_mov_b32_e32 v14, 0xffffff82
	v_mov_b32_e32 v15, 0x78
	;; [unrolled: 1-line block ×3, first 2 shown]
	s_branch .LBB95_10
.LBB95_9:                               ;   in Loop: Header=BB95_10 Depth=1
	s_or_b64 exec, exec, s[0:1]
	v_mov_b32_e32 v8, s47
	v_add_co_u32_e32 v2, vcc, s48, v2
	v_addc_co_u32_e32 v3, vcc, v3, v8, vcc
	v_mov_b32_e32 v10, s49
	v_add_co_u32_e32 v4, vcc, s21, v4
	v_add_u32_e32 v16, s46, v16
	v_addc_co_u32_e32 v5, vcc, v5, v10, vcc
	v_cmp_le_i32_e32 vcc, s20, v16
	global_store_byte v[6:7], v11, off
	s_or_b64 s[12:13], vcc, s[12:13]
	v_add_co_u32_e32 v6, vcc, s48, v6
	v_addc_co_u32_e32 v7, vcc, v7, v8, vcc
	s_andn2_b64 exec, exec, s[12:13]
	s_cbranch_execz .LBB95_42
.LBB95_10:                              ; =>This Inner Loop Header: Depth=1
	v_add_co_u32_e32 v10, vcc, s28, v2
	v_addc_co_u32_e32 v11, vcc, v3, v1, vcc
	global_load_ushort v8, v[2:3], off
	global_load_dwordx2 v[12:13], v[4:5], off offset:-4
	global_load_ushort v17, v[10:11], off
	v_mov_b32_e32 v19, v9
	s_waitcnt vmcnt(2)
	v_lshlrev_b32_e32 v10, 16, v8
	s_waitcnt vmcnt(1)
	v_mov_b32_e32 v8, v13
	s_waitcnt vmcnt(0)
	v_lshlrev_b32_e32 v11, 16, v17
	v_pk_mul_f32 v[20:21], v[12:13], v[10:11]
	v_mov_b32_e32 v18, v11
	v_mov_b32_e32 v20, v21
	v_pk_mul_f32 v[22:23], v[12:13], v[18:19] op_sel_hi:[1,0]
	v_pk_fma_f32 v[12:13], v[12:13], v[10:11], v[20:21] neg_lo:[0,0,1] neg_hi:[0,0,1]
	v_pk_fma_f32 v[10:11], v[8:9], v[10:11], v[22:23]
	v_lshlrev_b32_e32 v8, 16, v12
	s_waitcnt lgkmcnt(0)
	v_div_scale_f32 v11, s[0:1], s45, s45, v8
	v_rcp_f32_e32 v17, v11
	v_mov_b32_e32 v13, v10
	global_store_dwordx2 v[4:5], v[12:13], off offset:-4
	v_div_scale_f32 v12, vcc, v8, s45, v8
	v_fma_f32 v13, -v11, v17, 1.0
	v_fmac_f32_e32 v17, v13, v17
	v_mul_f32_e32 v13, v12, v17
	v_fma_f32 v18, -v11, v13, v12
	v_fmac_f32_e32 v13, v18, v17
	v_fma_f32 v11, -v11, v13, v12
	v_div_fmas_f32 v11, v11, v17, v13
	v_div_fixup_f32 v12, v11, s45, v8
	v_and_b32_sdwa v11, v12, s29 dst_sel:DWORD dst_unused:UNUSED_PAD src0_sel:BYTE_3 src1_sel:DWORD
	v_and_b32_e32 v18, 0x7f800000, v12
	v_and_b32_e32 v8, 0x7fffff, v12
	v_or_b32_e32 v13, 0x7e, v11
	v_cmp_ne_u64_e32 vcc, s[16:17], v[18:19]
	s_and_saveexec_b64 s[0:1], vcc
	s_xor_b64 s[36:37], exec, s[0:1]
	s_cbranch_execz .LBB95_24
; %bb.11:                               ;   in Loop: Header=BB95_10 Depth=1
	v_and_b32_e32 v18, 0x7fffffff, v12
	v_mov_b32_e32 v19, v9
	v_cmp_gt_u64_e32 vcc, s[30:31], v[18:19]
	s_and_saveexec_b64 s[0:1], vcc
	s_xor_b64 s[38:39], exec, s[0:1]
	s_cbranch_execz .LBB95_23
; %bb.12:                               ;   in Loop: Header=BB95_10 Depth=1
	v_cmp_ne_u32_e32 vcc, 0, v12
	v_mov_b32_e32 v13, 0
	s_and_saveexec_b64 s[40:41], vcc
	s_cbranch_execz .LBB95_22
; %bb.13:                               ;   in Loop: Header=BB95_10 Depth=1
	v_bfe_u32 v12, v12, 23, 8
	v_sub_u32_e32 v17, 0x79, v12
	v_cmp_gt_u32_e32 vcc, s50, v12
	v_cndmask_b32_e32 v17, 0, v17, vcc
	v_cmp_eq_u32_e32 vcc, 0, v12
	v_cndmask_b32_e32 v17, v17, v15, vcc
	v_add_u32_e32 v13, 0xffffff81, v12
	v_or_b32_e32 v18, 0x800000, v8
	v_add_u32_e32 v12, 20, v17
	v_cndmask_b32_e32 v19, v13, v14, vcc
	v_cndmask_b32_e32 v8, v18, v8, vcc
	v_lshlrev_b64 v[12:13], v12, -1
	v_not_b32_e32 v12, v12
	v_lshrrev_b64 v[22:23], v17, v[8:9]
	v_not_b32_e32 v13, v13
	v_and_b32_e32 v12, v8, v12
	v_add_u32_e32 v18, 19, v17
	v_lshrrev_b32_e32 v8, 23, v22
	v_and_b32_e32 v13, 0, v13
	v_lshlrev_b64 v[20:21], v18, 1
	v_add3_u32 v18, v17, v19, v8
	v_bfe_u32 v8, v22, 20, 1
	v_add_u32_e32 v8, -1, v8
	v_cmp_eq_u64_e32 vcc, v[12:13], v[20:21]
	v_cndmask_b32_e32 v8, 0, v8, vcc
	v_add_u32_e32 v8, v8, v22
	v_and_b32_e32 v8, 0xfffff, v8
	v_add_co_u32_e32 v12, vcc, v8, v22
	v_add_u32_e32 v17, 6, v18
	v_addc_co_u32_e32 v13, vcc, 0, v23, vcc
	v_cmp_ne_u32_e32 vcc, 0, v17
                                        ; implicit-def: $vgpr8
	s_and_saveexec_b64 s[0:1], vcc
	s_xor_b64 s[0:1], exec, s[0:1]
; %bb.14:                               ;   in Loop: Header=BB95_10 Depth=1
	v_add_u32_e32 v8, 7, v18
	v_cmp_lt_u64_e32 vcc, s[34:35], v[12:13]
	v_cndmask_b32_e32 v8, v17, v8, vcc
	v_cndmask_b32_e64 v17, 0, 1, vcc
	v_lshrrev_b64 v[12:13], v17, v[12:13]
; %bb.15:                               ;   in Loop: Header=BB95_10 Depth=1
	s_andn2_saveexec_b64 s[0:1], s[0:1]
; %bb.16:                               ;   in Loop: Header=BB95_10 Depth=1
	v_bfe_u32 v8, v12, 23, 1
; %bb.17:                               ;   in Loop: Header=BB95_10 Depth=1
	s_or_b64 exec, exec, s[0:1]
	v_lshrrev_b64 v[12:13], 20, v[12:13]
	v_cmp_gt_i32_e32 vcc, 16, v8
	v_cndmask_b32_e32 v13, 0, v13, vcc
	v_cndmask_b32_e32 v12, 7, v12, vcc
	v_cmp_ne_u32_e32 vcc, 0, v8
	v_cmp_ne_u64_e64 s[0:1], 0, v[12:13]
	s_or_b64 s[0:1], vcc, s[0:1]
                                        ; implicit-def: $vgpr13
	s_and_saveexec_b64 s[52:53], s[0:1]
	s_xor_b64 s[0:1], exec, s[52:53]
; %bb.18:                               ;   in Loop: Header=BB95_10 Depth=1
	v_min_i32_e32 v8, 15, v8
	v_lshl_or_b32 v8, v8, 3, v11
	v_and_or_b32 v13, v12, 7, v8
                                        ; implicit-def: $vgpr11
; %bb.19:                               ;   in Loop: Header=BB95_10 Depth=1
	s_andn2_saveexec_b64 s[0:1], s[0:1]
; %bb.20:                               ;   in Loop: Header=BB95_10 Depth=1
	v_mov_b32_e32 v13, v11
; %bb.21:                               ;   in Loop: Header=BB95_10 Depth=1
	s_or_b64 exec, exec, s[0:1]
.LBB95_22:                              ;   in Loop: Header=BB95_10 Depth=1
	s_or_b64 exec, exec, s[40:41]
.LBB95_23:                              ;   in Loop: Header=BB95_10 Depth=1
	s_andn2_saveexec_b64 s[0:1], s[38:39]
	s_or_b64 exec, exec, s[0:1]
                                        ; implicit-def: $vgpr12
.LBB95_24:                              ;   in Loop: Header=BB95_10 Depth=1
	s_andn2_saveexec_b64 s[0:1], s[36:37]
; %bb.25:                               ;   in Loop: Header=BB95_10 Depth=1
	v_or_b32_sdwa v11, v12, s51 dst_sel:DWORD dst_unused:UNUSED_PAD src0_sel:BYTE_3 src1_sel:DWORD
	v_cmp_eq_u64_e32 vcc, 0, v[8:9]
	v_cndmask_b32_e32 v13, v11, v13, vcc
; %bb.26:                               ;   in Loop: Header=BB95_10 Depth=1
	s_or_b64 exec, exec, s[0:1]
	v_lshlrev_b32_e32 v8, 16, v10
	v_div_scale_f32 v10, s[0:1], s45, s45, v8
	v_rcp_f32_e32 v11, v10
	global_store_byte v[6:7], v13, off offset:-1
	v_mov_b32_e32 v19, v9
	v_fma_f32 v12, -v10, v11, 1.0
	v_fmac_f32_e32 v11, v12, v11
	v_div_scale_f32 v12, vcc, v8, s45, v8
	v_mul_f32_e32 v13, v12, v11
	v_fma_f32 v17, -v10, v13, v12
	v_fmac_f32_e32 v13, v17, v11
	v_fma_f32 v10, -v10, v13, v12
	v_div_fmas_f32 v10, v10, v11, v13
	v_div_fixup_f32 v10, v10, s45, v8
	v_and_b32_sdwa v12, v10, s29 dst_sel:DWORD dst_unused:UNUSED_PAD src0_sel:BYTE_3 src1_sel:DWORD
	v_and_b32_e32 v18, 0x7f800000, v10
	v_and_b32_e32 v8, 0x7fffff, v10
	v_or_b32_e32 v11, 0x7e, v12
	v_cmp_ne_u64_e32 vcc, s[16:17], v[18:19]
	s_and_saveexec_b64 s[0:1], vcc
	s_xor_b64 s[36:37], exec, s[0:1]
	s_cbranch_execz .LBB95_40
; %bb.27:                               ;   in Loop: Header=BB95_10 Depth=1
	v_and_b32_e32 v18, 0x7fffffff, v10
	v_mov_b32_e32 v19, v9
	v_cmp_gt_u64_e32 vcc, s[30:31], v[18:19]
	s_and_saveexec_b64 s[0:1], vcc
	s_xor_b64 s[38:39], exec, s[0:1]
	s_cbranch_execz .LBB95_39
; %bb.28:                               ;   in Loop: Header=BB95_10 Depth=1
	v_cmp_ne_u32_e32 vcc, 0, v10
	v_mov_b32_e32 v11, 0
	s_and_saveexec_b64 s[40:41], vcc
	s_cbranch_execz .LBB95_38
; %bb.29:                               ;   in Loop: Header=BB95_10 Depth=1
	v_bfe_u32 v10, v10, 23, 8
	v_sub_u32_e32 v13, 0x79, v10
	v_cmp_gt_u32_e32 vcc, s50, v10
	v_cndmask_b32_e32 v13, 0, v13, vcc
	v_cmp_eq_u32_e32 vcc, 0, v10
	v_cndmask_b32_e32 v13, v13, v15, vcc
	v_add_u32_e32 v11, 0xffffff81, v10
	v_or_b32_e32 v17, 0x800000, v8
	v_add_u32_e32 v10, 20, v13
	v_cndmask_b32_e32 v22, v11, v14, vcc
	v_cndmask_b32_e32 v8, v17, v8, vcc
	v_lshlrev_b64 v[10:11], v10, -1
	v_not_b32_e32 v10, v10
	v_lshrrev_b64 v[20:21], v13, v[8:9]
	v_not_b32_e32 v11, v11
	v_and_b32_e32 v10, v8, v10
	v_add_u32_e32 v17, 19, v13
	v_lshrrev_b32_e32 v8, 23, v20
	v_and_b32_e32 v11, 0, v11
	v_lshlrev_b64 v[18:19], v17, 1
	v_add3_u32 v17, v13, v22, v8
	v_bfe_u32 v8, v20, 20, 1
	v_add_u32_e32 v8, -1, v8
	v_cmp_eq_u64_e32 vcc, v[10:11], v[18:19]
	v_cndmask_b32_e32 v8, 0, v8, vcc
	v_add_u32_e32 v8, v8, v20
	v_and_b32_e32 v8, 0xfffff, v8
	v_add_co_u32_e32 v10, vcc, v8, v20
	v_add_u32_e32 v13, 6, v17
	v_addc_co_u32_e32 v11, vcc, 0, v21, vcc
	v_cmp_ne_u32_e32 vcc, 0, v13
                                        ; implicit-def: $vgpr8
	s_and_saveexec_b64 s[0:1], vcc
	s_xor_b64 s[0:1], exec, s[0:1]
; %bb.30:                               ;   in Loop: Header=BB95_10 Depth=1
	v_add_u32_e32 v8, 7, v17
	v_cmp_lt_u64_e32 vcc, s[34:35], v[10:11]
	v_cndmask_b32_e32 v8, v13, v8, vcc
	v_cndmask_b32_e64 v13, 0, 1, vcc
	v_lshrrev_b64 v[10:11], v13, v[10:11]
; %bb.31:                               ;   in Loop: Header=BB95_10 Depth=1
	s_andn2_saveexec_b64 s[0:1], s[0:1]
; %bb.32:                               ;   in Loop: Header=BB95_10 Depth=1
	v_bfe_u32 v8, v10, 23, 1
; %bb.33:                               ;   in Loop: Header=BB95_10 Depth=1
	s_or_b64 exec, exec, s[0:1]
	v_lshrrev_b64 v[10:11], 20, v[10:11]
	v_cmp_gt_i32_e32 vcc, 16, v8
	v_cndmask_b32_e32 v11, 0, v11, vcc
	v_cndmask_b32_e32 v10, 7, v10, vcc
	v_cmp_ne_u32_e32 vcc, 0, v8
	v_cmp_ne_u64_e64 s[0:1], 0, v[10:11]
	s_or_b64 s[0:1], vcc, s[0:1]
                                        ; implicit-def: $vgpr11
	s_and_saveexec_b64 s[52:53], s[0:1]
	s_xor_b64 s[0:1], exec, s[52:53]
; %bb.34:                               ;   in Loop: Header=BB95_10 Depth=1
	v_min_i32_e32 v8, 15, v8
	v_lshl_or_b32 v8, v8, 3, v12
	v_and_or_b32 v11, v10, 7, v8
                                        ; implicit-def: $vgpr12
; %bb.35:                               ;   in Loop: Header=BB95_10 Depth=1
	s_andn2_saveexec_b64 s[0:1], s[0:1]
; %bb.36:                               ;   in Loop: Header=BB95_10 Depth=1
	v_mov_b32_e32 v11, v12
; %bb.37:                               ;   in Loop: Header=BB95_10 Depth=1
	s_or_b64 exec, exec, s[0:1]
.LBB95_38:                              ;   in Loop: Header=BB95_10 Depth=1
	s_or_b64 exec, exec, s[40:41]
.LBB95_39:                              ;   in Loop: Header=BB95_10 Depth=1
	s_andn2_saveexec_b64 s[0:1], s[38:39]
	s_or_b64 exec, exec, s[0:1]
                                        ; implicit-def: $vgpr10
.LBB95_40:                              ;   in Loop: Header=BB95_10 Depth=1
	s_andn2_saveexec_b64 s[0:1], s[36:37]
	s_cbranch_execz .LBB95_9
; %bb.41:                               ;   in Loop: Header=BB95_10 Depth=1
	v_or_b32_sdwa v10, v10, s51 dst_sel:DWORD dst_unused:UNUSED_PAD src0_sel:BYTE_3 src1_sel:DWORD
	v_cmp_eq_u64_e32 vcc, 0, v[8:9]
	v_cndmask_b32_e32 v11, v10, v11, vcc
	s_branch .LBB95_9
.LBB95_42:
	s_or_b64 exec, exec, s[26:27]
	v_cmp_gt_i32_e32 vcc, s10, v0
	s_and_saveexec_b64 s[0:1], vcc
	s_cbranch_execz .LBB95_61
; %bb.43:
	s_mul_i32 s0, s6, s15
	s_mul_hi_u32 s1, s6, s14
	s_add_i32 s1, s1, s0
	s_mul_i32 s0, s6, s14
	s_lshl_b64 s[0:1], s[0:1], 2
	s_add_u32 s18, s18, s0
	s_addc_u32 s0, s19, s1
	s_ashr_i32 s1, s8, 31
	s_mul_i32 s1, s22, s1
	s_add_i32 s1, s42, s1
	s_add_i32 s1, s1, s43
	s_add_u32 s2, s2, s44
	s_addc_u32 s1, s3, s1
	s_ashr_i32 s3, s9, 31
	s_load_dword s4, s[4:5], 0x8c
	s_mul_i32 s7, s7, s3
	s_waitcnt lgkmcnt(0)
	s_load_dword s20, s[24:25], 0x0
	s_add_i32 s3, s33, s7
	s_add_i32 s3, s3, s11
	s_add_u32 s11, s2, s23
	s_addc_u32 s19, s1, s3
	s_and_b32 s21, s4, 0xffff
	s_mov_b64 s[2:3], 0
	v_mov_b32_e32 v6, s0
	v_mov_b32_e32 v3, 0
	s_movk_i32 s22, 0x80
	s_mov_b64 s[4:5], 0x7f800000
	s_mov_b64 s[6:7], 0x43e00001
	s_movk_i32 s23, 0x7a
	s_mov_b64 s[8:9], 0xffffff
	s_movk_i32 s24, 0x7f
	v_mov_b32_e32 v7, 0xffffff82
	v_mov_b32_e32 v8, 0x78
	s_branch .LBB95_45
.LBB95_44:                              ;   in Loop: Header=BB95_45 Depth=1
	s_or_b64 exec, exec, s[0:1]
	v_mov_b32_e32 v2, s19
	v_add_co_u32_e32 v10, vcc, s11, v0
	v_addc_co_u32_e32 v11, vcc, v2, v1, vcc
	v_add_u32_e32 v0, s21, v0
	v_cmp_le_i32_e32 vcc, s10, v0
	s_or_b64 s[2:3], vcc, s[2:3]
	global_store_byte v[10:11], v5, off
	s_andn2_b64 exec, exec, s[2:3]
	s_cbranch_execz .LBB95_61
.LBB95_45:                              ; =>This Inner Loop Header: Depth=1
	v_ashrrev_i32_e32 v1, 31, v0
	v_lshlrev_b64 v[4:5], 2, v[0:1]
	v_add_co_u32_e32 v4, vcc, s18, v4
	v_addc_co_u32_e32 v5, vcc, v6, v5, vcc
	global_load_ushort v2, v[4:5], off
	v_mov_b32_e32 v11, v3
	s_waitcnt vmcnt(0)
	v_lshlrev_b32_e32 v2, 16, v2
	s_waitcnt lgkmcnt(0)
	v_div_scale_f32 v4, s[0:1], s20, s20, v2
	v_rcp_f32_e32 v5, v4
	v_div_scale_f32 v9, vcc, v2, s20, v2
	v_fma_f32 v10, -v4, v5, 1.0
	v_fmac_f32_e32 v5, v10, v5
	v_mul_f32_e32 v10, v9, v5
	v_fma_f32 v12, -v4, v10, v9
	v_fmac_f32_e32 v10, v12, v5
	v_fma_f32 v4, -v4, v10, v9
	v_div_fmas_f32 v4, v4, v5, v10
	v_div_fixup_f32 v4, v4, s20, v2
	v_and_b32_sdwa v9, v4, s22 dst_sel:DWORD dst_unused:UNUSED_PAD src0_sel:BYTE_3 src1_sel:DWORD
	v_and_b32_e32 v10, 0x7f800000, v4
	v_and_b32_e32 v2, 0x7fffff, v4
	v_or_b32_e32 v5, 0x7e, v9
	v_cmp_ne_u64_e32 vcc, s[4:5], v[10:11]
	s_and_saveexec_b64 s[0:1], vcc
	s_xor_b64 s[12:13], exec, s[0:1]
	s_cbranch_execz .LBB95_59
; %bb.46:                               ;   in Loop: Header=BB95_45 Depth=1
	v_and_b32_e32 v10, 0x7fffffff, v4
	v_mov_b32_e32 v11, v3
	v_cmp_gt_u64_e32 vcc, s[6:7], v[10:11]
	s_and_saveexec_b64 s[0:1], vcc
	s_xor_b64 s[14:15], exec, s[0:1]
	s_cbranch_execz .LBB95_58
; %bb.47:                               ;   in Loop: Header=BB95_45 Depth=1
	v_cmp_ne_u32_e32 vcc, 0, v4
	v_mov_b32_e32 v5, 0
	s_and_saveexec_b64 s[16:17], vcc
	s_cbranch_execz .LBB95_57
; %bb.48:                               ;   in Loop: Header=BB95_45 Depth=1
	v_bfe_u32 v4, v4, 23, 8
	v_sub_u32_e32 v10, 0x79, v4
	v_cmp_gt_u32_e32 vcc, s23, v4
	v_cndmask_b32_e32 v10, 0, v10, vcc
	v_cmp_eq_u32_e32 vcc, 0, v4
	v_cndmask_b32_e32 v10, v10, v8, vcc
	v_add_u32_e32 v5, 0xffffff81, v4
	v_or_b32_e32 v11, 0x800000, v2
	v_add_u32_e32 v4, 20, v10
	v_cndmask_b32_e32 v16, v5, v7, vcc
	v_cndmask_b32_e32 v2, v11, v2, vcc
	v_lshlrev_b64 v[4:5], v4, -1
	v_not_b32_e32 v4, v4
	v_lshrrev_b64 v[14:15], v10, v[2:3]
	v_not_b32_e32 v5, v5
	v_and_b32_e32 v4, v2, v4
	v_add_u32_e32 v11, 19, v10
	v_lshrrev_b32_e32 v2, 23, v14
	v_and_b32_e32 v5, 0, v5
	v_lshlrev_b64 v[12:13], v11, 1
	v_add3_u32 v11, v10, v16, v2
	v_bfe_u32 v2, v14, 20, 1
	v_add_u32_e32 v2, -1, v2
	v_cmp_eq_u64_e32 vcc, v[4:5], v[12:13]
	v_cndmask_b32_e32 v2, 0, v2, vcc
	v_add_u32_e32 v2, v2, v14
	v_and_b32_e32 v2, 0xfffff, v2
	v_add_co_u32_e32 v4, vcc, v2, v14
	v_add_u32_e32 v10, 6, v11
	v_addc_co_u32_e32 v5, vcc, 0, v15, vcc
	v_cmp_ne_u32_e32 vcc, 0, v10
                                        ; implicit-def: $vgpr2
	s_and_saveexec_b64 s[0:1], vcc
	s_xor_b64 s[0:1], exec, s[0:1]
; %bb.49:                               ;   in Loop: Header=BB95_45 Depth=1
	v_add_u32_e32 v2, 7, v11
	v_cmp_lt_u64_e32 vcc, s[8:9], v[4:5]
	v_cndmask_b32_e32 v2, v10, v2, vcc
	v_cndmask_b32_e64 v10, 0, 1, vcc
	v_lshrrev_b64 v[4:5], v10, v[4:5]
; %bb.50:                               ;   in Loop: Header=BB95_45 Depth=1
	s_andn2_saveexec_b64 s[0:1], s[0:1]
; %bb.51:                               ;   in Loop: Header=BB95_45 Depth=1
	v_bfe_u32 v2, v4, 23, 1
; %bb.52:                               ;   in Loop: Header=BB95_45 Depth=1
	s_or_b64 exec, exec, s[0:1]
	v_lshrrev_b64 v[4:5], 20, v[4:5]
	v_cmp_gt_i32_e32 vcc, 16, v2
	v_cndmask_b32_e32 v5, 0, v5, vcc
	v_cndmask_b32_e32 v4, 7, v4, vcc
	v_cmp_ne_u32_e32 vcc, 0, v2
	v_cmp_ne_u64_e64 s[0:1], 0, v[4:5]
	s_or_b64 s[0:1], vcc, s[0:1]
                                        ; implicit-def: $vgpr5
	s_and_saveexec_b64 s[26:27], s[0:1]
	s_xor_b64 s[0:1], exec, s[26:27]
; %bb.53:                               ;   in Loop: Header=BB95_45 Depth=1
	v_min_i32_e32 v2, 15, v2
	v_lshl_or_b32 v2, v2, 3, v9
	v_and_or_b32 v5, v4, 7, v2
                                        ; implicit-def: $vgpr9
; %bb.54:                               ;   in Loop: Header=BB95_45 Depth=1
	s_andn2_saveexec_b64 s[0:1], s[0:1]
; %bb.55:                               ;   in Loop: Header=BB95_45 Depth=1
	v_mov_b32_e32 v5, v9
; %bb.56:                               ;   in Loop: Header=BB95_45 Depth=1
	s_or_b64 exec, exec, s[0:1]
.LBB95_57:                              ;   in Loop: Header=BB95_45 Depth=1
	s_or_b64 exec, exec, s[16:17]
.LBB95_58:                              ;   in Loop: Header=BB95_45 Depth=1
	s_andn2_saveexec_b64 s[0:1], s[14:15]
	s_or_b64 exec, exec, s[0:1]
                                        ; implicit-def: $vgpr4
.LBB95_59:                              ;   in Loop: Header=BB95_45 Depth=1
	s_andn2_saveexec_b64 s[0:1], s[12:13]
	s_cbranch_execz .LBB95_44
; %bb.60:                               ;   in Loop: Header=BB95_45 Depth=1
	v_or_b32_sdwa v4, v4, s24 dst_sel:DWORD dst_unused:UNUSED_PAD src0_sel:BYTE_3 src1_sel:DWORD
	v_cmp_eq_u64_e32 vcc, 0, v[2:3]
	v_cndmask_b32_e32 v5, v4, v5, vcc
	s_branch .LBB95_44
.LBB95_61:
	s_endpgm
.LBB95_62:
                                        ; implicit-def: $sgpr22_sgpr23
	s_branch .LBB95_6
	.section	.rodata,"a",@progbits
	.p2align	6, 0x0
	.amdhsa_kernel _ZN4vllm38concat_and_cache_mla_rope_fused_kernelIfN3c108BFloat16ELb0E14__hip_bfloat16hLNS_18Fp8KVCacheDataTypeE1EEEvPKlPT_S8_PKS7_PKT0_illlliPT3_S6_iiiiPKf
		.amdhsa_group_segment_fixed_size 0
		.amdhsa_private_segment_fixed_size 0
		.amdhsa_kernarg_size 384
		.amdhsa_user_sgpr_count 6
		.amdhsa_user_sgpr_private_segment_buffer 1
		.amdhsa_user_sgpr_dispatch_ptr 0
		.amdhsa_user_sgpr_queue_ptr 0
		.amdhsa_user_sgpr_kernarg_segment_ptr 1
		.amdhsa_user_sgpr_dispatch_id 0
		.amdhsa_user_sgpr_flat_scratch_init 0
		.amdhsa_user_sgpr_kernarg_preload_length 0
		.amdhsa_user_sgpr_kernarg_preload_offset 0
		.amdhsa_user_sgpr_private_segment_size 0
		.amdhsa_uses_dynamic_stack 0
		.amdhsa_system_sgpr_private_segment_wavefront_offset 0
		.amdhsa_system_sgpr_workgroup_id_x 1
		.amdhsa_system_sgpr_workgroup_id_y 0
		.amdhsa_system_sgpr_workgroup_id_z 0
		.amdhsa_system_sgpr_workgroup_info 0
		.amdhsa_system_vgpr_workitem_id 0
		.amdhsa_next_free_vgpr 24
		.amdhsa_next_free_sgpr 54
		.amdhsa_accum_offset 24
		.amdhsa_reserve_vcc 1
		.amdhsa_reserve_flat_scratch 0
		.amdhsa_float_round_mode_32 0
		.amdhsa_float_round_mode_16_64 0
		.amdhsa_float_denorm_mode_32 3
		.amdhsa_float_denorm_mode_16_64 3
		.amdhsa_dx10_clamp 1
		.amdhsa_ieee_mode 1
		.amdhsa_fp16_overflow 0
		.amdhsa_tg_split 0
		.amdhsa_exception_fp_ieee_invalid_op 0
		.amdhsa_exception_fp_denorm_src 0
		.amdhsa_exception_fp_ieee_div_zero 0
		.amdhsa_exception_fp_ieee_overflow 0
		.amdhsa_exception_fp_ieee_underflow 0
		.amdhsa_exception_fp_ieee_inexact 0
		.amdhsa_exception_int_div_zero 0
	.end_amdhsa_kernel
	.section	.text._ZN4vllm38concat_and_cache_mla_rope_fused_kernelIfN3c108BFloat16ELb0E14__hip_bfloat16hLNS_18Fp8KVCacheDataTypeE1EEEvPKlPT_S8_PKS7_PKT0_illlliPT3_S6_iiiiPKf,"axG",@progbits,_ZN4vllm38concat_and_cache_mla_rope_fused_kernelIfN3c108BFloat16ELb0E14__hip_bfloat16hLNS_18Fp8KVCacheDataTypeE1EEEvPKlPT_S8_PKS7_PKT0_illlliPT3_S6_iiiiPKf,comdat
.Lfunc_end95:
	.size	_ZN4vllm38concat_and_cache_mla_rope_fused_kernelIfN3c108BFloat16ELb0E14__hip_bfloat16hLNS_18Fp8KVCacheDataTypeE1EEEvPKlPT_S8_PKS7_PKT0_illlliPT3_S6_iiiiPKf, .Lfunc_end95-_ZN4vllm38concat_and_cache_mla_rope_fused_kernelIfN3c108BFloat16ELb0E14__hip_bfloat16hLNS_18Fp8KVCacheDataTypeE1EEEvPKlPT_S8_PKS7_PKT0_illlliPT3_S6_iiiiPKf
                                        ; -- End function
	.section	.AMDGPU.csdata,"",@progbits
; Kernel info:
; codeLenInByte = 3652
; NumSgprs: 58
; NumVgprs: 24
; NumAgprs: 0
; TotalNumVgprs: 24
; ScratchSize: 0
; MemoryBound: 0
; FloatMode: 240
; IeeeMode: 1
; LDSByteSize: 0 bytes/workgroup (compile time only)
; SGPRBlocks: 7
; VGPRBlocks: 2
; NumSGPRsForWavesPerEU: 58
; NumVGPRsForWavesPerEU: 24
; AccumOffset: 24
; Occupancy: 8
; WaveLimiterHint : 1
; COMPUTE_PGM_RSRC2:SCRATCH_EN: 0
; COMPUTE_PGM_RSRC2:USER_SGPR: 6
; COMPUTE_PGM_RSRC2:TRAP_HANDLER: 0
; COMPUTE_PGM_RSRC2:TGID_X_EN: 1
; COMPUTE_PGM_RSRC2:TGID_Y_EN: 0
; COMPUTE_PGM_RSRC2:TGID_Z_EN: 0
; COMPUTE_PGM_RSRC2:TIDIG_COMP_CNT: 0
; COMPUTE_PGM_RSRC3_GFX90A:ACCUM_OFFSET: 5
; COMPUTE_PGM_RSRC3_GFX90A:TG_SPLIT: 0
	.section	.text._ZN4vllm38concat_and_cache_mla_rope_fused_kernelIN3c104HalfEfLb1E14__hip_bfloat16hLNS_18Fp8KVCacheDataTypeE1EEEvPKlPT_S8_PKS7_PKT0_illlliPT3_S6_iiiiPKf,"axG",@progbits,_ZN4vllm38concat_and_cache_mla_rope_fused_kernelIN3c104HalfEfLb1E14__hip_bfloat16hLNS_18Fp8KVCacheDataTypeE1EEEvPKlPT_S8_PKS7_PKT0_illlliPT3_S6_iiiiPKf,comdat
	.protected	_ZN4vllm38concat_and_cache_mla_rope_fused_kernelIN3c104HalfEfLb1E14__hip_bfloat16hLNS_18Fp8KVCacheDataTypeE1EEEvPKlPT_S8_PKS7_PKT0_illlliPT3_S6_iiiiPKf ; -- Begin function _ZN4vllm38concat_and_cache_mla_rope_fused_kernelIN3c104HalfEfLb1E14__hip_bfloat16hLNS_18Fp8KVCacheDataTypeE1EEEvPKlPT_S8_PKS7_PKT0_illlliPT3_S6_iiiiPKf
	.globl	_ZN4vllm38concat_and_cache_mla_rope_fused_kernelIN3c104HalfEfLb1E14__hip_bfloat16hLNS_18Fp8KVCacheDataTypeE1EEEvPKlPT_S8_PKS7_PKT0_illlliPT3_S6_iiiiPKf
	.p2align	8
	.type	_ZN4vllm38concat_and_cache_mla_rope_fused_kernelIN3c104HalfEfLb1E14__hip_bfloat16hLNS_18Fp8KVCacheDataTypeE1EEEvPKlPT_S8_PKS7_PKT0_illlliPT3_S6_iiiiPKf,@function
_ZN4vllm38concat_and_cache_mla_rope_fused_kernelIN3c104HalfEfLb1E14__hip_bfloat16hLNS_18Fp8KVCacheDataTypeE1EEEvPKlPT_S8_PKS7_PKT0_illlliPT3_S6_iiiiPKf: ; @_ZN4vllm38concat_and_cache_mla_rope_fused_kernelIN3c104HalfEfLb1E14__hip_bfloat16hLNS_18Fp8KVCacheDataTypeE1EEEvPKlPT_S8_PKS7_PKT0_illlliPT3_S6_iiiiPKf
; %bb.0:
	s_load_dwordx2 s[2:3], s[4:5], 0x60
	s_mov_b32 s7, 0
	s_lshl_b64 s[0:1], s[6:7], 3
	s_waitcnt lgkmcnt(0)
	s_add_u32 s2, s2, s0
	s_addc_u32 s3, s3, s1
	s_load_dwordx2 s[26:27], s[2:3], 0x0
	s_waitcnt lgkmcnt(0)
	v_cmp_lt_i64_e64 s[2:3], s[26:27], 0
	s_and_b64 vcc, exec, s[2:3]
	s_cbranch_vccnz .LBB96_61
; %bb.1:
	s_load_dword s7, s[4:5], 0x28
	s_load_dwordx2 s[2:3], s[4:5], 0x0
	s_load_dwordx4 s[16:19], s[4:5], 0x10
	s_waitcnt lgkmcnt(0)
	s_ashr_i32 s22, s7, 31
	s_add_u32 s0, s2, s0
	s_addc_u32 s1, s3, s1
	s_load_dwordx2 s[20:21], s[0:1], 0x0
	s_load_dwordx2 s[28:29], s[4:5], 0x20
	s_load_dwordx8 s[8:15], s[4:5], 0x30
	s_load_dwordx2 s[2:3], s[4:5], 0x58
	s_load_dword s23, s[4:5], 0x50
	s_waitcnt lgkmcnt(0)
	s_mul_i32 s0, s20, s22
	s_mul_hi_u32 s1, s20, s7
	s_mul_i32 s21, s21, s7
	s_add_i32 s0, s1, s0
	s_add_i32 s31, s0, s21
	s_lshr_b32 s0, s7, 31
	s_mul_i32 s30, s20, s7
	s_add_i32 s7, s7, s0
	s_ashr_i32 s20, s7, 1
	s_mul_i32 s7, s20, s23
	v_cmp_gt_i32_e32 vcc, s7, v0
	s_and_saveexec_b64 s[0:1], vcc
	s_cbranch_execz .LBB96_4
; %bb.2:
	s_lshl_b64 s[22:23], s[30:31], 2
	s_add_u32 s33, s28, s22
	s_addc_u32 s24, s29, s23
	s_load_dwordx2 s[22:23], s[4:5], 0x8
	s_mul_i32 s9, s6, s9
	s_mul_hi_u32 s25, s6, s8
	s_add_i32 s9, s25, s9
	s_load_dword s25, s[4:5], 0x8c
	s_mul_i32 s8, s6, s8
	s_ashr_i32 s21, s20, 31
	s_lshl_b64 s[8:9], s[8:9], 1
	s_waitcnt lgkmcnt(0)
	s_add_u32 s34, s22, s8
	s_addc_u32 s38, s23, s9
	s_abs_i32 s35, s20
	v_cvt_f32_u32_e32 v1, s35
	s_sub_i32 s8, 0, s35
	s_and_b32 s36, s25, 0xffff
	v_mov_b32_e32 v3, s24
	v_rcp_iflag_f32_e32 v1, v1
	s_lshl_b64 s[22:23], s[20:21], 2
	s_lshl_b64 s[24:25], s[20:21], 1
	s_sub_i32 s37, 0, s20
	v_mul_f32_e32 v1, 0x4f7ffffe, v1
	v_cvt_u32_f32_e32 v1, v1
	v_mov_b32_e32 v4, s23
	v_mov_b32_e32 v5, s38
	;; [unrolled: 1-line block ×3, first 2 shown]
	v_mul_lo_u32 v2, s8, v1
	v_mul_hi_u32 v2, v1, v2
	v_add_u32_e32 v1, v1, v2
	s_mov_b64 s[8:9], 0
	v_mov_b32_e32 v2, v0
.LBB96_3:                               ; =>This Inner Loop Header: Depth=1
	v_sub_u32_e32 v8, 0, v2
	v_max_i32_e32 v8, v2, v8
	v_mul_hi_u32 v9, v8, v1
	v_mul_lo_u32 v10, v9, s35
	v_sub_u32_e32 v8, v8, v10
	v_add_u32_e32 v11, 1, v9
	v_cmp_le_u32_e32 vcc, s35, v8
	v_subrev_u32_e32 v10, s35, v8
	v_cndmask_b32_e32 v9, v9, v11, vcc
	v_cndmask_b32_e32 v8, v8, v10, vcc
	v_ashrrev_i32_e32 v7, 31, v2
	v_add_u32_e32 v10, 1, v9
	v_cmp_le_u32_e32 vcc, s35, v8
	v_xor_b32_e32 v7, s21, v7
	v_cndmask_b32_e32 v8, v9, v10, vcc
	v_xor_b32_e32 v8, v8, v7
	v_sub_u32_e32 v7, v8, v7
	v_mad_u64_u32 v[8:9], s[38:39], s37, v7, v[2:3]
	v_ashrrev_i32_e32 v12, 31, v7
	v_ashrrev_i32_e32 v9, 31, v8
	v_mul_lo_u32 v14, v7, s11
	v_mad_u64_u32 v[10:11], s[38:39], v7, s10, 0
	v_mul_lo_u32 v7, v12, s10
	v_lshlrev_b64 v[12:13], 2, v[8:9]
	v_add_co_u32_e32 v12, vcc, s33, v12
	v_addc_co_u32_e32 v13, vcc, v3, v13, vcc
	v_add3_u32 v11, v11, v14, v7
	v_add_co_u32_e32 v14, vcc, s22, v12
	v_lshlrev_b64 v[10:11], 1, v[10:11]
	v_addc_co_u32_e32 v15, vcc, v13, v4, vcc
	v_add_co_u32_e32 v7, vcc, s34, v10
	v_lshlrev_b64 v[8:9], 1, v[8:9]
	v_addc_co_u32_e32 v10, vcc, v5, v11, vcc
	global_load_dword v16, v[12:13], off
	global_load_dword v17, v[14:15], off
	v_add_co_u32_e32 v8, vcc, v7, v8
	v_addc_co_u32_e32 v9, vcc, v10, v9, vcc
	v_add_co_u32_e32 v10, vcc, s24, v8
	v_addc_co_u32_e32 v11, vcc, v9, v6, vcc
	global_load_ushort v7, v[8:9], off
	global_load_ushort v12, v[10:11], off
	v_add_u32_e32 v2, s36, v2
	v_cmp_le_i32_e32 vcc, s7, v2
	s_or_b64 s[8:9], vcc, s[8:9]
	s_waitcnt vmcnt(3)
	v_cvt_f16_f32_e32 v13, v16
	s_waitcnt vmcnt(2)
	v_cvt_f16_f32_e32 v14, v17
	s_waitcnt vmcnt(0)
	v_mul_f16_e32 v15, v12, v13
	v_mul_f16_e32 v12, v12, v14
	v_fma_f16 v14, v7, v14, v15
	v_fma_f16 v7, v7, v13, -v12
	global_store_short v[8:9], v7, off
	global_store_short v[10:11], v14, off
	s_andn2_b64 exec, exec, s[8:9]
	s_cbranch_execnz .LBB96_3
.LBB96_4:
	s_or_b64 exec, exec, s[0:1]
	s_load_dwordx4 s[8:11], s[4:5], 0x68
	s_waitcnt lgkmcnt(0)
	s_ashr_i32 s35, s11, 31
	s_mov_b32 s34, s11
	s_or_b64 s[0:1], s[26:27], s[34:35]
	s_mov_b32 s0, 0
	s_cmp_lg_u64 s[0:1], 0
	s_cbranch_scc0 .LBB96_62
; %bb.5:
	s_add_u32 s0, s34, s35
	s_mov_b32 s22, s35
	s_mov_b32 s23, s35
	s_addc_u32 s1, s35, s35
	s_xor_b64 s[36:37], s[0:1], s[22:23]
	v_cvt_f32_u32_e32 v1, s36
	v_cvt_f32_u32_e32 v2, s37
	s_sub_u32 s0, 0, s36
	s_subb_u32 s1, 0, s37
	v_madmk_f32 v1, v2, 0x4f800000, v1
	v_rcp_f32_e32 v1, v1
	v_mul_f32_e32 v1, 0x5f7ffffc, v1
	v_mul_f32_e32 v2, 0x2f800000, v1
	v_trunc_f32_e32 v2, v2
	v_madmk_f32 v1, v2, 0xcf800000, v1
	v_cvt_u32_f32_e32 v2, v2
	v_cvt_u32_f32_e32 v1, v1
	v_readfirstlane_b32 s7, v2
	v_readfirstlane_b32 s11, v1
	s_mul_i32 s21, s0, s7
	s_mul_hi_u32 s38, s0, s11
	s_mul_i32 s33, s1, s11
	s_add_i32 s21, s38, s21
	s_add_i32 s21, s21, s33
	s_mul_i32 s39, s0, s11
	s_mul_hi_u32 s33, s11, s21
	s_mul_i32 s38, s11, s21
	s_mul_hi_u32 s11, s11, s39
	s_add_u32 s11, s11, s38
	s_addc_u32 s33, 0, s33
	s_mul_hi_u32 s40, s7, s39
	s_mul_i32 s39, s7, s39
	s_add_u32 s11, s11, s39
	s_mul_hi_u32 s38, s7, s21
	s_addc_u32 s11, s33, s40
	s_addc_u32 s33, s38, 0
	s_mul_i32 s21, s7, s21
	s_add_u32 s11, s11, s21
	s_addc_u32 s21, 0, s33
	v_add_co_u32_e32 v1, vcc, s11, v1
	s_cmp_lg_u64 vcc, 0
	s_addc_u32 s7, s7, s21
	v_readfirstlane_b32 s21, v1
	s_mul_i32 s11, s0, s7
	s_mul_hi_u32 s33, s0, s21
	s_add_i32 s11, s33, s11
	s_mul_i32 s1, s1, s21
	s_add_i32 s11, s11, s1
	s_mul_i32 s0, s0, s21
	s_mul_hi_u32 s33, s7, s0
	s_mul_i32 s38, s7, s0
	s_mul_i32 s40, s21, s11
	s_mul_hi_u32 s0, s21, s0
	s_mul_hi_u32 s39, s21, s11
	s_add_u32 s0, s0, s40
	s_addc_u32 s21, 0, s39
	s_add_u32 s0, s0, s38
	s_mul_hi_u32 s1, s7, s11
	s_addc_u32 s0, s21, s33
	s_addc_u32 s1, s1, 0
	s_mul_i32 s11, s7, s11
	s_add_u32 s0, s0, s11
	s_addc_u32 s1, 0, s1
	v_add_co_u32_e32 v1, vcc, s0, v1
	s_cmp_lg_u64 vcc, 0
	s_addc_u32 s7, s7, s1
	s_ashr_i32 s38, s27, 31
	s_add_u32 s0, s26, s38
	s_mov_b32 s39, s38
	s_addc_u32 s1, s27, s38
	s_xor_b64 s[40:41], s[0:1], s[38:39]
	v_readfirstlane_b32 s11, v1
	s_mul_i32 s1, s40, s7
	s_mul_hi_u32 s21, s40, s11
	s_mul_hi_u32 s0, s40, s7
	s_add_u32 s1, s21, s1
	s_addc_u32 s0, 0, s0
	s_mul_hi_u32 s33, s41, s11
	s_mul_i32 s11, s41, s11
	s_add_u32 s1, s1, s11
	s_mul_hi_u32 s21, s41, s7
	s_addc_u32 s0, s0, s33
	s_addc_u32 s1, s21, 0
	s_mul_i32 s7, s41, s7
	s_add_u32 s7, s0, s7
	s_addc_u32 s11, 0, s1
	s_mul_i32 s0, s36, s11
	s_mul_hi_u32 s1, s36, s7
	s_add_i32 s0, s1, s0
	s_mul_i32 s1, s37, s7
	s_add_i32 s21, s0, s1
	s_mul_i32 s1, s36, s7
	v_mov_b32_e32 v1, s1
	s_sub_i32 s0, s41, s21
	v_sub_co_u32_e32 v1, vcc, s40, v1
	s_cmp_lg_u64 vcc, 0
	s_subb_u32 s33, s0, s37
	v_subrev_co_u32_e64 v2, s[0:1], s36, v1
	s_cmp_lg_u64 s[0:1], 0
	s_subb_u32 s0, s33, 0
	s_cmp_ge_u32 s0, s37
	v_readfirstlane_b32 s33, v2
	s_cselect_b32 s1, -1, 0
	s_cmp_ge_u32 s33, s36
	s_cselect_b32 s33, -1, 0
	s_cmp_eq_u32 s0, s37
	s_cselect_b32 s0, s33, s1
	s_add_u32 s1, s7, 1
	s_addc_u32 s33, s11, 0
	s_add_u32 s40, s7, 2
	s_addc_u32 s42, s11, 0
	s_cmp_lg_u32 s0, 0
	s_cselect_b32 s0, s40, s1
	s_cselect_b32 s1, s42, s33
	s_cmp_lg_u64 vcc, 0
	s_subb_u32 s21, s41, s21
	s_cmp_ge_u32 s21, s37
	v_readfirstlane_b32 s40, v1
	s_cselect_b32 s33, -1, 0
	s_cmp_ge_u32 s40, s36
	s_cselect_b32 s36, -1, 0
	s_cmp_eq_u32 s21, s37
	s_cselect_b32 s21, s36, s33
	s_cmp_lg_u32 s21, 0
	s_cselect_b32 s1, s1, s11
	s_cselect_b32 s0, s0, s7
	s_xor_b64 s[22:23], s[38:39], s[22:23]
	s_xor_b64 s[0:1], s[0:1], s[22:23]
	s_sub_u32 s22, s0, s22
	s_subb_u32 s23, s1, s23
	s_cbranch_execnz .LBB96_7
.LBB96_6:
	v_cvt_f32_u32_e32 v1, s34
	s_sub_i32 s0, 0, s34
	s_mov_b32 s23, 0
	v_rcp_iflag_f32_e32 v1, v1
	v_mul_f32_e32 v1, 0x4f7ffffe, v1
	v_cvt_u32_f32_e32 v1, v1
	v_readfirstlane_b32 s1, v1
	s_mul_i32 s0, s0, s1
	s_mul_hi_u32 s0, s1, s0
	s_add_i32 s1, s1, s0
	s_mul_hi_u32 s0, s26, s1
	s_mul_i32 s7, s0, s34
	s_sub_i32 s7, s26, s7
	s_add_i32 s1, s0, 1
	s_sub_i32 s11, s7, s34
	s_cmp_ge_u32 s7, s34
	s_cselect_b32 s0, s1, s0
	s_cselect_b32 s7, s11, s7
	s_add_i32 s1, s0, 1
	s_cmp_ge_u32 s7, s34
	s_cselect_b32 s22, s1, s0
.LBB96_7:
	s_mul_i32 s0, s22, s35
	s_mul_hi_u32 s1, s22, s34
	s_load_dwordx2 s[24:25], s[4:5], 0x78
	s_add_i32 s0, s1, s0
	s_mul_i32 s1, s23, s34
	s_add_i32 s0, s0, s1
	s_mul_i32 s1, s22, s34
	s_sub_u32 s7, s26, s1
	s_subb_u32 s11, s27, s0
	v_cmp_gt_i32_e32 vcc, s20, v0
	s_mul_hi_u32 s46, s22, s8
	s_mul_i32 s47, s23, s8
	s_mul_i32 s48, s22, s8
	s_mul_hi_u32 s33, s7, s9
	s_mul_i32 s11, s11, s9
	s_mul_i32 s23, s7, s9
	s_and_saveexec_b64 s[26:27], vcc
	s_cbranch_execz .LBB96_42
; %bb.8:
	s_ashr_i32 s0, s8, 31
	s_ashr_i32 s1, s9, 31
	s_mul_i32 s0, s22, s0
	s_mul_i32 s1, s7, s1
	s_add_i32 s0, s46, s0
	s_add_i32 s1, s33, s1
	s_ashr_i32 s21, s20, 31
	s_add_i32 s0, s0, s47
	s_add_i32 s1, s1, s11
	s_add_u32 s34, s48, s23
	s_load_dword s36, s[4:5], 0x8c
	s_addc_u32 s35, s0, s1
	s_add_u32 s0, s34, s2
	s_addc_u32 s1, s35, s3
	s_ashr_i32 s37, s10, 31
	s_add_u32 s49, s0, s10
	s_addc_u32 s50, s1, s37
	s_waitcnt lgkmcnt(0)
	s_and_b32 s52, s36, 0xffff
	s_lshl_b64 s[0:1], s[30:31], 2
	s_add_u32 s0, s28, s0
	v_lshlrev_b32_e32 v1, 2, v0
	s_addc_u32 s1, s29, s1
	v_mov_b32_e32 v2, s1
	v_add_co_u32_e32 v4, vcc, s0, v1
	s_mul_i32 s0, s13, s6
	s_mul_hi_u32 s1, s12, s6
	s_add_i32 s1, s1, s0
	s_mul_i32 s0, s12, s6
	s_lshl_b32 s54, s52, 2
	s_lshl_b64 s[28:29], s[20:21], 2
	s_lshl_b64 s[30:31], s[20:21], 1
	;; [unrolled: 1-line block ×3, first 2 shown]
	s_add_u32 s0, s16, s0
	v_addc_co_u32_e32 v5, vcc, 0, v2, vcc
	v_lshlrev_b32_e32 v1, 1, v0
	s_addc_u32 s1, s17, s1
	s_lshl_b32 s55, s52, 1
	v_add_co_u32_e32 v6, vcc, s0, v1
	s_add_u32 s0, s34, s20
	s_load_dword s51, s[24:25], 0x0
	v_mov_b32_e32 v2, s1
	s_addc_u32 s1, s35, s21
	s_add_u32 s0, s0, s10
	s_addc_u32 s1, s1, s37
	s_mov_b32 s53, 0
	s_add_u32 s21, s2, s0
	v_mov_b32_e32 v3, 0
	v_addc_co_u32_e32 v7, vcc, 0, v2, vcc
	s_mov_b32 s56, s53
	s_addc_u32 s57, s3, s1
	s_mov_b64 s[12:13], 0
	v_mov_b32_e32 v1, s29
	v_mov_b32_e32 v10, s31
	s_movk_i32 s29, 0x80
	s_mov_b64 s[16:17], 0x7f800000
	s_mov_b64 s[34:35], 0x43e00001
	s_movk_i32 s31, 0x7a
	s_mov_b64 s[36:37], 0xffffff
	s_movk_i32 s58, 0x7f
	v_mov_b32_e32 v11, 0xffffff82
	v_mov_b32_e32 v12, 0x78
	s_mov_b64 s[38:39], 0
	s_branch .LBB96_10
.LBB96_9:                               ;   in Loop: Header=BB96_10 Depth=1
	s_or_b64 exec, exec, s[0:1]
	s_add_u32 s38, s38, s52
	v_mov_b32_e32 v2, s57
	v_add_co_u32_e32 v14, vcc, s21, v0
	s_addc_u32 s39, s39, 0
	v_addc_co_u32_e32 v15, vcc, 0, v2, vcc
	s_add_u32 s21, s21, s52
	v_mov_b32_e32 v8, s53
	v_add_co_u32_e32 v4, vcc, s54, v4
	s_addc_u32 s57, s57, 0
	v_add_u32_e32 v2, s38, v0
	v_addc_co_u32_e32 v5, vcc, v5, v8, vcc
	s_add_u32 s49, s49, s52
	s_addc_u32 s50, s50, 0
	v_cmp_le_i32_e32 vcc, s20, v2
	v_mov_b32_e32 v8, s56
	s_or_b64 s[12:13], vcc, s[12:13]
	v_add_co_u32_e32 v6, vcc, s55, v6
	v_addc_co_u32_e32 v7, vcc, v7, v8, vcc
	global_store_byte v[14:15], v9, off
	s_andn2_b64 exec, exec, s[12:13]
	s_cbranch_execz .LBB96_42
.LBB96_10:                              ; =>This Inner Loop Header: Depth=1
	v_add_co_u32_e32 v8, vcc, s28, v4
	v_addc_co_u32_e32 v9, vcc, v5, v1, vcc
	global_load_dword v2, v[4:5], off
	global_load_dword v13, v[8:9], off
	v_add_co_u32_e32 v8, vcc, s30, v6
	v_addc_co_u32_e32 v9, vcc, v7, v10, vcc
	global_load_ushort v14, v[8:9], off
	global_load_ushort v15, v[6:7], off
	v_mov_b32_e32 v17, v3
	s_waitcnt vmcnt(3)
	v_cvt_f16_f32_e32 v2, v2
	s_waitcnt vmcnt(2)
	v_cvt_f16_f32_e32 v13, v13
	s_waitcnt vmcnt(1)
	v_mul_f16_e32 v16, v14, v2
	v_mul_f16_e32 v14, v14, v13
	s_waitcnt vmcnt(0)
	v_fma_f16 v2, v15, v2, -v14
	global_store_short v[6:7], v2, off
	v_lshlrev_b32_e32 v2, 16, v2
	s_waitcnt lgkmcnt(0)
	v_div_scale_f32 v14, s[0:1], s51, s51, v2
	v_fma_f16 v13, v15, v13, v16
	v_rcp_f32_e32 v15, v14
	global_store_short v[8:9], v13, off
	v_div_scale_f32 v8, vcc, v2, s51, v2
	v_fma_f32 v9, -v14, v15, 1.0
	v_fmac_f32_e32 v15, v9, v15
	v_mul_f32_e32 v9, v8, v15
	v_fma_f32 v16, -v14, v9, v8
	v_fmac_f32_e32 v9, v16, v15
	v_fma_f32 v8, -v14, v9, v8
	v_div_fmas_f32 v8, v8, v15, v9
	v_div_fixup_f32 v8, v8, s51, v2
	v_and_b32_sdwa v14, v8, s29 dst_sel:DWORD dst_unused:UNUSED_PAD src0_sel:BYTE_3 src1_sel:DWORD
	v_and_b32_e32 v16, 0x7f800000, v8
	v_and_b32_e32 v2, 0x7fffff, v8
	v_or_b32_e32 v9, 0x7e, v14
	v_cmp_ne_u64_e32 vcc, s[16:17], v[16:17]
	s_and_saveexec_b64 s[0:1], vcc
	s_xor_b64 s[40:41], exec, s[0:1]
	s_cbranch_execz .LBB96_24
; %bb.11:                               ;   in Loop: Header=BB96_10 Depth=1
	v_and_b32_e32 v16, 0x7fffffff, v8
	v_mov_b32_e32 v17, v3
	v_cmp_gt_u64_e32 vcc, s[34:35], v[16:17]
	s_and_saveexec_b64 s[0:1], vcc
	s_xor_b64 s[42:43], exec, s[0:1]
	s_cbranch_execz .LBB96_23
; %bb.12:                               ;   in Loop: Header=BB96_10 Depth=1
	v_cmp_ne_u32_e32 vcc, 0, v8
	v_mov_b32_e32 v9, 0
	s_and_saveexec_b64 s[44:45], vcc
	s_cbranch_execz .LBB96_22
; %bb.13:                               ;   in Loop: Header=BB96_10 Depth=1
	v_bfe_u32 v8, v8, 23, 8
	v_sub_u32_e32 v15, 0x79, v8
	v_cmp_gt_u32_e32 vcc, s31, v8
	v_cndmask_b32_e32 v15, 0, v15, vcc
	v_cmp_eq_u32_e32 vcc, 0, v8
	v_cndmask_b32_e32 v15, v15, v12, vcc
	v_add_u32_e32 v9, 0xffffff81, v8
	v_or_b32_e32 v16, 0x800000, v2
	v_add_u32_e32 v8, 20, v15
	v_cndmask_b32_e32 v17, v9, v11, vcc
	v_cndmask_b32_e32 v2, v16, v2, vcc
	v_lshlrev_b64 v[8:9], v8, -1
	v_not_b32_e32 v8, v8
	v_lshrrev_b64 v[20:21], v15, v[2:3]
	v_not_b32_e32 v9, v9
	v_and_b32_e32 v8, v2, v8
	v_add_u32_e32 v16, 19, v15
	v_lshrrev_b32_e32 v2, 23, v20
	v_and_b32_e32 v9, 0, v9
	v_lshlrev_b64 v[18:19], v16, 1
	v_add3_u32 v16, v15, v17, v2
	v_bfe_u32 v2, v20, 20, 1
	v_add_u32_e32 v2, -1, v2
	v_cmp_eq_u64_e32 vcc, v[8:9], v[18:19]
	v_cndmask_b32_e32 v2, 0, v2, vcc
	v_add_u32_e32 v2, v2, v20
	v_and_b32_e32 v2, 0xfffff, v2
	v_add_co_u32_e32 v8, vcc, v2, v20
	v_add_u32_e32 v15, 6, v16
	v_addc_co_u32_e32 v9, vcc, 0, v21, vcc
	v_cmp_ne_u32_e32 vcc, 0, v15
                                        ; implicit-def: $vgpr2
	s_and_saveexec_b64 s[0:1], vcc
	s_xor_b64 s[0:1], exec, s[0:1]
; %bb.14:                               ;   in Loop: Header=BB96_10 Depth=1
	v_add_u32_e32 v2, 7, v16
	v_cmp_lt_u64_e32 vcc, s[36:37], v[8:9]
	v_cndmask_b32_e32 v2, v15, v2, vcc
	v_cndmask_b32_e64 v15, 0, 1, vcc
	v_lshrrev_b64 v[8:9], v15, v[8:9]
; %bb.15:                               ;   in Loop: Header=BB96_10 Depth=1
	s_andn2_saveexec_b64 s[0:1], s[0:1]
; %bb.16:                               ;   in Loop: Header=BB96_10 Depth=1
	v_bfe_u32 v2, v8, 23, 1
; %bb.17:                               ;   in Loop: Header=BB96_10 Depth=1
	s_or_b64 exec, exec, s[0:1]
	v_lshrrev_b64 v[8:9], 20, v[8:9]
	v_cmp_gt_i32_e32 vcc, 16, v2
	v_cndmask_b32_e32 v9, 0, v9, vcc
	v_cndmask_b32_e32 v8, 7, v8, vcc
	v_cmp_ne_u32_e32 vcc, 0, v2
	v_cmp_ne_u64_e64 s[0:1], 0, v[8:9]
	s_or_b64 s[0:1], vcc, s[0:1]
                                        ; implicit-def: $vgpr9
	s_and_saveexec_b64 s[60:61], s[0:1]
	s_xor_b64 s[0:1], exec, s[60:61]
; %bb.18:                               ;   in Loop: Header=BB96_10 Depth=1
	v_min_i32_e32 v2, 15, v2
	v_lshl_or_b32 v2, v2, 3, v14
	v_and_or_b32 v9, v8, 7, v2
                                        ; implicit-def: $vgpr14
; %bb.19:                               ;   in Loop: Header=BB96_10 Depth=1
	s_andn2_saveexec_b64 s[0:1], s[0:1]
; %bb.20:                               ;   in Loop: Header=BB96_10 Depth=1
	v_mov_b32_e32 v9, v14
; %bb.21:                               ;   in Loop: Header=BB96_10 Depth=1
	s_or_b64 exec, exec, s[0:1]
.LBB96_22:                              ;   in Loop: Header=BB96_10 Depth=1
	s_or_b64 exec, exec, s[44:45]
.LBB96_23:                              ;   in Loop: Header=BB96_10 Depth=1
	s_andn2_saveexec_b64 s[0:1], s[42:43]
	s_or_b64 exec, exec, s[0:1]
                                        ; implicit-def: $vgpr8
.LBB96_24:                              ;   in Loop: Header=BB96_10 Depth=1
	s_andn2_saveexec_b64 s[0:1], s[40:41]
; %bb.25:                               ;   in Loop: Header=BB96_10 Depth=1
	v_or_b32_sdwa v8, v8, s58 dst_sel:DWORD dst_unused:UNUSED_PAD src0_sel:BYTE_3 src1_sel:DWORD
	v_cmp_eq_u64_e32 vcc, 0, v[2:3]
	v_cndmask_b32_e32 v9, v8, v9, vcc
; %bb.26:                               ;   in Loop: Header=BB96_10 Depth=1
	s_or_b64 exec, exec, s[0:1]
	v_lshlrev_b32_e32 v8, 16, v13
	v_div_scale_f32 v13, s[0:1], s51, s51, v8
	v_rcp_f32_e32 v16, v13
	v_mov_b32_e32 v2, s50
	v_add_co_u32_e32 v14, vcc, s49, v0
	v_addc_co_u32_e32 v15, vcc, 0, v2, vcc
	v_fma_f32 v2, -v13, v16, 1.0
	v_fmac_f32_e32 v16, v2, v16
	v_div_scale_f32 v2, vcc, v8, s51, v8
	global_store_byte v[14:15], v9, off
	v_mul_f32_e32 v9, v2, v16
	v_fma_f32 v14, -v13, v9, v2
	v_fmac_f32_e32 v9, v14, v16
	v_fma_f32 v2, -v13, v9, v2
	v_div_fmas_f32 v2, v2, v16, v9
	v_div_fixup_f32 v8, v2, s51, v8
	v_and_b32_sdwa v13, v8, s29 dst_sel:DWORD dst_unused:UNUSED_PAD src0_sel:BYTE_3 src1_sel:DWORD
	v_and_b32_e32 v14, 0x7f800000, v8
	v_mov_b32_e32 v15, v3
	v_and_b32_e32 v2, 0x7fffff, v8
	v_or_b32_e32 v9, 0x7e, v13
	v_cmp_ne_u64_e32 vcc, s[16:17], v[14:15]
	s_and_saveexec_b64 s[0:1], vcc
	s_xor_b64 s[40:41], exec, s[0:1]
	s_cbranch_execz .LBB96_40
; %bb.27:                               ;   in Loop: Header=BB96_10 Depth=1
	v_and_b32_e32 v14, 0x7fffffff, v8
	v_mov_b32_e32 v15, v3
	v_cmp_gt_u64_e32 vcc, s[34:35], v[14:15]
	s_and_saveexec_b64 s[0:1], vcc
	s_xor_b64 s[42:43], exec, s[0:1]
	s_cbranch_execz .LBB96_39
; %bb.28:                               ;   in Loop: Header=BB96_10 Depth=1
	v_cmp_ne_u32_e32 vcc, 0, v8
	v_mov_b32_e32 v9, 0
	s_and_saveexec_b64 s[44:45], vcc
	s_cbranch_execz .LBB96_38
; %bb.29:                               ;   in Loop: Header=BB96_10 Depth=1
	v_bfe_u32 v8, v8, 23, 8
	v_sub_u32_e32 v14, 0x79, v8
	v_cmp_gt_u32_e32 vcc, s31, v8
	v_cndmask_b32_e32 v14, 0, v14, vcc
	v_cmp_eq_u32_e32 vcc, 0, v8
	v_cndmask_b32_e32 v14, v14, v12, vcc
	v_add_u32_e32 v9, 0xffffff81, v8
	v_or_b32_e32 v15, 0x800000, v2
	v_add_u32_e32 v8, 20, v14
	v_cndmask_b32_e32 v20, v9, v11, vcc
	v_cndmask_b32_e32 v2, v15, v2, vcc
	v_lshlrev_b64 v[8:9], v8, -1
	v_not_b32_e32 v8, v8
	v_lshrrev_b64 v[18:19], v14, v[2:3]
	v_not_b32_e32 v9, v9
	v_and_b32_e32 v8, v2, v8
	v_add_u32_e32 v15, 19, v14
	v_lshrrev_b32_e32 v2, 23, v18
	v_and_b32_e32 v9, 0, v9
	v_lshlrev_b64 v[16:17], v15, 1
	v_add3_u32 v15, v14, v20, v2
	v_bfe_u32 v2, v18, 20, 1
	v_add_u32_e32 v2, -1, v2
	v_cmp_eq_u64_e32 vcc, v[8:9], v[16:17]
	v_cndmask_b32_e32 v2, 0, v2, vcc
	v_add_u32_e32 v2, v2, v18
	v_and_b32_e32 v2, 0xfffff, v2
	v_add_co_u32_e32 v8, vcc, v2, v18
	v_add_u32_e32 v14, 6, v15
	v_addc_co_u32_e32 v9, vcc, 0, v19, vcc
	v_cmp_ne_u32_e32 vcc, 0, v14
                                        ; implicit-def: $vgpr2
	s_and_saveexec_b64 s[0:1], vcc
	s_xor_b64 s[0:1], exec, s[0:1]
; %bb.30:                               ;   in Loop: Header=BB96_10 Depth=1
	v_add_u32_e32 v2, 7, v15
	v_cmp_lt_u64_e32 vcc, s[36:37], v[8:9]
	v_cndmask_b32_e32 v2, v14, v2, vcc
	v_cndmask_b32_e64 v14, 0, 1, vcc
	v_lshrrev_b64 v[8:9], v14, v[8:9]
; %bb.31:                               ;   in Loop: Header=BB96_10 Depth=1
	s_andn2_saveexec_b64 s[0:1], s[0:1]
; %bb.32:                               ;   in Loop: Header=BB96_10 Depth=1
	v_bfe_u32 v2, v8, 23, 1
; %bb.33:                               ;   in Loop: Header=BB96_10 Depth=1
	s_or_b64 exec, exec, s[0:1]
	v_lshrrev_b64 v[8:9], 20, v[8:9]
	v_cmp_gt_i32_e32 vcc, 16, v2
	v_cndmask_b32_e32 v9, 0, v9, vcc
	v_cndmask_b32_e32 v8, 7, v8, vcc
	v_cmp_ne_u32_e32 vcc, 0, v2
	v_cmp_ne_u64_e64 s[0:1], 0, v[8:9]
	s_or_b64 s[0:1], vcc, s[0:1]
                                        ; implicit-def: $vgpr9
	s_and_saveexec_b64 s[60:61], s[0:1]
	s_xor_b64 s[0:1], exec, s[60:61]
; %bb.34:                               ;   in Loop: Header=BB96_10 Depth=1
	v_min_i32_e32 v2, 15, v2
	v_lshl_or_b32 v2, v2, 3, v13
	v_and_or_b32 v9, v8, 7, v2
                                        ; implicit-def: $vgpr13
; %bb.35:                               ;   in Loop: Header=BB96_10 Depth=1
	s_andn2_saveexec_b64 s[0:1], s[0:1]
; %bb.36:                               ;   in Loop: Header=BB96_10 Depth=1
	v_mov_b32_e32 v9, v13
; %bb.37:                               ;   in Loop: Header=BB96_10 Depth=1
	s_or_b64 exec, exec, s[0:1]
.LBB96_38:                              ;   in Loop: Header=BB96_10 Depth=1
	s_or_b64 exec, exec, s[44:45]
.LBB96_39:                              ;   in Loop: Header=BB96_10 Depth=1
	s_andn2_saveexec_b64 s[0:1], s[42:43]
	s_or_b64 exec, exec, s[0:1]
                                        ; implicit-def: $vgpr8
.LBB96_40:                              ;   in Loop: Header=BB96_10 Depth=1
	s_andn2_saveexec_b64 s[0:1], s[40:41]
	s_cbranch_execz .LBB96_9
; %bb.41:                               ;   in Loop: Header=BB96_10 Depth=1
	v_or_b32_sdwa v8, v8, s58 dst_sel:DWORD dst_unused:UNUSED_PAD src0_sel:BYTE_3 src1_sel:DWORD
	v_cmp_eq_u64_e32 vcc, 0, v[2:3]
	v_cndmask_b32_e32 v9, v8, v9, vcc
	s_branch .LBB96_9
.LBB96_42:
	s_or_b64 exec, exec, s[26:27]
	v_cmp_gt_i32_e32 vcc, s10, v0
	s_and_saveexec_b64 s[0:1], vcc
	s_cbranch_execz .LBB96_61
; %bb.43:
	s_mul_i32 s0, s6, s15
	s_mul_hi_u32 s1, s6, s14
	s_add_i32 s1, s1, s0
	s_mul_i32 s0, s6, s14
	s_lshl_b64 s[0:1], s[0:1], 1
	s_add_u32 s18, s18, s0
	s_addc_u32 s0, s19, s1
	s_ashr_i32 s1, s8, 31
	s_mul_i32 s1, s22, s1
	s_add_i32 s1, s46, s1
	s_add_i32 s1, s1, s47
	s_add_u32 s2, s2, s48
	s_addc_u32 s1, s3, s1
	s_ashr_i32 s3, s9, 31
	s_load_dword s4, s[4:5], 0x8c
	s_mul_i32 s7, s7, s3
	s_waitcnt lgkmcnt(0)
	s_load_dword s20, s[24:25], 0x0
	s_add_i32 s3, s33, s7
	s_add_i32 s3, s3, s11
	s_add_u32 s11, s2, s23
	s_addc_u32 s19, s1, s3
	s_and_b32 s21, s4, 0xffff
	s_mov_b64 s[2:3], 0
	v_mov_b32_e32 v6, s0
	v_mov_b32_e32 v3, 0
	s_movk_i32 s22, 0x80
	s_mov_b64 s[4:5], 0x7f800000
	s_mov_b64 s[6:7], 0x43e00001
	s_movk_i32 s23, 0x7a
	s_mov_b64 s[8:9], 0xffffff
	s_movk_i32 s24, 0x7f
	v_mov_b32_e32 v7, 0xffffff82
	v_mov_b32_e32 v8, 0x78
	s_branch .LBB96_45
.LBB96_44:                              ;   in Loop: Header=BB96_45 Depth=1
	s_or_b64 exec, exec, s[0:1]
	v_mov_b32_e32 v2, s19
	v_add_co_u32_e32 v10, vcc, s11, v0
	v_addc_co_u32_e32 v11, vcc, v2, v1, vcc
	v_add_u32_e32 v0, s21, v0
	v_cmp_le_i32_e32 vcc, s10, v0
	s_or_b64 s[2:3], vcc, s[2:3]
	global_store_byte v[10:11], v5, off
	s_andn2_b64 exec, exec, s[2:3]
	s_cbranch_execz .LBB96_61
.LBB96_45:                              ; =>This Inner Loop Header: Depth=1
	v_ashrrev_i32_e32 v1, 31, v0
	v_lshlrev_b64 v[4:5], 1, v[0:1]
	v_add_co_u32_e32 v4, vcc, s18, v4
	v_addc_co_u32_e32 v5, vcc, v6, v5, vcc
	global_load_ushort v2, v[4:5], off
	v_mov_b32_e32 v11, v3
	s_waitcnt vmcnt(0)
	v_lshlrev_b32_e32 v2, 16, v2
	s_waitcnt lgkmcnt(0)
	v_div_scale_f32 v4, s[0:1], s20, s20, v2
	v_rcp_f32_e32 v5, v4
	v_div_scale_f32 v9, vcc, v2, s20, v2
	v_fma_f32 v10, -v4, v5, 1.0
	v_fmac_f32_e32 v5, v10, v5
	v_mul_f32_e32 v10, v9, v5
	v_fma_f32 v12, -v4, v10, v9
	v_fmac_f32_e32 v10, v12, v5
	v_fma_f32 v4, -v4, v10, v9
	v_div_fmas_f32 v4, v4, v5, v10
	v_div_fixup_f32 v4, v4, s20, v2
	v_and_b32_sdwa v9, v4, s22 dst_sel:DWORD dst_unused:UNUSED_PAD src0_sel:BYTE_3 src1_sel:DWORD
	v_and_b32_e32 v10, 0x7f800000, v4
	v_and_b32_e32 v2, 0x7fffff, v4
	v_or_b32_e32 v5, 0x7e, v9
	v_cmp_ne_u64_e32 vcc, s[4:5], v[10:11]
	s_and_saveexec_b64 s[0:1], vcc
	s_xor_b64 s[12:13], exec, s[0:1]
	s_cbranch_execz .LBB96_59
; %bb.46:                               ;   in Loop: Header=BB96_45 Depth=1
	v_and_b32_e32 v10, 0x7fffffff, v4
	v_mov_b32_e32 v11, v3
	v_cmp_gt_u64_e32 vcc, s[6:7], v[10:11]
	s_and_saveexec_b64 s[0:1], vcc
	s_xor_b64 s[14:15], exec, s[0:1]
	s_cbranch_execz .LBB96_58
; %bb.47:                               ;   in Loop: Header=BB96_45 Depth=1
	v_cmp_ne_u32_e32 vcc, 0, v4
	v_mov_b32_e32 v5, 0
	s_and_saveexec_b64 s[16:17], vcc
	s_cbranch_execz .LBB96_57
; %bb.48:                               ;   in Loop: Header=BB96_45 Depth=1
	v_bfe_u32 v4, v4, 23, 8
	v_sub_u32_e32 v10, 0x79, v4
	v_cmp_gt_u32_e32 vcc, s23, v4
	v_cndmask_b32_e32 v10, 0, v10, vcc
	v_cmp_eq_u32_e32 vcc, 0, v4
	v_cndmask_b32_e32 v10, v10, v8, vcc
	v_add_u32_e32 v5, 0xffffff81, v4
	v_or_b32_e32 v11, 0x800000, v2
	v_add_u32_e32 v4, 20, v10
	v_cndmask_b32_e32 v16, v5, v7, vcc
	v_cndmask_b32_e32 v2, v11, v2, vcc
	v_lshlrev_b64 v[4:5], v4, -1
	v_not_b32_e32 v4, v4
	v_lshrrev_b64 v[14:15], v10, v[2:3]
	v_not_b32_e32 v5, v5
	v_and_b32_e32 v4, v2, v4
	v_add_u32_e32 v11, 19, v10
	v_lshrrev_b32_e32 v2, 23, v14
	v_and_b32_e32 v5, 0, v5
	v_lshlrev_b64 v[12:13], v11, 1
	v_add3_u32 v11, v10, v16, v2
	v_bfe_u32 v2, v14, 20, 1
	v_add_u32_e32 v2, -1, v2
	v_cmp_eq_u64_e32 vcc, v[4:5], v[12:13]
	v_cndmask_b32_e32 v2, 0, v2, vcc
	v_add_u32_e32 v2, v2, v14
	v_and_b32_e32 v2, 0xfffff, v2
	v_add_co_u32_e32 v4, vcc, v2, v14
	v_add_u32_e32 v10, 6, v11
	v_addc_co_u32_e32 v5, vcc, 0, v15, vcc
	v_cmp_ne_u32_e32 vcc, 0, v10
                                        ; implicit-def: $vgpr2
	s_and_saveexec_b64 s[0:1], vcc
	s_xor_b64 s[0:1], exec, s[0:1]
; %bb.49:                               ;   in Loop: Header=BB96_45 Depth=1
	v_add_u32_e32 v2, 7, v11
	v_cmp_lt_u64_e32 vcc, s[8:9], v[4:5]
	v_cndmask_b32_e32 v2, v10, v2, vcc
	v_cndmask_b32_e64 v10, 0, 1, vcc
	v_lshrrev_b64 v[4:5], v10, v[4:5]
; %bb.50:                               ;   in Loop: Header=BB96_45 Depth=1
	s_andn2_saveexec_b64 s[0:1], s[0:1]
; %bb.51:                               ;   in Loop: Header=BB96_45 Depth=1
	v_bfe_u32 v2, v4, 23, 1
; %bb.52:                               ;   in Loop: Header=BB96_45 Depth=1
	s_or_b64 exec, exec, s[0:1]
	v_lshrrev_b64 v[4:5], 20, v[4:5]
	v_cmp_gt_i32_e32 vcc, 16, v2
	v_cndmask_b32_e32 v5, 0, v5, vcc
	v_cndmask_b32_e32 v4, 7, v4, vcc
	v_cmp_ne_u32_e32 vcc, 0, v2
	v_cmp_ne_u64_e64 s[0:1], 0, v[4:5]
	s_or_b64 s[0:1], vcc, s[0:1]
                                        ; implicit-def: $vgpr5
	s_and_saveexec_b64 s[26:27], s[0:1]
	s_xor_b64 s[0:1], exec, s[26:27]
; %bb.53:                               ;   in Loop: Header=BB96_45 Depth=1
	v_min_i32_e32 v2, 15, v2
	v_lshl_or_b32 v2, v2, 3, v9
	v_and_or_b32 v5, v4, 7, v2
                                        ; implicit-def: $vgpr9
; %bb.54:                               ;   in Loop: Header=BB96_45 Depth=1
	s_andn2_saveexec_b64 s[0:1], s[0:1]
; %bb.55:                               ;   in Loop: Header=BB96_45 Depth=1
	v_mov_b32_e32 v5, v9
; %bb.56:                               ;   in Loop: Header=BB96_45 Depth=1
	s_or_b64 exec, exec, s[0:1]
.LBB96_57:                              ;   in Loop: Header=BB96_45 Depth=1
	s_or_b64 exec, exec, s[16:17]
.LBB96_58:                              ;   in Loop: Header=BB96_45 Depth=1
	s_andn2_saveexec_b64 s[0:1], s[14:15]
	s_or_b64 exec, exec, s[0:1]
                                        ; implicit-def: $vgpr4
.LBB96_59:                              ;   in Loop: Header=BB96_45 Depth=1
	s_andn2_saveexec_b64 s[0:1], s[12:13]
	s_cbranch_execz .LBB96_44
; %bb.60:                               ;   in Loop: Header=BB96_45 Depth=1
	v_or_b32_sdwa v4, v4, s24 dst_sel:DWORD dst_unused:UNUSED_PAD src0_sel:BYTE_3 src1_sel:DWORD
	v_cmp_eq_u64_e32 vcc, 0, v[2:3]
	v_cndmask_b32_e32 v5, v4, v5, vcc
	s_branch .LBB96_44
.LBB96_61:
	s_endpgm
.LBB96_62:
                                        ; implicit-def: $sgpr22_sgpr23
	s_branch .LBB96_6
	.section	.rodata,"a",@progbits
	.p2align	6, 0x0
	.amdhsa_kernel _ZN4vllm38concat_and_cache_mla_rope_fused_kernelIN3c104HalfEfLb1E14__hip_bfloat16hLNS_18Fp8KVCacheDataTypeE1EEEvPKlPT_S8_PKS7_PKT0_illlliPT3_S6_iiiiPKf
		.amdhsa_group_segment_fixed_size 0
		.amdhsa_private_segment_fixed_size 0
		.amdhsa_kernarg_size 384
		.amdhsa_user_sgpr_count 6
		.amdhsa_user_sgpr_private_segment_buffer 1
		.amdhsa_user_sgpr_dispatch_ptr 0
		.amdhsa_user_sgpr_queue_ptr 0
		.amdhsa_user_sgpr_kernarg_segment_ptr 1
		.amdhsa_user_sgpr_dispatch_id 0
		.amdhsa_user_sgpr_flat_scratch_init 0
		.amdhsa_user_sgpr_kernarg_preload_length 0
		.amdhsa_user_sgpr_kernarg_preload_offset 0
		.amdhsa_user_sgpr_private_segment_size 0
		.amdhsa_uses_dynamic_stack 0
		.amdhsa_system_sgpr_private_segment_wavefront_offset 0
		.amdhsa_system_sgpr_workgroup_id_x 1
		.amdhsa_system_sgpr_workgroup_id_y 0
		.amdhsa_system_sgpr_workgroup_id_z 0
		.amdhsa_system_sgpr_workgroup_info 0
		.amdhsa_system_vgpr_workitem_id 0
		.amdhsa_next_free_vgpr 22
		.amdhsa_next_free_sgpr 62
		.amdhsa_accum_offset 24
		.amdhsa_reserve_vcc 1
		.amdhsa_reserve_flat_scratch 0
		.amdhsa_float_round_mode_32 0
		.amdhsa_float_round_mode_16_64 0
		.amdhsa_float_denorm_mode_32 3
		.amdhsa_float_denorm_mode_16_64 3
		.amdhsa_dx10_clamp 1
		.amdhsa_ieee_mode 1
		.amdhsa_fp16_overflow 0
		.amdhsa_tg_split 0
		.amdhsa_exception_fp_ieee_invalid_op 0
		.amdhsa_exception_fp_denorm_src 0
		.amdhsa_exception_fp_ieee_div_zero 0
		.amdhsa_exception_fp_ieee_overflow 0
		.amdhsa_exception_fp_ieee_underflow 0
		.amdhsa_exception_fp_ieee_inexact 0
		.amdhsa_exception_int_div_zero 0
	.end_amdhsa_kernel
	.section	.text._ZN4vllm38concat_and_cache_mla_rope_fused_kernelIN3c104HalfEfLb1E14__hip_bfloat16hLNS_18Fp8KVCacheDataTypeE1EEEvPKlPT_S8_PKS7_PKT0_illlliPT3_S6_iiiiPKf,"axG",@progbits,_ZN4vllm38concat_and_cache_mla_rope_fused_kernelIN3c104HalfEfLb1E14__hip_bfloat16hLNS_18Fp8KVCacheDataTypeE1EEEvPKlPT_S8_PKS7_PKT0_illlliPT3_S6_iiiiPKf,comdat
.Lfunc_end96:
	.size	_ZN4vllm38concat_and_cache_mla_rope_fused_kernelIN3c104HalfEfLb1E14__hip_bfloat16hLNS_18Fp8KVCacheDataTypeE1EEEvPKlPT_S8_PKS7_PKT0_illlliPT3_S6_iiiiPKf, .Lfunc_end96-_ZN4vllm38concat_and_cache_mla_rope_fused_kernelIN3c104HalfEfLb1E14__hip_bfloat16hLNS_18Fp8KVCacheDataTypeE1EEEvPKlPT_S8_PKS7_PKT0_illlliPT3_S6_iiiiPKf
                                        ; -- End function
	.section	.AMDGPU.csdata,"",@progbits
; Kernel info:
; codeLenInByte = 3704
; NumSgprs: 66
; NumVgprs: 22
; NumAgprs: 0
; TotalNumVgprs: 22
; ScratchSize: 0
; MemoryBound: 0
; FloatMode: 240
; IeeeMode: 1
; LDSByteSize: 0 bytes/workgroup (compile time only)
; SGPRBlocks: 8
; VGPRBlocks: 2
; NumSGPRsForWavesPerEU: 66
; NumVGPRsForWavesPerEU: 22
; AccumOffset: 24
; Occupancy: 8
; WaveLimiterHint : 1
; COMPUTE_PGM_RSRC2:SCRATCH_EN: 0
; COMPUTE_PGM_RSRC2:USER_SGPR: 6
; COMPUTE_PGM_RSRC2:TRAP_HANDLER: 0
; COMPUTE_PGM_RSRC2:TGID_X_EN: 1
; COMPUTE_PGM_RSRC2:TGID_Y_EN: 0
; COMPUTE_PGM_RSRC2:TGID_Z_EN: 0
; COMPUTE_PGM_RSRC2:TIDIG_COMP_CNT: 0
; COMPUTE_PGM_RSRC3_GFX90A:ACCUM_OFFSET: 5
; COMPUTE_PGM_RSRC3_GFX90A:TG_SPLIT: 0
	.section	.text._ZN4vllm38concat_and_cache_mla_rope_fused_kernelIN3c104HalfEfLb0E14__hip_bfloat16hLNS_18Fp8KVCacheDataTypeE1EEEvPKlPT_S8_PKS7_PKT0_illlliPT3_S6_iiiiPKf,"axG",@progbits,_ZN4vllm38concat_and_cache_mla_rope_fused_kernelIN3c104HalfEfLb0E14__hip_bfloat16hLNS_18Fp8KVCacheDataTypeE1EEEvPKlPT_S8_PKS7_PKT0_illlliPT3_S6_iiiiPKf,comdat
	.protected	_ZN4vllm38concat_and_cache_mla_rope_fused_kernelIN3c104HalfEfLb0E14__hip_bfloat16hLNS_18Fp8KVCacheDataTypeE1EEEvPKlPT_S8_PKS7_PKT0_illlliPT3_S6_iiiiPKf ; -- Begin function _ZN4vllm38concat_and_cache_mla_rope_fused_kernelIN3c104HalfEfLb0E14__hip_bfloat16hLNS_18Fp8KVCacheDataTypeE1EEEvPKlPT_S8_PKS7_PKT0_illlliPT3_S6_iiiiPKf
	.globl	_ZN4vllm38concat_and_cache_mla_rope_fused_kernelIN3c104HalfEfLb0E14__hip_bfloat16hLNS_18Fp8KVCacheDataTypeE1EEEvPKlPT_S8_PKS7_PKT0_illlliPT3_S6_iiiiPKf
	.p2align	8
	.type	_ZN4vllm38concat_and_cache_mla_rope_fused_kernelIN3c104HalfEfLb0E14__hip_bfloat16hLNS_18Fp8KVCacheDataTypeE1EEEvPKlPT_S8_PKS7_PKT0_illlliPT3_S6_iiiiPKf,@function
_ZN4vllm38concat_and_cache_mla_rope_fused_kernelIN3c104HalfEfLb0E14__hip_bfloat16hLNS_18Fp8KVCacheDataTypeE1EEEvPKlPT_S8_PKS7_PKT0_illlliPT3_S6_iiiiPKf: ; @_ZN4vllm38concat_and_cache_mla_rope_fused_kernelIN3c104HalfEfLb0E14__hip_bfloat16hLNS_18Fp8KVCacheDataTypeE1EEEvPKlPT_S8_PKS7_PKT0_illlliPT3_S6_iiiiPKf
; %bb.0:
	s_load_dwordx2 s[2:3], s[4:5], 0x60
	s_mov_b32 s7, 0
	s_lshl_b64 s[0:1], s[6:7], 3
	s_waitcnt lgkmcnt(0)
	s_add_u32 s2, s2, s0
	s_addc_u32 s3, s3, s1
	s_load_dwordx2 s[26:27], s[2:3], 0x0
	s_waitcnt lgkmcnt(0)
	v_cmp_lt_i64_e64 s[2:3], s[26:27], 0
	s_and_b64 vcc, exec, s[2:3]
	s_cbranch_vccnz .LBB97_61
; %bb.1:
	s_load_dword s7, s[4:5], 0x28
	s_load_dwordx2 s[2:3], s[4:5], 0x0
	s_load_dwordx4 s[16:19], s[4:5], 0x10
	v_lshlrev_b32_e32 v3, 1, v0
	s_waitcnt lgkmcnt(0)
	s_ashr_i32 s22, s7, 31
	s_add_u32 s0, s2, s0
	s_addc_u32 s1, s3, s1
	s_load_dwordx2 s[20:21], s[0:1], 0x0
	s_load_dwordx2 s[28:29], s[4:5], 0x20
	s_load_dwordx8 s[8:15], s[4:5], 0x30
	s_load_dwordx2 s[2:3], s[4:5], 0x58
	s_load_dword s23, s[4:5], 0x50
	s_waitcnt lgkmcnt(0)
	s_mul_i32 s0, s20, s22
	s_mul_hi_u32 s1, s20, s7
	s_mul_i32 s21, s21, s7
	s_add_i32 s0, s1, s0
	s_add_i32 s31, s0, s21
	s_lshr_b32 s0, s7, 31
	s_mul_i32 s30, s20, s7
	s_add_i32 s7, s7, s0
	s_ashr_i32 s20, s7, 1
	s_mul_i32 s7, s20, s23
	v_cmp_gt_i32_e32 vcc, s7, v0
	s_and_saveexec_b64 s[0:1], vcc
	s_cbranch_execz .LBB97_4
; %bb.2:
	s_lshl_b64 s[22:23], s[30:31], 2
	s_add_u32 s24, s28, s22
	s_addc_u32 s38, s29, s23
	s_load_dwordx2 s[22:23], s[4:5], 0x8
	s_load_dword s34, s[4:5], 0x8c
	s_mul_i32 s9, s6, s9
	s_mul_hi_u32 s25, s6, s8
	s_add_i32 s9, s25, s9
	s_mul_i32 s8, s6, s8
	s_ashr_i32 s21, s20, 31
	s_lshl_b64 s[8:9], s[8:9], 1
	s_waitcnt lgkmcnt(0)
	s_add_u32 s25, s22, s8
	s_addc_u32 s39, s23, s9
	s_abs_i32 s33, s20
	v_cvt_f32_u32_e32 v1, s33
	s_sub_i32 s8, 0, s33
	s_and_b32 s34, s34, 0xffff
	s_lshl_b64 s[22:23], s[20:21], 2
	v_rcp_iflag_f32_e32 v1, v1
	s_sub_i32 s35, 0, s20
	s_lshl_b32 s37, s34, 1
	v_mov_b32_e32 v5, s38
	v_mul_f32_e32 v1, 0x4f7ffffe, v1
	v_cvt_u32_f32_e32 v1, v1
	v_mov_b32_e32 v6, s23
	v_mov_b32_e32 v7, s39
	;; [unrolled: 1-line block ×3, first 2 shown]
	v_mul_lo_u32 v2, s8, v1
	v_mul_hi_u32 v2, v1, v2
	s_lshl_b32 s8, s20, 1
	v_add_u32_e32 v1, v1, v2
	s_sub_i32 s36, 0, s8
	s_mov_b64 s[8:9], 0
	v_mov_b32_e32 v2, v3
.LBB97_3:                               ; =>This Inner Loop Header: Depth=1
	v_sub_u32_e32 v9, 0, v4
	v_max_i32_e32 v9, v4, v9
	v_mul_hi_u32 v10, v9, v1
	v_mul_lo_u32 v11, v10, s33
	v_sub_u32_e32 v9, v9, v11
	v_add_u32_e32 v12, 1, v10
	v_cmp_le_u32_e32 vcc, s33, v9
	v_subrev_u32_e32 v11, s33, v9
	v_cndmask_b32_e32 v10, v10, v12, vcc
	v_cndmask_b32_e32 v9, v9, v11, vcc
	v_ashrrev_i32_e32 v8, 31, v4
	v_add_u32_e32 v11, 1, v10
	v_cmp_le_u32_e32 vcc, s33, v9
	v_xor_b32_e32 v8, s21, v8
	v_cndmask_b32_e32 v9, v10, v11, vcc
	v_xor_b32_e32 v9, v9, v8
	v_sub_u32_e32 v12, v9, v8
	v_mad_u64_u32 v[8:9], s[38:39], s35, v12, v[4:5]
	v_ashrrev_i32_e32 v9, 31, v8
	v_lshlrev_b64 v[8:9], 2, v[8:9]
	v_ashrrev_i32_e32 v14, 31, v12
	v_add_co_u32_e32 v8, vcc, s24, v8
	v_mul_lo_u32 v15, v12, s11
	v_mad_u64_u32 v[10:11], s[38:39], v12, s10, 0
	v_mul_lo_u32 v14, v14, s10
	v_addc_co_u32_e32 v9, vcc, v5, v9, vcc
	v_add3_u32 v11, v11, v15, v14
	v_add_co_u32_e32 v14, vcc, s22, v8
	v_mad_u64_u32 v[12:13], s[38:39], s36, v12, v[2:3]
	v_lshlrev_b64 v[10:11], 1, v[10:11]
	v_addc_co_u32_e32 v15, vcc, v9, v6, vcc
	v_ashrrev_i32_e32 v13, 31, v12
	v_add_co_u32_e32 v10, vcc, s25, v10
	global_load_dword v16, v[8:9], off
	global_load_dword v17, v[14:15], off
	v_lshlrev_b64 v[12:13], 1, v[12:13]
	v_addc_co_u32_e32 v11, vcc, v7, v11, vcc
	v_add_co_u32_e32 v8, vcc, v10, v12
	v_addc_co_u32_e32 v9, vcc, v11, v13, vcc
	global_load_dword v10, v[8:9], off
	v_add_u32_e32 v4, s34, v4
	v_cmp_le_i32_e32 vcc, s7, v4
	v_add_u32_e32 v2, s37, v2
	s_or_b64 s[8:9], vcc, s[8:9]
	s_waitcnt vmcnt(2)
	v_cvt_f16_f32_e32 v11, v16
	s_waitcnt vmcnt(1)
	v_cvt_f16_f32_e32 v12, v17
	s_waitcnt vmcnt(0)
	v_mul_f16_sdwa v13, v10, v11 dst_sel:DWORD dst_unused:UNUSED_PAD src0_sel:WORD_1 src1_sel:DWORD
	v_mul_f16_sdwa v14, v10, v12 dst_sel:DWORD dst_unused:UNUSED_PAD src0_sel:WORD_1 src1_sel:DWORD
	v_fma_f16 v12, v10, v12, v13
	v_fma_f16 v10, v10, v11, -v14
	v_pack_b32_f16 v10, v10, v12
	global_store_dword v[8:9], v10, off
	s_andn2_b64 exec, exec, s[8:9]
	s_cbranch_execnz .LBB97_3
.LBB97_4:
	s_or_b64 exec, exec, s[0:1]
	s_load_dwordx4 s[8:11], s[4:5], 0x68
	s_waitcnt lgkmcnt(0)
	s_ashr_i32 s35, s11, 31
	s_mov_b32 s34, s11
	s_or_b64 s[0:1], s[26:27], s[34:35]
	s_mov_b32 s0, 0
	s_cmp_lg_u64 s[0:1], 0
	s_cbranch_scc0 .LBB97_62
; %bb.5:
	s_add_u32 s0, s34, s35
	s_mov_b32 s22, s35
	s_mov_b32 s23, s35
	s_addc_u32 s1, s35, s35
	s_xor_b64 s[36:37], s[0:1], s[22:23]
	v_cvt_f32_u32_e32 v1, s36
	v_cvt_f32_u32_e32 v2, s37
	s_sub_u32 s0, 0, s36
	s_subb_u32 s1, 0, s37
	v_madmk_f32 v1, v2, 0x4f800000, v1
	v_rcp_f32_e32 v1, v1
	v_mul_f32_e32 v1, 0x5f7ffffc, v1
	v_mul_f32_e32 v2, 0x2f800000, v1
	v_trunc_f32_e32 v2, v2
	v_madmk_f32 v1, v2, 0xcf800000, v1
	v_cvt_u32_f32_e32 v2, v2
	v_cvt_u32_f32_e32 v1, v1
	v_readfirstlane_b32 s7, v2
	v_readfirstlane_b32 s11, v1
	s_mul_i32 s21, s0, s7
	s_mul_hi_u32 s38, s0, s11
	s_mul_i32 s33, s1, s11
	s_add_i32 s21, s38, s21
	s_add_i32 s21, s21, s33
	s_mul_i32 s39, s0, s11
	s_mul_hi_u32 s33, s11, s21
	s_mul_i32 s38, s11, s21
	s_mul_hi_u32 s11, s11, s39
	s_add_u32 s11, s11, s38
	s_addc_u32 s33, 0, s33
	s_mul_hi_u32 s40, s7, s39
	s_mul_i32 s39, s7, s39
	s_add_u32 s11, s11, s39
	s_mul_hi_u32 s38, s7, s21
	s_addc_u32 s11, s33, s40
	s_addc_u32 s33, s38, 0
	s_mul_i32 s21, s7, s21
	s_add_u32 s11, s11, s21
	s_addc_u32 s21, 0, s33
	v_add_co_u32_e32 v1, vcc, s11, v1
	s_cmp_lg_u64 vcc, 0
	s_addc_u32 s7, s7, s21
	v_readfirstlane_b32 s21, v1
	s_mul_i32 s11, s0, s7
	s_mul_hi_u32 s33, s0, s21
	s_add_i32 s11, s33, s11
	s_mul_i32 s1, s1, s21
	s_add_i32 s11, s11, s1
	s_mul_i32 s0, s0, s21
	s_mul_hi_u32 s33, s7, s0
	s_mul_i32 s38, s7, s0
	s_mul_i32 s40, s21, s11
	s_mul_hi_u32 s0, s21, s0
	s_mul_hi_u32 s39, s21, s11
	s_add_u32 s0, s0, s40
	s_addc_u32 s21, 0, s39
	s_add_u32 s0, s0, s38
	s_mul_hi_u32 s1, s7, s11
	s_addc_u32 s0, s21, s33
	s_addc_u32 s1, s1, 0
	s_mul_i32 s11, s7, s11
	s_add_u32 s0, s0, s11
	s_addc_u32 s1, 0, s1
	v_add_co_u32_e32 v1, vcc, s0, v1
	s_cmp_lg_u64 vcc, 0
	s_addc_u32 s7, s7, s1
	s_ashr_i32 s38, s27, 31
	s_add_u32 s0, s26, s38
	s_mov_b32 s39, s38
	s_addc_u32 s1, s27, s38
	s_xor_b64 s[40:41], s[0:1], s[38:39]
	v_readfirstlane_b32 s11, v1
	s_mul_i32 s1, s40, s7
	s_mul_hi_u32 s21, s40, s11
	s_mul_hi_u32 s0, s40, s7
	s_add_u32 s1, s21, s1
	s_addc_u32 s0, 0, s0
	s_mul_hi_u32 s33, s41, s11
	s_mul_i32 s11, s41, s11
	s_add_u32 s1, s1, s11
	s_mul_hi_u32 s21, s41, s7
	s_addc_u32 s0, s0, s33
	s_addc_u32 s1, s21, 0
	s_mul_i32 s7, s41, s7
	s_add_u32 s7, s0, s7
	s_addc_u32 s11, 0, s1
	s_mul_i32 s0, s36, s11
	s_mul_hi_u32 s1, s36, s7
	s_add_i32 s0, s1, s0
	s_mul_i32 s1, s37, s7
	s_add_i32 s21, s0, s1
	s_mul_i32 s1, s36, s7
	v_mov_b32_e32 v1, s1
	s_sub_i32 s0, s41, s21
	v_sub_co_u32_e32 v1, vcc, s40, v1
	s_cmp_lg_u64 vcc, 0
	s_subb_u32 s33, s0, s37
	v_subrev_co_u32_e64 v2, s[0:1], s36, v1
	s_cmp_lg_u64 s[0:1], 0
	s_subb_u32 s0, s33, 0
	s_cmp_ge_u32 s0, s37
	v_readfirstlane_b32 s33, v2
	s_cselect_b32 s1, -1, 0
	s_cmp_ge_u32 s33, s36
	s_cselect_b32 s33, -1, 0
	s_cmp_eq_u32 s0, s37
	s_cselect_b32 s0, s33, s1
	s_add_u32 s1, s7, 1
	s_addc_u32 s33, s11, 0
	s_add_u32 s40, s7, 2
	s_addc_u32 s42, s11, 0
	s_cmp_lg_u32 s0, 0
	s_cselect_b32 s0, s40, s1
	s_cselect_b32 s1, s42, s33
	s_cmp_lg_u64 vcc, 0
	s_subb_u32 s21, s41, s21
	s_cmp_ge_u32 s21, s37
	v_readfirstlane_b32 s40, v1
	s_cselect_b32 s33, -1, 0
	s_cmp_ge_u32 s40, s36
	s_cselect_b32 s36, -1, 0
	s_cmp_eq_u32 s21, s37
	s_cselect_b32 s21, s36, s33
	s_cmp_lg_u32 s21, 0
	s_cselect_b32 s1, s1, s11
	s_cselect_b32 s0, s0, s7
	s_xor_b64 s[22:23], s[38:39], s[22:23]
	s_xor_b64 s[0:1], s[0:1], s[22:23]
	s_sub_u32 s22, s0, s22
	s_subb_u32 s23, s1, s23
	s_cbranch_execnz .LBB97_7
.LBB97_6:
	v_cvt_f32_u32_e32 v1, s34
	s_sub_i32 s0, 0, s34
	s_mov_b32 s23, 0
	v_rcp_iflag_f32_e32 v1, v1
	v_mul_f32_e32 v1, 0x4f7ffffe, v1
	v_cvt_u32_f32_e32 v1, v1
	v_readfirstlane_b32 s1, v1
	s_mul_i32 s0, s0, s1
	s_mul_hi_u32 s0, s1, s0
	s_add_i32 s1, s1, s0
	s_mul_hi_u32 s0, s26, s1
	s_mul_i32 s7, s0, s34
	s_sub_i32 s7, s26, s7
	s_add_i32 s1, s0, 1
	s_sub_i32 s11, s7, s34
	s_cmp_ge_u32 s7, s34
	s_cselect_b32 s0, s1, s0
	s_cselect_b32 s7, s11, s7
	s_add_i32 s1, s0, 1
	s_cmp_ge_u32 s7, s34
	s_cselect_b32 s22, s1, s0
.LBB97_7:
	s_mul_i32 s0, s22, s35
	s_mul_hi_u32 s1, s22, s34
	s_load_dwordx2 s[24:25], s[4:5], 0x78
	s_add_i32 s0, s1, s0
	s_mul_i32 s1, s23, s34
	s_add_i32 s0, s0, s1
	s_mul_i32 s1, s22, s34
	s_sub_u32 s7, s26, s1
	s_subb_u32 s11, s27, s0
	v_cmp_gt_i32_e32 vcc, s20, v0
	s_mul_hi_u32 s42, s22, s8
	s_mul_i32 s43, s23, s8
	s_mul_i32 s44, s22, s8
	s_mul_hi_u32 s33, s7, s9
	s_mul_i32 s11, s11, s9
	s_mul_i32 s23, s7, s9
	s_and_saveexec_b64 s[26:27], vcc
	s_cbranch_execz .LBB97_42
; %bb.8:
	s_ashr_i32 s0, s8, 31
	s_mul_i32 s0, s22, s0
	s_load_dword s1, s[4:5], 0x8c
	s_add_i32 s0, s42, s0
	s_add_i32 s34, s0, s43
	s_ashr_i32 s0, s9, 31
	s_mul_i32 s0, s7, s0
	s_add_i32 s0, s33, s0
	s_ashr_i32 s21, s20, 31
	s_add_i32 s35, s0, s11
	s_ashr_i32 s36, s10, 31
	s_waitcnt lgkmcnt(0)
	s_and_b32 s46, s1, 0xffff
	s_lshl_b64 s[0:1], s[30:31], 2
	s_add_u32 s0, s28, s0
	v_lshlrev_b32_e32 v4, 2, v0
	s_addc_u32 s1, s29, s1
	v_mov_b32_e32 v2, s1
	v_add_co_u32_e32 v1, vcc, s0, v4
	v_addc_co_u32_e32 v8, vcc, 0, v2, vcc
	s_lshl_b32 s48, s46, 2
	s_lshl_b64 s[0:1], s[20:21], 2
	v_add_co_u32_e32 v9, vcc, s0, v1
	s_add_u32 s0, s44, s23
	v_mov_b32_e32 v2, s1
	s_addc_u32 s1, s34, s35
	s_add_u32 s21, s2, s10
	s_addc_u32 s28, s3, s36
	s_add_u32 s0, s21, s0
	v_addc_co_u32_e32 v10, vcc, v8, v2, vcc
	s_addc_u32 s1, s28, s1
	v_mov_b32_e32 v2, s1
	v_add_co_u32_e32 v3, vcc, s0, v3
	s_mul_i32 s0, s13, s6
	s_mul_hi_u32 s1, s12, s6
	s_add_i32 s1, s1, s0
	s_mul_i32 s0, s12, s6
	s_load_dword s45, s[24:25], 0x0
	v_addc_co_u32_e32 v5, vcc, 0, v2, vcc
	s_lshl_b32 s21, s46, 1
	s_lshl_b64 s[0:1], s[0:1], 1
	v_add_co_u32_e32 v2, vcc, 1, v3
	s_add_u32 s0, s16, s0
	v_addc_co_u32_e32 v3, vcc, 0, v5, vcc
	s_addc_u32 s1, s17, s1
	v_mov_b32_e32 v5, s1
	v_add_co_u32_e32 v11, vcc, s0, v4
	s_mov_b32 s47, 0
	v_addc_co_u32_e32 v12, vcc, 0, v5, vcc
	s_mov_b64 s[12:13], 0
	v_mov_b32_e32 v5, 0
	s_movk_i32 s49, 0x80
	s_mov_b64 s[16:17], 0x7f800000
	s_mov_b64 s[28:29], 0x43e00001
	s_movk_i32 s50, 0x7a
	s_mov_b64 s[30:31], 0xffffff
	s_movk_i32 s51, 0x7f
	v_mov_b32_e32 v13, 0xffffff82
	v_mov_b32_e32 v14, 0x78
	s_mov_b64 s[34:35], 0
	v_mov_b32_e32 v15, v0
	s_branch .LBB97_10
.LBB97_9:                               ;   in Loop: Header=BB97_10 Depth=1
	s_or_b64 exec, exec, s[0:1]
	v_add_u32_e32 v15, s46, v15
	s_add_u32 s34, s34, s48
	s_addc_u32 s35, s35, 0
	v_cmp_le_i32_e32 vcc, s20, v15
	global_store_byte v[2:3], v7, off
	v_mov_b32_e32 v4, s47
	s_or_b64 s[12:13], vcc, s[12:13]
	v_add_co_u32_e32 v2, vcc, s21, v2
	v_addc_co_u32_e32 v3, vcc, v3, v4, vcc
	s_andn2_b64 exec, exec, s[12:13]
	s_cbranch_execz .LBB97_42
.LBB97_10:                              ; =>This Inner Loop Header: Depth=1
	v_mov_b32_e32 v4, s35
	v_add_co_u32_e32 v6, vcc, s34, v1
	v_addc_co_u32_e32 v7, vcc, v8, v4, vcc
	v_add_co_u32_e32 v16, vcc, s34, v9
	v_addc_co_u32_e32 v17, vcc, v10, v4, vcc
	global_load_dword v18, v[6:7], off
	global_load_dword v19, v[16:17], off
	v_add_co_u32_e32 v6, vcc, s34, v11
	v_addc_co_u32_e32 v7, vcc, v12, v4, vcc
	global_load_dword v4, v[6:7], off
	s_waitcnt vmcnt(2)
	v_cvt_f16_f32_e32 v17, v18
	s_waitcnt vmcnt(1)
	v_cvt_f16_f32_e32 v16, v19
	v_mov_b32_e32 v19, v5
	s_waitcnt vmcnt(0)
	v_mul_f16_sdwa v18, v4, v16 dst_sel:DWORD dst_unused:UNUSED_PAD src0_sel:WORD_1 src1_sel:DWORD
	v_mul_f16_sdwa v20, v4, v17 dst_sel:DWORD dst_unused:UNUSED_PAD src0_sel:WORD_1 src1_sel:DWORD
	v_fma_f16 v17, v4, v17, -v18
	v_fma_f16 v16, v4, v16, v20
	v_pack_b32_f16 v4, v17, v16
	v_lshlrev_b32_e32 v17, 16, v17
	s_waitcnt lgkmcnt(0)
	v_div_scale_f32 v18, s[0:1], s45, s45, v17
	v_rcp_f32_e32 v20, v18
	global_store_dword v[6:7], v4, off
	v_div_scale_f32 v4, vcc, v17, s45, v17
	v_fma_f32 v6, -v18, v20, 1.0
	v_fmac_f32_e32 v20, v6, v20
	v_mul_f32_e32 v6, v4, v20
	v_fma_f32 v7, -v18, v6, v4
	v_fmac_f32_e32 v6, v7, v20
	v_fma_f32 v4, -v18, v6, v4
	v_div_fmas_f32 v4, v4, v20, v6
	v_div_fixup_f32 v6, v4, s45, v17
	v_and_b32_sdwa v17, v6, s49 dst_sel:DWORD dst_unused:UNUSED_PAD src0_sel:BYTE_3 src1_sel:DWORD
	v_and_b32_e32 v18, 0x7f800000, v6
	v_and_b32_e32 v4, 0x7fffff, v6
	v_or_b32_e32 v7, 0x7e, v17
	v_cmp_ne_u64_e32 vcc, s[16:17], v[18:19]
	s_and_saveexec_b64 s[0:1], vcc
	s_xor_b64 s[36:37], exec, s[0:1]
	s_cbranch_execz .LBB97_24
; %bb.11:                               ;   in Loop: Header=BB97_10 Depth=1
	v_and_b32_e32 v18, 0x7fffffff, v6
	v_mov_b32_e32 v19, v5
	v_cmp_gt_u64_e32 vcc, s[28:29], v[18:19]
	s_and_saveexec_b64 s[0:1], vcc
	s_xor_b64 s[38:39], exec, s[0:1]
	s_cbranch_execz .LBB97_23
; %bb.12:                               ;   in Loop: Header=BB97_10 Depth=1
	v_cmp_ne_u32_e32 vcc, 0, v6
	v_mov_b32_e32 v7, 0
	s_and_saveexec_b64 s[40:41], vcc
	s_cbranch_execz .LBB97_22
; %bb.13:                               ;   in Loop: Header=BB97_10 Depth=1
	v_bfe_u32 v6, v6, 23, 8
	v_sub_u32_e32 v18, 0x79, v6
	v_cmp_gt_u32_e32 vcc, s50, v6
	v_cndmask_b32_e32 v18, 0, v18, vcc
	v_cmp_eq_u32_e32 vcc, 0, v6
	v_cndmask_b32_e32 v18, v18, v14, vcc
	v_add_u32_e32 v7, 0xffffff81, v6
	v_or_b32_e32 v19, 0x800000, v4
	v_add_u32_e32 v6, 20, v18
	v_cndmask_b32_e32 v24, v7, v13, vcc
	v_cndmask_b32_e32 v4, v19, v4, vcc
	v_lshlrev_b64 v[6:7], v6, -1
	v_not_b32_e32 v6, v6
	v_lshrrev_b64 v[22:23], v18, v[4:5]
	v_not_b32_e32 v7, v7
	v_and_b32_e32 v6, v4, v6
	v_add_u32_e32 v19, 19, v18
	v_lshrrev_b32_e32 v4, 23, v22
	v_and_b32_e32 v7, 0, v7
	v_lshlrev_b64 v[20:21], v19, 1
	v_add3_u32 v19, v18, v24, v4
	v_bfe_u32 v4, v22, 20, 1
	v_add_u32_e32 v4, -1, v4
	v_cmp_eq_u64_e32 vcc, v[6:7], v[20:21]
	v_cndmask_b32_e32 v4, 0, v4, vcc
	v_add_u32_e32 v4, v4, v22
	v_and_b32_e32 v4, 0xfffff, v4
	v_add_co_u32_e32 v6, vcc, v4, v22
	v_add_u32_e32 v18, 6, v19
	v_addc_co_u32_e32 v7, vcc, 0, v23, vcc
	v_cmp_ne_u32_e32 vcc, 0, v18
                                        ; implicit-def: $vgpr4
	s_and_saveexec_b64 s[0:1], vcc
	s_xor_b64 s[0:1], exec, s[0:1]
; %bb.14:                               ;   in Loop: Header=BB97_10 Depth=1
	v_add_u32_e32 v4, 7, v19
	v_cmp_lt_u64_e32 vcc, s[30:31], v[6:7]
	v_cndmask_b32_e32 v4, v18, v4, vcc
	v_cndmask_b32_e64 v18, 0, 1, vcc
	v_lshrrev_b64 v[6:7], v18, v[6:7]
; %bb.15:                               ;   in Loop: Header=BB97_10 Depth=1
	s_andn2_saveexec_b64 s[0:1], s[0:1]
; %bb.16:                               ;   in Loop: Header=BB97_10 Depth=1
	v_bfe_u32 v4, v6, 23, 1
; %bb.17:                               ;   in Loop: Header=BB97_10 Depth=1
	s_or_b64 exec, exec, s[0:1]
	v_lshrrev_b64 v[6:7], 20, v[6:7]
	v_cmp_gt_i32_e32 vcc, 16, v4
	v_cndmask_b32_e32 v7, 0, v7, vcc
	v_cndmask_b32_e32 v6, 7, v6, vcc
	v_cmp_ne_u32_e32 vcc, 0, v4
	v_cmp_ne_u64_e64 s[0:1], 0, v[6:7]
	s_or_b64 s[0:1], vcc, s[0:1]
                                        ; implicit-def: $vgpr7
	s_and_saveexec_b64 s[52:53], s[0:1]
	s_xor_b64 s[0:1], exec, s[52:53]
; %bb.18:                               ;   in Loop: Header=BB97_10 Depth=1
	v_min_i32_e32 v4, 15, v4
	v_lshl_or_b32 v4, v4, 3, v17
	v_and_or_b32 v7, v6, 7, v4
                                        ; implicit-def: $vgpr17
; %bb.19:                               ;   in Loop: Header=BB97_10 Depth=1
	s_andn2_saveexec_b64 s[0:1], s[0:1]
; %bb.20:                               ;   in Loop: Header=BB97_10 Depth=1
	v_mov_b32_e32 v7, v17
; %bb.21:                               ;   in Loop: Header=BB97_10 Depth=1
	s_or_b64 exec, exec, s[0:1]
.LBB97_22:                              ;   in Loop: Header=BB97_10 Depth=1
	s_or_b64 exec, exec, s[40:41]
.LBB97_23:                              ;   in Loop: Header=BB97_10 Depth=1
	s_andn2_saveexec_b64 s[0:1], s[38:39]
	s_or_b64 exec, exec, s[0:1]
                                        ; implicit-def: $vgpr6
.LBB97_24:                              ;   in Loop: Header=BB97_10 Depth=1
	s_andn2_saveexec_b64 s[0:1], s[36:37]
; %bb.25:                               ;   in Loop: Header=BB97_10 Depth=1
	v_or_b32_sdwa v6, v6, s51 dst_sel:DWORD dst_unused:UNUSED_PAD src0_sel:BYTE_3 src1_sel:DWORD
	v_cmp_eq_u64_e32 vcc, 0, v[4:5]
	v_cndmask_b32_e32 v7, v6, v7, vcc
; %bb.26:                               ;   in Loop: Header=BB97_10 Depth=1
	s_or_b64 exec, exec, s[0:1]
	v_lshlrev_b32_e32 v4, 16, v16
	v_div_scale_f32 v6, s[0:1], s45, s45, v4
	v_rcp_f32_e32 v16, v6
	global_store_byte v[2:3], v7, off offset:-1
	v_mov_b32_e32 v19, v5
	v_fma_f32 v7, -v6, v16, 1.0
	v_fmac_f32_e32 v16, v7, v16
	v_div_scale_f32 v7, vcc, v4, s45, v4
	v_mul_f32_e32 v17, v7, v16
	v_fma_f32 v18, -v6, v17, v7
	v_fmac_f32_e32 v17, v18, v16
	v_fma_f32 v6, -v6, v17, v7
	v_div_fmas_f32 v6, v6, v16, v17
	v_div_fixup_f32 v6, v6, s45, v4
	v_and_b32_sdwa v16, v6, s49 dst_sel:DWORD dst_unused:UNUSED_PAD src0_sel:BYTE_3 src1_sel:DWORD
	v_and_b32_e32 v18, 0x7f800000, v6
	v_and_b32_e32 v4, 0x7fffff, v6
	v_or_b32_e32 v7, 0x7e, v16
	v_cmp_ne_u64_e32 vcc, s[16:17], v[18:19]
	s_and_saveexec_b64 s[0:1], vcc
	s_xor_b64 s[36:37], exec, s[0:1]
	s_cbranch_execz .LBB97_40
; %bb.27:                               ;   in Loop: Header=BB97_10 Depth=1
	v_and_b32_e32 v18, 0x7fffffff, v6
	v_mov_b32_e32 v19, v5
	v_cmp_gt_u64_e32 vcc, s[28:29], v[18:19]
	s_and_saveexec_b64 s[0:1], vcc
	s_xor_b64 s[38:39], exec, s[0:1]
	s_cbranch_execz .LBB97_39
; %bb.28:                               ;   in Loop: Header=BB97_10 Depth=1
	v_cmp_ne_u32_e32 vcc, 0, v6
	v_mov_b32_e32 v7, 0
	s_and_saveexec_b64 s[40:41], vcc
	s_cbranch_execz .LBB97_38
; %bb.29:                               ;   in Loop: Header=BB97_10 Depth=1
	v_bfe_u32 v6, v6, 23, 8
	v_sub_u32_e32 v17, 0x79, v6
	v_cmp_gt_u32_e32 vcc, s50, v6
	v_cndmask_b32_e32 v17, 0, v17, vcc
	v_cmp_eq_u32_e32 vcc, 0, v6
	v_cndmask_b32_e32 v17, v17, v14, vcc
	v_add_u32_e32 v7, 0xffffff81, v6
	v_or_b32_e32 v18, 0x800000, v4
	v_add_u32_e32 v6, 20, v17
	v_cndmask_b32_e32 v19, v7, v13, vcc
	v_cndmask_b32_e32 v4, v18, v4, vcc
	v_lshlrev_b64 v[6:7], v6, -1
	v_not_b32_e32 v6, v6
	v_lshrrev_b64 v[22:23], v17, v[4:5]
	v_not_b32_e32 v7, v7
	v_and_b32_e32 v6, v4, v6
	v_add_u32_e32 v18, 19, v17
	v_lshrrev_b32_e32 v4, 23, v22
	v_and_b32_e32 v7, 0, v7
	v_lshlrev_b64 v[20:21], v18, 1
	v_add3_u32 v18, v17, v19, v4
	v_bfe_u32 v4, v22, 20, 1
	v_add_u32_e32 v4, -1, v4
	v_cmp_eq_u64_e32 vcc, v[6:7], v[20:21]
	v_cndmask_b32_e32 v4, 0, v4, vcc
	v_add_u32_e32 v4, v4, v22
	v_and_b32_e32 v4, 0xfffff, v4
	v_add_co_u32_e32 v6, vcc, v4, v22
	v_add_u32_e32 v17, 6, v18
	v_addc_co_u32_e32 v7, vcc, 0, v23, vcc
	v_cmp_ne_u32_e32 vcc, 0, v17
                                        ; implicit-def: $vgpr4
	s_and_saveexec_b64 s[0:1], vcc
	s_xor_b64 s[0:1], exec, s[0:1]
; %bb.30:                               ;   in Loop: Header=BB97_10 Depth=1
	v_add_u32_e32 v4, 7, v18
	v_cmp_lt_u64_e32 vcc, s[30:31], v[6:7]
	v_cndmask_b32_e32 v4, v17, v4, vcc
	v_cndmask_b32_e64 v17, 0, 1, vcc
	v_lshrrev_b64 v[6:7], v17, v[6:7]
; %bb.31:                               ;   in Loop: Header=BB97_10 Depth=1
	s_andn2_saveexec_b64 s[0:1], s[0:1]
; %bb.32:                               ;   in Loop: Header=BB97_10 Depth=1
	v_bfe_u32 v4, v6, 23, 1
; %bb.33:                               ;   in Loop: Header=BB97_10 Depth=1
	s_or_b64 exec, exec, s[0:1]
	v_lshrrev_b64 v[6:7], 20, v[6:7]
	v_cmp_gt_i32_e32 vcc, 16, v4
	v_cndmask_b32_e32 v7, 0, v7, vcc
	v_cndmask_b32_e32 v6, 7, v6, vcc
	v_cmp_ne_u32_e32 vcc, 0, v4
	v_cmp_ne_u64_e64 s[0:1], 0, v[6:7]
	s_or_b64 s[0:1], vcc, s[0:1]
                                        ; implicit-def: $vgpr7
	s_and_saveexec_b64 s[52:53], s[0:1]
	s_xor_b64 s[0:1], exec, s[52:53]
; %bb.34:                               ;   in Loop: Header=BB97_10 Depth=1
	v_min_i32_e32 v4, 15, v4
	v_lshl_or_b32 v4, v4, 3, v16
	v_and_or_b32 v7, v6, 7, v4
                                        ; implicit-def: $vgpr16
; %bb.35:                               ;   in Loop: Header=BB97_10 Depth=1
	s_andn2_saveexec_b64 s[0:1], s[0:1]
; %bb.36:                               ;   in Loop: Header=BB97_10 Depth=1
	v_mov_b32_e32 v7, v16
; %bb.37:                               ;   in Loop: Header=BB97_10 Depth=1
	s_or_b64 exec, exec, s[0:1]
.LBB97_38:                              ;   in Loop: Header=BB97_10 Depth=1
	s_or_b64 exec, exec, s[40:41]
.LBB97_39:                              ;   in Loop: Header=BB97_10 Depth=1
	s_andn2_saveexec_b64 s[0:1], s[38:39]
	s_or_b64 exec, exec, s[0:1]
                                        ; implicit-def: $vgpr6
.LBB97_40:                              ;   in Loop: Header=BB97_10 Depth=1
	s_andn2_saveexec_b64 s[0:1], s[36:37]
	s_cbranch_execz .LBB97_9
; %bb.41:                               ;   in Loop: Header=BB97_10 Depth=1
	v_or_b32_sdwa v6, v6, s51 dst_sel:DWORD dst_unused:UNUSED_PAD src0_sel:BYTE_3 src1_sel:DWORD
	v_cmp_eq_u64_e32 vcc, 0, v[4:5]
	v_cndmask_b32_e32 v7, v6, v7, vcc
	s_branch .LBB97_9
.LBB97_42:
	s_or_b64 exec, exec, s[26:27]
	v_cmp_gt_i32_e32 vcc, s10, v0
	s_and_saveexec_b64 s[0:1], vcc
	s_cbranch_execz .LBB97_61
; %bb.43:
	s_mul_i32 s0, s6, s15
	s_mul_hi_u32 s1, s6, s14
	s_add_i32 s1, s1, s0
	s_mul_i32 s0, s6, s14
	s_lshl_b64 s[0:1], s[0:1], 1
	s_add_u32 s18, s18, s0
	s_addc_u32 s0, s19, s1
	s_ashr_i32 s1, s8, 31
	s_mul_i32 s1, s22, s1
	s_add_i32 s1, s42, s1
	s_add_i32 s1, s1, s43
	s_add_u32 s2, s2, s44
	s_addc_u32 s1, s3, s1
	s_ashr_i32 s3, s9, 31
	s_load_dword s4, s[4:5], 0x8c
	s_mul_i32 s7, s7, s3
	s_waitcnt lgkmcnt(0)
	s_load_dword s20, s[24:25], 0x0
	s_add_i32 s3, s33, s7
	s_add_i32 s3, s3, s11
	s_add_u32 s11, s2, s23
	s_addc_u32 s19, s1, s3
	s_and_b32 s21, s4, 0xffff
	s_mov_b64 s[2:3], 0
	v_mov_b32_e32 v6, s0
	v_mov_b32_e32 v3, 0
	s_movk_i32 s22, 0x80
	s_mov_b64 s[4:5], 0x7f800000
	s_mov_b64 s[6:7], 0x43e00001
	s_movk_i32 s23, 0x7a
	s_mov_b64 s[8:9], 0xffffff
	s_movk_i32 s24, 0x7f
	v_mov_b32_e32 v7, 0xffffff82
	v_mov_b32_e32 v8, 0x78
	s_branch .LBB97_45
.LBB97_44:                              ;   in Loop: Header=BB97_45 Depth=1
	s_or_b64 exec, exec, s[0:1]
	v_mov_b32_e32 v2, s19
	v_add_co_u32_e32 v10, vcc, s11, v0
	v_addc_co_u32_e32 v11, vcc, v2, v1, vcc
	v_add_u32_e32 v0, s21, v0
	v_cmp_le_i32_e32 vcc, s10, v0
	s_or_b64 s[2:3], vcc, s[2:3]
	global_store_byte v[10:11], v5, off
	s_andn2_b64 exec, exec, s[2:3]
	s_cbranch_execz .LBB97_61
.LBB97_45:                              ; =>This Inner Loop Header: Depth=1
	v_ashrrev_i32_e32 v1, 31, v0
	v_lshlrev_b64 v[4:5], 1, v[0:1]
	v_add_co_u32_e32 v4, vcc, s18, v4
	v_addc_co_u32_e32 v5, vcc, v6, v5, vcc
	global_load_ushort v2, v[4:5], off
	v_mov_b32_e32 v11, v3
	s_waitcnt vmcnt(0)
	v_lshlrev_b32_e32 v2, 16, v2
	s_waitcnt lgkmcnt(0)
	v_div_scale_f32 v4, s[0:1], s20, s20, v2
	v_rcp_f32_e32 v5, v4
	v_div_scale_f32 v9, vcc, v2, s20, v2
	v_fma_f32 v10, -v4, v5, 1.0
	v_fmac_f32_e32 v5, v10, v5
	v_mul_f32_e32 v10, v9, v5
	v_fma_f32 v12, -v4, v10, v9
	v_fmac_f32_e32 v10, v12, v5
	v_fma_f32 v4, -v4, v10, v9
	v_div_fmas_f32 v4, v4, v5, v10
	v_div_fixup_f32 v4, v4, s20, v2
	v_and_b32_sdwa v9, v4, s22 dst_sel:DWORD dst_unused:UNUSED_PAD src0_sel:BYTE_3 src1_sel:DWORD
	v_and_b32_e32 v10, 0x7f800000, v4
	v_and_b32_e32 v2, 0x7fffff, v4
	v_or_b32_e32 v5, 0x7e, v9
	v_cmp_ne_u64_e32 vcc, s[4:5], v[10:11]
	s_and_saveexec_b64 s[0:1], vcc
	s_xor_b64 s[12:13], exec, s[0:1]
	s_cbranch_execz .LBB97_59
; %bb.46:                               ;   in Loop: Header=BB97_45 Depth=1
	v_and_b32_e32 v10, 0x7fffffff, v4
	v_mov_b32_e32 v11, v3
	v_cmp_gt_u64_e32 vcc, s[6:7], v[10:11]
	s_and_saveexec_b64 s[0:1], vcc
	s_xor_b64 s[14:15], exec, s[0:1]
	s_cbranch_execz .LBB97_58
; %bb.47:                               ;   in Loop: Header=BB97_45 Depth=1
	v_cmp_ne_u32_e32 vcc, 0, v4
	v_mov_b32_e32 v5, 0
	s_and_saveexec_b64 s[16:17], vcc
	s_cbranch_execz .LBB97_57
; %bb.48:                               ;   in Loop: Header=BB97_45 Depth=1
	v_bfe_u32 v4, v4, 23, 8
	v_sub_u32_e32 v10, 0x79, v4
	v_cmp_gt_u32_e32 vcc, s23, v4
	v_cndmask_b32_e32 v10, 0, v10, vcc
	v_cmp_eq_u32_e32 vcc, 0, v4
	v_cndmask_b32_e32 v10, v10, v8, vcc
	v_add_u32_e32 v5, 0xffffff81, v4
	v_or_b32_e32 v11, 0x800000, v2
	v_add_u32_e32 v4, 20, v10
	v_cndmask_b32_e32 v16, v5, v7, vcc
	v_cndmask_b32_e32 v2, v11, v2, vcc
	v_lshlrev_b64 v[4:5], v4, -1
	v_not_b32_e32 v4, v4
	v_lshrrev_b64 v[14:15], v10, v[2:3]
	v_not_b32_e32 v5, v5
	v_and_b32_e32 v4, v2, v4
	v_add_u32_e32 v11, 19, v10
	v_lshrrev_b32_e32 v2, 23, v14
	v_and_b32_e32 v5, 0, v5
	v_lshlrev_b64 v[12:13], v11, 1
	v_add3_u32 v11, v10, v16, v2
	v_bfe_u32 v2, v14, 20, 1
	v_add_u32_e32 v2, -1, v2
	v_cmp_eq_u64_e32 vcc, v[4:5], v[12:13]
	v_cndmask_b32_e32 v2, 0, v2, vcc
	v_add_u32_e32 v2, v2, v14
	v_and_b32_e32 v2, 0xfffff, v2
	v_add_co_u32_e32 v4, vcc, v2, v14
	v_add_u32_e32 v10, 6, v11
	v_addc_co_u32_e32 v5, vcc, 0, v15, vcc
	v_cmp_ne_u32_e32 vcc, 0, v10
                                        ; implicit-def: $vgpr2
	s_and_saveexec_b64 s[0:1], vcc
	s_xor_b64 s[0:1], exec, s[0:1]
; %bb.49:                               ;   in Loop: Header=BB97_45 Depth=1
	v_add_u32_e32 v2, 7, v11
	v_cmp_lt_u64_e32 vcc, s[8:9], v[4:5]
	v_cndmask_b32_e32 v2, v10, v2, vcc
	v_cndmask_b32_e64 v10, 0, 1, vcc
	v_lshrrev_b64 v[4:5], v10, v[4:5]
; %bb.50:                               ;   in Loop: Header=BB97_45 Depth=1
	s_andn2_saveexec_b64 s[0:1], s[0:1]
; %bb.51:                               ;   in Loop: Header=BB97_45 Depth=1
	v_bfe_u32 v2, v4, 23, 1
; %bb.52:                               ;   in Loop: Header=BB97_45 Depth=1
	s_or_b64 exec, exec, s[0:1]
	v_lshrrev_b64 v[4:5], 20, v[4:5]
	v_cmp_gt_i32_e32 vcc, 16, v2
	v_cndmask_b32_e32 v5, 0, v5, vcc
	v_cndmask_b32_e32 v4, 7, v4, vcc
	v_cmp_ne_u32_e32 vcc, 0, v2
	v_cmp_ne_u64_e64 s[0:1], 0, v[4:5]
	s_or_b64 s[0:1], vcc, s[0:1]
                                        ; implicit-def: $vgpr5
	s_and_saveexec_b64 s[26:27], s[0:1]
	s_xor_b64 s[0:1], exec, s[26:27]
; %bb.53:                               ;   in Loop: Header=BB97_45 Depth=1
	v_min_i32_e32 v2, 15, v2
	v_lshl_or_b32 v2, v2, 3, v9
	v_and_or_b32 v5, v4, 7, v2
                                        ; implicit-def: $vgpr9
; %bb.54:                               ;   in Loop: Header=BB97_45 Depth=1
	s_andn2_saveexec_b64 s[0:1], s[0:1]
; %bb.55:                               ;   in Loop: Header=BB97_45 Depth=1
	v_mov_b32_e32 v5, v9
; %bb.56:                               ;   in Loop: Header=BB97_45 Depth=1
	s_or_b64 exec, exec, s[0:1]
.LBB97_57:                              ;   in Loop: Header=BB97_45 Depth=1
	s_or_b64 exec, exec, s[16:17]
.LBB97_58:                              ;   in Loop: Header=BB97_45 Depth=1
	s_andn2_saveexec_b64 s[0:1], s[14:15]
	s_or_b64 exec, exec, s[0:1]
                                        ; implicit-def: $vgpr4
.LBB97_59:                              ;   in Loop: Header=BB97_45 Depth=1
	s_andn2_saveexec_b64 s[0:1], s[12:13]
	s_cbranch_execz .LBB97_44
; %bb.60:                               ;   in Loop: Header=BB97_45 Depth=1
	v_or_b32_sdwa v4, v4, s24 dst_sel:DWORD dst_unused:UNUSED_PAD src0_sel:BYTE_3 src1_sel:DWORD
	v_cmp_eq_u64_e32 vcc, 0, v[2:3]
	v_cndmask_b32_e32 v5, v4, v5, vcc
	s_branch .LBB97_44
.LBB97_61:
	s_endpgm
.LBB97_62:
                                        ; implicit-def: $sgpr22_sgpr23
	s_branch .LBB97_6
	.section	.rodata,"a",@progbits
	.p2align	6, 0x0
	.amdhsa_kernel _ZN4vllm38concat_and_cache_mla_rope_fused_kernelIN3c104HalfEfLb0E14__hip_bfloat16hLNS_18Fp8KVCacheDataTypeE1EEEvPKlPT_S8_PKS7_PKT0_illlliPT3_S6_iiiiPKf
		.amdhsa_group_segment_fixed_size 0
		.amdhsa_private_segment_fixed_size 0
		.amdhsa_kernarg_size 384
		.amdhsa_user_sgpr_count 6
		.amdhsa_user_sgpr_private_segment_buffer 1
		.amdhsa_user_sgpr_dispatch_ptr 0
		.amdhsa_user_sgpr_queue_ptr 0
		.amdhsa_user_sgpr_kernarg_segment_ptr 1
		.amdhsa_user_sgpr_dispatch_id 0
		.amdhsa_user_sgpr_flat_scratch_init 0
		.amdhsa_user_sgpr_kernarg_preload_length 0
		.amdhsa_user_sgpr_kernarg_preload_offset 0
		.amdhsa_user_sgpr_private_segment_size 0
		.amdhsa_uses_dynamic_stack 0
		.amdhsa_system_sgpr_private_segment_wavefront_offset 0
		.amdhsa_system_sgpr_workgroup_id_x 1
		.amdhsa_system_sgpr_workgroup_id_y 0
		.amdhsa_system_sgpr_workgroup_id_z 0
		.amdhsa_system_sgpr_workgroup_info 0
		.amdhsa_system_vgpr_workitem_id 0
		.amdhsa_next_free_vgpr 25
		.amdhsa_next_free_sgpr 54
		.amdhsa_accum_offset 28
		.amdhsa_reserve_vcc 1
		.amdhsa_reserve_flat_scratch 0
		.amdhsa_float_round_mode_32 0
		.amdhsa_float_round_mode_16_64 0
		.amdhsa_float_denorm_mode_32 3
		.amdhsa_float_denorm_mode_16_64 3
		.amdhsa_dx10_clamp 1
		.amdhsa_ieee_mode 1
		.amdhsa_fp16_overflow 0
		.amdhsa_tg_split 0
		.amdhsa_exception_fp_ieee_invalid_op 0
		.amdhsa_exception_fp_denorm_src 0
		.amdhsa_exception_fp_ieee_div_zero 0
		.amdhsa_exception_fp_ieee_overflow 0
		.amdhsa_exception_fp_ieee_underflow 0
		.amdhsa_exception_fp_ieee_inexact 0
		.amdhsa_exception_int_div_zero 0
	.end_amdhsa_kernel
	.section	.text._ZN4vllm38concat_and_cache_mla_rope_fused_kernelIN3c104HalfEfLb0E14__hip_bfloat16hLNS_18Fp8KVCacheDataTypeE1EEEvPKlPT_S8_PKS7_PKT0_illlliPT3_S6_iiiiPKf,"axG",@progbits,_ZN4vllm38concat_and_cache_mla_rope_fused_kernelIN3c104HalfEfLb0E14__hip_bfloat16hLNS_18Fp8KVCacheDataTypeE1EEEvPKlPT_S8_PKS7_PKT0_illlliPT3_S6_iiiiPKf,comdat
.Lfunc_end97:
	.size	_ZN4vllm38concat_and_cache_mla_rope_fused_kernelIN3c104HalfEfLb0E14__hip_bfloat16hLNS_18Fp8KVCacheDataTypeE1EEEvPKlPT_S8_PKS7_PKT0_illlliPT3_S6_iiiiPKf, .Lfunc_end97-_ZN4vllm38concat_and_cache_mla_rope_fused_kernelIN3c104HalfEfLb0E14__hip_bfloat16hLNS_18Fp8KVCacheDataTypeE1EEEvPKlPT_S8_PKS7_PKT0_illlliPT3_S6_iiiiPKf
                                        ; -- End function
	.section	.AMDGPU.csdata,"",@progbits
; Kernel info:
; codeLenInByte = 3672
; NumSgprs: 58
; NumVgprs: 25
; NumAgprs: 0
; TotalNumVgprs: 25
; ScratchSize: 0
; MemoryBound: 0
; FloatMode: 240
; IeeeMode: 1
; LDSByteSize: 0 bytes/workgroup (compile time only)
; SGPRBlocks: 7
; VGPRBlocks: 3
; NumSGPRsForWavesPerEU: 58
; NumVGPRsForWavesPerEU: 25
; AccumOffset: 28
; Occupancy: 8
; WaveLimiterHint : 1
; COMPUTE_PGM_RSRC2:SCRATCH_EN: 0
; COMPUTE_PGM_RSRC2:USER_SGPR: 6
; COMPUTE_PGM_RSRC2:TRAP_HANDLER: 0
; COMPUTE_PGM_RSRC2:TGID_X_EN: 1
; COMPUTE_PGM_RSRC2:TGID_Y_EN: 0
; COMPUTE_PGM_RSRC2:TGID_Z_EN: 0
; COMPUTE_PGM_RSRC2:TIDIG_COMP_CNT: 0
; COMPUTE_PGM_RSRC3_GFX90A:ACCUM_OFFSET: 6
; COMPUTE_PGM_RSRC3_GFX90A:TG_SPLIT: 0
	.section	.text._ZN4vllm38concat_and_cache_mla_rope_fused_kernelIN3c104HalfES2_Lb1E14__hip_bfloat16hLNS_18Fp8KVCacheDataTypeE1EEEvPKlPT_S8_PKS7_PKT0_illlliPT3_S6_iiiiPKf,"axG",@progbits,_ZN4vllm38concat_and_cache_mla_rope_fused_kernelIN3c104HalfES2_Lb1E14__hip_bfloat16hLNS_18Fp8KVCacheDataTypeE1EEEvPKlPT_S8_PKS7_PKT0_illlliPT3_S6_iiiiPKf,comdat
	.protected	_ZN4vllm38concat_and_cache_mla_rope_fused_kernelIN3c104HalfES2_Lb1E14__hip_bfloat16hLNS_18Fp8KVCacheDataTypeE1EEEvPKlPT_S8_PKS7_PKT0_illlliPT3_S6_iiiiPKf ; -- Begin function _ZN4vllm38concat_and_cache_mla_rope_fused_kernelIN3c104HalfES2_Lb1E14__hip_bfloat16hLNS_18Fp8KVCacheDataTypeE1EEEvPKlPT_S8_PKS7_PKT0_illlliPT3_S6_iiiiPKf
	.globl	_ZN4vllm38concat_and_cache_mla_rope_fused_kernelIN3c104HalfES2_Lb1E14__hip_bfloat16hLNS_18Fp8KVCacheDataTypeE1EEEvPKlPT_S8_PKS7_PKT0_illlliPT3_S6_iiiiPKf
	.p2align	8
	.type	_ZN4vllm38concat_and_cache_mla_rope_fused_kernelIN3c104HalfES2_Lb1E14__hip_bfloat16hLNS_18Fp8KVCacheDataTypeE1EEEvPKlPT_S8_PKS7_PKT0_illlliPT3_S6_iiiiPKf,@function
_ZN4vllm38concat_and_cache_mla_rope_fused_kernelIN3c104HalfES2_Lb1E14__hip_bfloat16hLNS_18Fp8KVCacheDataTypeE1EEEvPKlPT_S8_PKS7_PKT0_illlliPT3_S6_iiiiPKf: ; @_ZN4vllm38concat_and_cache_mla_rope_fused_kernelIN3c104HalfES2_Lb1E14__hip_bfloat16hLNS_18Fp8KVCacheDataTypeE1EEEvPKlPT_S8_PKS7_PKT0_illlliPT3_S6_iiiiPKf
; %bb.0:
	s_load_dwordx2 s[2:3], s[4:5], 0x60
	s_mov_b32 s7, 0
	s_lshl_b64 s[0:1], s[6:7], 3
	s_waitcnt lgkmcnt(0)
	s_add_u32 s2, s2, s0
	s_addc_u32 s3, s3, s1
	s_load_dwordx2 s[26:27], s[2:3], 0x0
	s_waitcnt lgkmcnt(0)
	v_cmp_lt_i64_e64 s[2:3], s[26:27], 0
	s_and_b64 vcc, exec, s[2:3]
	s_cbranch_vccnz .LBB98_61
; %bb.1:
	s_load_dword s22, s[4:5], 0x28
	s_load_dwordx2 s[2:3], s[4:5], 0x0
	s_load_dwordx4 s[16:19], s[4:5], 0x10
	s_waitcnt lgkmcnt(0)
	s_ashr_i32 s7, s22, 31
	s_add_u32 s0, s2, s0
	s_addc_u32 s1, s3, s1
	s_load_dwordx2 s[20:21], s[0:1], 0x0
	s_load_dwordx2 s[28:29], s[4:5], 0x20
	s_load_dwordx8 s[8:15], s[4:5], 0x30
	s_load_dwordx2 s[2:3], s[4:5], 0x58
	s_load_dword s23, s[4:5], 0x50
	s_waitcnt lgkmcnt(0)
	s_mul_i32 s0, s20, s7
	s_mul_hi_u32 s1, s20, s22
	s_mul_i32 s7, s21, s22
	s_add_i32 s0, s1, s0
	s_add_i32 s1, s0, s7
	s_mul_i32 s0, s20, s22
	s_lshl_b64 s[30:31], s[0:1], 1
	s_add_u32 s7, s28, s30
	s_addc_u32 s33, s29, s31
	s_lshr_b32 s0, s22, 31
	s_add_i32 s22, s22, s0
	s_ashr_i32 s20, s22, 1
	s_mul_i32 s24, s20, s23
	v_cmp_gt_i32_e32 vcc, s24, v0
	s_and_saveexec_b64 s[0:1], vcc
	s_cbranch_execz .LBB98_4
; %bb.2:
	s_load_dwordx2 s[22:23], s[4:5], 0x8
	s_load_dword s35, s[4:5], 0x8c
	s_mul_i32 s9, s6, s9
	s_mul_hi_u32 s25, s6, s8
	s_add_i32 s9, s25, s9
	s_mul_i32 s8, s6, s8
	s_ashr_i32 s21, s20, 31
	s_lshl_b64 s[8:9], s[8:9], 1
	s_waitcnt lgkmcnt(0)
	s_add_u32 s25, s22, s8
	s_addc_u32 s37, s23, s9
	s_abs_i32 s34, s20
	v_cvt_f32_u32_e32 v1, s34
	s_sub_i32 s22, 0, s34
	s_mov_b64 s[8:9], 0
	s_and_b32 s35, s35, 0xffff
	v_rcp_iflag_f32_e32 v2, v1
	v_mov_b32_e32 v1, s33
	s_sub_i32 s36, 0, s20
	v_mov_b32_e32 v5, s37
	v_mul_f32_e32 v2, 0x4f7ffffe, v2
	v_cvt_u32_f32_e32 v2, v2
	v_mul_lo_u32 v3, s22, v2
	v_mul_hi_u32 v3, v2, v3
	s_lshl_b64 s[22:23], s[20:21], 1
	v_add_u32_e32 v3, v2, v3
	v_mov_b32_e32 v4, s23
	v_mov_b32_e32 v2, v0
.LBB98_3:                               ; =>This Inner Loop Header: Depth=1
	v_sub_u32_e32 v7, 0, v2
	v_max_i32_e32 v7, v2, v7
	v_mul_hi_u32 v8, v7, v3
	v_mul_lo_u32 v9, v8, s34
	v_sub_u32_e32 v7, v7, v9
	v_add_u32_e32 v10, 1, v8
	v_cmp_le_u32_e32 vcc, s34, v7
	v_subrev_u32_e32 v9, s34, v7
	v_cndmask_b32_e32 v8, v8, v10, vcc
	v_cndmask_b32_e32 v7, v7, v9, vcc
	v_ashrrev_i32_e32 v6, 31, v2
	v_add_u32_e32 v9, 1, v8
	v_cmp_le_u32_e32 vcc, s34, v7
	v_xor_b32_e32 v6, s21, v6
	v_cndmask_b32_e32 v7, v8, v9, vcc
	v_xor_b32_e32 v7, v7, v6
	v_sub_u32_e32 v8, v7, v6
	v_mad_u64_u32 v[6:7], s[38:39], s36, v8, v[2:3]
	v_ashrrev_i32_e32 v10, 31, v8
	v_ashrrev_i32_e32 v7, 31, v6
	v_mul_lo_u32 v11, v8, s11
	v_mad_u64_u32 v[8:9], s[38:39], v8, s10, 0
	v_mul_lo_u32 v10, v10, s10
	v_lshlrev_b64 v[6:7], 1, v[6:7]
	v_add3_u32 v9, v9, v11, v10
	v_add_co_u32_e32 v10, vcc, s7, v6
	v_addc_co_u32_e32 v11, vcc, v1, v7, vcc
	v_add_co_u32_e32 v12, vcc, s22, v10
	v_lshlrev_b64 v[8:9], 1, v[8:9]
	v_addc_co_u32_e32 v13, vcc, v11, v4, vcc
	v_add_co_u32_e32 v8, vcc, s25, v8
	v_addc_co_u32_e32 v9, vcc, v5, v9, vcc
	v_add_co_u32_e32 v6, vcc, v8, v6
	;; [unrolled: 2-line block ×3, first 2 shown]
	global_load_ushort v14, v[10:11], off
	global_load_ushort v15, v[12:13], off
	v_addc_co_u32_e32 v9, vcc, v7, v4, vcc
	global_load_ushort v10, v[6:7], off
	global_load_ushort v11, v[8:9], off
	v_add_u32_e32 v2, s35, v2
	v_cmp_le_i32_e32 vcc, s24, v2
	s_or_b64 s[8:9], vcc, s[8:9]
	s_waitcnt vmcnt(0)
	v_mul_f16_e32 v12, v15, v11
	v_mul_f16_e32 v11, v14, v11
	v_fma_f16 v12, v14, v10, -v12
	v_fma_f16 v10, v15, v10, v11
	global_store_short v[6:7], v12, off
	global_store_short v[8:9], v10, off
	s_andn2_b64 exec, exec, s[8:9]
	s_cbranch_execnz .LBB98_3
.LBB98_4:
	s_or_b64 exec, exec, s[0:1]
	s_load_dwordx4 s[8:11], s[4:5], 0x68
	s_waitcnt lgkmcnt(0)
	s_ashr_i32 s35, s11, 31
	s_mov_b32 s34, s11
	s_or_b64 s[0:1], s[26:27], s[34:35]
	s_mov_b32 s0, 0
	s_cmp_lg_u64 s[0:1], 0
	s_cbranch_scc0 .LBB98_62
; %bb.5:
	s_add_u32 s0, s34, s35
	s_mov_b32 s22, s35
	s_mov_b32 s23, s35
	s_addc_u32 s1, s35, s35
	s_xor_b64 s[36:37], s[0:1], s[22:23]
	v_cvt_f32_u32_e32 v1, s36
	v_cvt_f32_u32_e32 v2, s37
	s_sub_u32 s0, 0, s36
	s_subb_u32 s1, 0, s37
	v_madmk_f32 v1, v2, 0x4f800000, v1
	v_rcp_f32_e32 v1, v1
	v_mul_f32_e32 v1, 0x5f7ffffc, v1
	v_mul_f32_e32 v2, 0x2f800000, v1
	v_trunc_f32_e32 v2, v2
	v_madmk_f32 v1, v2, 0xcf800000, v1
	v_cvt_u32_f32_e32 v2, v2
	v_cvt_u32_f32_e32 v1, v1
	v_readfirstlane_b32 s11, v2
	v_readfirstlane_b32 s21, v1
	s_mul_i32 s38, s0, s11
	s_mul_hi_u32 s40, s0, s21
	s_mul_i32 s39, s1, s21
	s_add_i32 s38, s40, s38
	s_add_i32 s38, s38, s39
	s_mul_i32 s41, s0, s21
	s_mul_hi_u32 s39, s21, s38
	s_mul_i32 s40, s21, s38
	s_mul_hi_u32 s21, s21, s41
	s_add_u32 s21, s21, s40
	s_addc_u32 s39, 0, s39
	s_mul_hi_u32 s42, s11, s41
	s_mul_i32 s41, s11, s41
	s_add_u32 s21, s21, s41
	s_mul_hi_u32 s40, s11, s38
	s_addc_u32 s21, s39, s42
	s_addc_u32 s39, s40, 0
	s_mul_i32 s38, s11, s38
	s_add_u32 s21, s21, s38
	s_addc_u32 s38, 0, s39
	v_add_co_u32_e32 v1, vcc, s21, v1
	s_cmp_lg_u64 vcc, 0
	s_addc_u32 s11, s11, s38
	v_readfirstlane_b32 s38, v1
	s_mul_i32 s21, s0, s11
	s_mul_hi_u32 s39, s0, s38
	s_add_i32 s21, s39, s21
	s_mul_i32 s1, s1, s38
	s_add_i32 s21, s21, s1
	s_mul_i32 s0, s0, s38
	s_mul_hi_u32 s39, s11, s0
	s_mul_i32 s40, s11, s0
	s_mul_i32 s42, s38, s21
	s_mul_hi_u32 s0, s38, s0
	s_mul_hi_u32 s41, s38, s21
	s_add_u32 s0, s0, s42
	s_addc_u32 s38, 0, s41
	s_add_u32 s0, s0, s40
	s_mul_hi_u32 s1, s11, s21
	s_addc_u32 s0, s38, s39
	s_addc_u32 s1, s1, 0
	s_mul_i32 s21, s11, s21
	s_add_u32 s0, s0, s21
	s_addc_u32 s1, 0, s1
	v_add_co_u32_e32 v1, vcc, s0, v1
	s_cmp_lg_u64 vcc, 0
	s_addc_u32 s11, s11, s1
	s_ashr_i32 s38, s27, 31
	s_add_u32 s0, s26, s38
	s_mov_b32 s39, s38
	s_addc_u32 s1, s27, s38
	s_xor_b64 s[40:41], s[0:1], s[38:39]
	v_readfirstlane_b32 s21, v1
	s_mul_i32 s1, s40, s11
	s_mul_hi_u32 s42, s40, s21
	s_mul_hi_u32 s0, s40, s11
	s_add_u32 s1, s42, s1
	s_addc_u32 s0, 0, s0
	s_mul_hi_u32 s43, s41, s21
	s_mul_i32 s21, s41, s21
	s_add_u32 s1, s1, s21
	s_mul_hi_u32 s42, s41, s11
	s_addc_u32 s0, s0, s43
	s_addc_u32 s1, s42, 0
	s_mul_i32 s11, s41, s11
	s_add_u32 s11, s0, s11
	s_addc_u32 s21, 0, s1
	s_mul_i32 s0, s36, s21
	s_mul_hi_u32 s1, s36, s11
	s_add_i32 s0, s1, s0
	s_mul_i32 s1, s37, s11
	s_add_i32 s42, s0, s1
	s_mul_i32 s1, s36, s11
	v_mov_b32_e32 v1, s1
	s_sub_i32 s0, s41, s42
	v_sub_co_u32_e32 v1, vcc, s40, v1
	s_cmp_lg_u64 vcc, 0
	s_subb_u32 s40, s0, s37
	v_subrev_co_u32_e64 v2, s[0:1], s36, v1
	s_cmp_lg_u64 s[0:1], 0
	s_subb_u32 s0, s40, 0
	s_cmp_ge_u32 s0, s37
	v_readfirstlane_b32 s40, v2
	s_cselect_b32 s1, -1, 0
	s_cmp_ge_u32 s40, s36
	s_cselect_b32 s40, -1, 0
	s_cmp_eq_u32 s0, s37
	s_cselect_b32 s0, s40, s1
	s_add_u32 s1, s11, 1
	s_addc_u32 s40, s21, 0
	s_add_u32 s43, s11, 2
	s_addc_u32 s44, s21, 0
	s_cmp_lg_u32 s0, 0
	s_cselect_b32 s0, s43, s1
	s_cselect_b32 s1, s44, s40
	s_cmp_lg_u64 vcc, 0
	s_subb_u32 s40, s41, s42
	s_cmp_ge_u32 s40, s37
	v_readfirstlane_b32 s42, v1
	s_cselect_b32 s41, -1, 0
	s_cmp_ge_u32 s42, s36
	s_cselect_b32 s36, -1, 0
	s_cmp_eq_u32 s40, s37
	s_cselect_b32 s36, s36, s41
	s_cmp_lg_u32 s36, 0
	s_cselect_b32 s1, s1, s21
	s_cselect_b32 s0, s0, s11
	s_xor_b64 s[22:23], s[38:39], s[22:23]
	s_xor_b64 s[0:1], s[0:1], s[22:23]
	s_sub_u32 s22, s0, s22
	s_subb_u32 s23, s1, s23
	s_cbranch_execnz .LBB98_7
.LBB98_6:
	v_cvt_f32_u32_e32 v1, s34
	s_sub_i32 s0, 0, s34
	s_mov_b32 s23, 0
	v_rcp_iflag_f32_e32 v1, v1
	v_mul_f32_e32 v1, 0x4f7ffffe, v1
	v_cvt_u32_f32_e32 v1, v1
	v_readfirstlane_b32 s1, v1
	s_mul_i32 s0, s0, s1
	s_mul_hi_u32 s0, s1, s0
	s_add_i32 s1, s1, s0
	s_mul_hi_u32 s0, s26, s1
	s_mul_i32 s11, s0, s34
	s_sub_i32 s11, s26, s11
	s_add_i32 s1, s0, 1
	s_sub_i32 s21, s11, s34
	s_cmp_ge_u32 s11, s34
	s_cselect_b32 s0, s1, s0
	s_cselect_b32 s11, s21, s11
	s_add_i32 s1, s0, 1
	s_cmp_ge_u32 s11, s34
	s_cselect_b32 s22, s1, s0
.LBB98_7:
	s_mul_i32 s0, s22, s35
	s_mul_hi_u32 s1, s22, s34
	s_load_dwordx2 s[24:25], s[4:5], 0x78
	s_add_i32 s0, s1, s0
	s_mul_i32 s1, s23, s34
	s_add_i32 s0, s0, s1
	s_mul_i32 s1, s22, s34
	s_sub_u32 s11, s26, s1
	s_subb_u32 s0, s27, s0
	v_cmp_gt_i32_e32 vcc, s20, v0
	s_mul_hi_u32 s42, s22, s8
	s_mul_i32 s43, s23, s8
	s_mul_i32 s44, s22, s8
	s_mul_hi_u32 s41, s11, s9
	s_mul_i32 s23, s0, s9
	s_mul_i32 s40, s11, s9
	s_and_saveexec_b64 s[26:27], vcc
	s_cbranch_execz .LBB98_42
; %bb.8:
	s_mul_i32 s0, s6, s13
	s_mul_hi_u32 s1, s6, s12
	s_add_i32 s1, s1, s0
	s_mul_i32 s0, s6, s12
	s_ashr_i32 s21, s20, 31
	s_lshl_b64 s[0:1], s[0:1], 1
	s_add_u32 s45, s16, s0
	s_addc_u32 s46, s17, s1
	s_ashr_i32 s12, s8, 31
	s_load_dword s13, s[4:5], 0x8c
	s_mul_i32 s12, s22, s12
	s_add_i32 s12, s42, s12
	s_add_i32 s34, s12, s43
	s_ashr_i32 s12, s9, 31
	s_mul_i32 s12, s11, s12
	s_add_i32 s12, s41, s12
	s_waitcnt lgkmcnt(0)
	s_and_b32 s48, s13, 0xffff
	s_add_i32 s35, s12, s23
	s_ashr_i32 s36, s10, 31
	s_lshl_b32 s50, s48, 1
	s_lshl_b64 s[12:13], s[20:21], 1
	s_add_u32 s30, s30, s12
	s_addc_u32 s31, s31, s13
	s_add_u32 s51, s28, s30
	s_addc_u32 s52, s29, s31
	;; [unrolled: 2-line block ×5, first 2 shown]
	s_add_u32 s0, s0, s10
	s_load_dword s47, s[24:25], 0x0
	s_addc_u32 s1, s1, s36
	s_add_u32 s0, s2, s0
	s_addc_u32 s1, s3, s1
	v_mov_b32_e32 v1, s1
	v_add_co_u32_e32 v6, vcc, s0, v0
	s_mov_b32 s49, 0
	v_mov_b32_e32 v3, 0
	v_lshlrev_b32_e32 v4, 1, v0
	v_addc_co_u32_e32 v7, vcc, 0, v1, vcc
	s_mov_b64 s[12:13], 0
	s_movk_i32 s55, 0x80
	s_mov_b64 s[16:17], 0x7f800000
	s_mov_b64 s[28:29], 0x43e00001
	s_movk_i32 s56, 0x7a
	s_mov_b64 s[30:31], 0xffffff
	s_movk_i32 s57, 0x7f
	v_mov_b32_e32 v1, 0xffffff82
	v_mov_b32_e32 v5, 0x78
	;; [unrolled: 1-line block ×3, first 2 shown]
	s_branch .LBB98_10
.LBB98_9:                               ;   in Loop: Header=BB98_10 Depth=1
	s_or_b64 exec, exec, s[0:1]
	s_add_u32 s7, s7, s50
	s_addc_u32 s33, s33, 0
	s_add_u32 s51, s51, s50
	s_addc_u32 s52, s52, 0
	s_add_u32 s53, s53, s50
	v_mov_b32_e32 v2, s21
	v_add_co_u32_e32 v12, vcc, s20, v6
	s_addc_u32 s54, s54, 0
	v_addc_co_u32_e32 v13, vcc, v7, v2, vcc
	v_add_u32_e32 v10, s48, v10
	s_add_u32 s45, s45, s50
	s_addc_u32 s46, s46, 0
	v_cmp_le_i32_e32 vcc, s20, v10
	v_mov_b32_e32 v2, s49
	s_or_b64 s[12:13], vcc, s[12:13]
	v_add_co_u32_e32 v6, vcc, s48, v6
	v_addc_co_u32_e32 v7, vcc, v7, v2, vcc
	global_store_byte v[12:13], v9, off
	s_andn2_b64 exec, exec, s[12:13]
	s_cbranch_execz .LBB98_42
.LBB98_10:                              ; =>This Inner Loop Header: Depth=1
	v_mov_b32_e32 v2, s33
	v_add_co_u32_e32 v8, vcc, s7, v4
	v_addc_co_u32_e32 v9, vcc, 0, v2, vcc
	global_load_ushort v2, v[8:9], off
	v_mov_b32_e32 v9, s52
	v_add_co_u32_e32 v8, vcc, s51, v4
	v_addc_co_u32_e32 v9, vcc, 0, v9, vcc
	global_load_ushort v11, v[8:9], off
	v_mov_b32_e32 v9, s54
	v_add_co_u32_e32 v8, vcc, s53, v4
	v_addc_co_u32_e32 v9, vcc, 0, v9, vcc
	v_mov_b32_e32 v13, s46
	v_add_co_u32_e32 v12, vcc, s45, v4
	global_load_ushort v14, v[8:9], off
	v_addc_co_u32_e32 v13, vcc, 0, v13, vcc
	global_load_ushort v16, v[12:13], off
	v_mov_b32_e32 v15, v3
	s_waitcnt vmcnt(1)
	v_mul_f16_e32 v17, v11, v14
	v_mul_f16_e32 v14, v2, v14
	s_waitcnt vmcnt(0)
	v_fma_f16 v2, v2, v16, -v17
	global_store_short v[12:13], v2, off
	v_lshlrev_b32_e32 v2, 16, v2
	s_waitcnt lgkmcnt(0)
	v_div_scale_f32 v12, s[0:1], s47, s47, v2
	v_rcp_f32_e32 v13, v12
	v_fma_f16 v11, v11, v16, v14
	global_store_short v[8:9], v11, off
	v_div_scale_f32 v8, vcc, v2, s47, v2
	v_fma_f32 v9, -v12, v13, 1.0
	v_fmac_f32_e32 v13, v9, v13
	v_mul_f32_e32 v9, v8, v13
	v_fma_f32 v14, -v12, v9, v8
	v_fmac_f32_e32 v9, v14, v13
	v_fma_f32 v8, -v12, v9, v8
	v_div_fmas_f32 v8, v8, v13, v9
	v_div_fixup_f32 v8, v8, s47, v2
	v_and_b32_sdwa v12, v8, s55 dst_sel:DWORD dst_unused:UNUSED_PAD src0_sel:BYTE_3 src1_sel:DWORD
	v_and_b32_e32 v14, 0x7f800000, v8
	v_and_b32_e32 v2, 0x7fffff, v8
	v_or_b32_e32 v9, 0x7e, v12
	v_cmp_ne_u64_e32 vcc, s[16:17], v[14:15]
	s_and_saveexec_b64 s[0:1], vcc
	s_xor_b64 s[34:35], exec, s[0:1]
	s_cbranch_execz .LBB98_24
; %bb.11:                               ;   in Loop: Header=BB98_10 Depth=1
	v_and_b32_e32 v14, 0x7fffffff, v8
	v_mov_b32_e32 v15, v3
	v_cmp_gt_u64_e32 vcc, s[28:29], v[14:15]
	s_and_saveexec_b64 s[0:1], vcc
	s_xor_b64 s[36:37], exec, s[0:1]
	s_cbranch_execz .LBB98_23
; %bb.12:                               ;   in Loop: Header=BB98_10 Depth=1
	v_cmp_ne_u32_e32 vcc, 0, v8
	v_mov_b32_e32 v9, 0
	s_and_saveexec_b64 s[38:39], vcc
	s_cbranch_execz .LBB98_22
; %bb.13:                               ;   in Loop: Header=BB98_10 Depth=1
	v_bfe_u32 v8, v8, 23, 8
	v_sub_u32_e32 v13, 0x79, v8
	v_cmp_gt_u32_e32 vcc, s56, v8
	v_cndmask_b32_e32 v13, 0, v13, vcc
	v_cmp_eq_u32_e32 vcc, 0, v8
	v_cndmask_b32_e32 v13, v13, v5, vcc
	v_add_u32_e32 v9, 0xffffff81, v8
	v_or_b32_e32 v14, 0x800000, v2
	v_add_u32_e32 v8, 20, v13
	v_cndmask_b32_e32 v15, v9, v1, vcc
	v_cndmask_b32_e32 v2, v14, v2, vcc
	v_lshlrev_b64 v[8:9], v8, -1
	v_not_b32_e32 v8, v8
	v_lshrrev_b64 v[18:19], v13, v[2:3]
	v_not_b32_e32 v9, v9
	v_and_b32_e32 v8, v2, v8
	v_add_u32_e32 v14, 19, v13
	v_lshrrev_b32_e32 v2, 23, v18
	v_and_b32_e32 v9, 0, v9
	v_lshlrev_b64 v[16:17], v14, 1
	v_add3_u32 v14, v13, v15, v2
	v_bfe_u32 v2, v18, 20, 1
	v_add_u32_e32 v2, -1, v2
	v_cmp_eq_u64_e32 vcc, v[8:9], v[16:17]
	v_cndmask_b32_e32 v2, 0, v2, vcc
	v_add_u32_e32 v2, v2, v18
	v_and_b32_e32 v2, 0xfffff, v2
	v_add_co_u32_e32 v8, vcc, v2, v18
	v_add_u32_e32 v13, 6, v14
	v_addc_co_u32_e32 v9, vcc, 0, v19, vcc
	v_cmp_ne_u32_e32 vcc, 0, v13
                                        ; implicit-def: $vgpr2
	s_and_saveexec_b64 s[0:1], vcc
	s_xor_b64 s[0:1], exec, s[0:1]
; %bb.14:                               ;   in Loop: Header=BB98_10 Depth=1
	v_add_u32_e32 v2, 7, v14
	v_cmp_lt_u64_e32 vcc, s[30:31], v[8:9]
	v_cndmask_b32_e32 v2, v13, v2, vcc
	v_cndmask_b32_e64 v13, 0, 1, vcc
	v_lshrrev_b64 v[8:9], v13, v[8:9]
; %bb.15:                               ;   in Loop: Header=BB98_10 Depth=1
	s_andn2_saveexec_b64 s[0:1], s[0:1]
; %bb.16:                               ;   in Loop: Header=BB98_10 Depth=1
	v_bfe_u32 v2, v8, 23, 1
; %bb.17:                               ;   in Loop: Header=BB98_10 Depth=1
	s_or_b64 exec, exec, s[0:1]
	v_lshrrev_b64 v[8:9], 20, v[8:9]
	v_cmp_gt_i32_e32 vcc, 16, v2
	v_cndmask_b32_e32 v9, 0, v9, vcc
	v_cndmask_b32_e32 v8, 7, v8, vcc
	v_cmp_ne_u32_e32 vcc, 0, v2
	v_cmp_ne_u64_e64 s[0:1], 0, v[8:9]
	s_or_b64 s[0:1], vcc, s[0:1]
                                        ; implicit-def: $vgpr9
	s_and_saveexec_b64 s[58:59], s[0:1]
	s_xor_b64 s[0:1], exec, s[58:59]
; %bb.18:                               ;   in Loop: Header=BB98_10 Depth=1
	v_min_i32_e32 v2, 15, v2
	v_lshl_or_b32 v2, v2, 3, v12
	v_and_or_b32 v9, v8, 7, v2
                                        ; implicit-def: $vgpr12
; %bb.19:                               ;   in Loop: Header=BB98_10 Depth=1
	s_andn2_saveexec_b64 s[0:1], s[0:1]
; %bb.20:                               ;   in Loop: Header=BB98_10 Depth=1
	v_mov_b32_e32 v9, v12
; %bb.21:                               ;   in Loop: Header=BB98_10 Depth=1
	s_or_b64 exec, exec, s[0:1]
.LBB98_22:                              ;   in Loop: Header=BB98_10 Depth=1
	s_or_b64 exec, exec, s[38:39]
.LBB98_23:                              ;   in Loop: Header=BB98_10 Depth=1
	s_andn2_saveexec_b64 s[0:1], s[36:37]
	s_or_b64 exec, exec, s[0:1]
                                        ; implicit-def: $vgpr8
.LBB98_24:                              ;   in Loop: Header=BB98_10 Depth=1
	s_andn2_saveexec_b64 s[0:1], s[34:35]
; %bb.25:                               ;   in Loop: Header=BB98_10 Depth=1
	v_or_b32_sdwa v8, v8, s57 dst_sel:DWORD dst_unused:UNUSED_PAD src0_sel:BYTE_3 src1_sel:DWORD
	v_cmp_eq_u64_e32 vcc, 0, v[2:3]
	v_cndmask_b32_e32 v9, v8, v9, vcc
; %bb.26:                               ;   in Loop: Header=BB98_10 Depth=1
	s_or_b64 exec, exec, s[0:1]
	v_lshlrev_b32_e32 v2, 16, v11
	v_div_scale_f32 v8, s[0:1], s47, s47, v2
	v_rcp_f32_e32 v11, v8
	global_store_byte v[6:7], v9, off
	v_fma_f32 v9, -v8, v11, 1.0
	v_fmac_f32_e32 v11, v9, v11
	v_div_scale_f32 v9, vcc, v2, s47, v2
	v_mul_f32_e32 v12, v9, v11
	v_fma_f32 v13, -v8, v12, v9
	v_fmac_f32_e32 v12, v13, v11
	v_fma_f32 v8, -v8, v12, v9
	v_div_fmas_f32 v8, v8, v11, v12
	v_div_fixup_f32 v8, v8, s47, v2
	v_and_b32_sdwa v11, v8, s55 dst_sel:DWORD dst_unused:UNUSED_PAD src0_sel:BYTE_3 src1_sel:DWORD
	v_and_b32_e32 v12, 0x7f800000, v8
	v_mov_b32_e32 v13, v3
	v_and_b32_e32 v2, 0x7fffff, v8
	v_or_b32_e32 v9, 0x7e, v11
	v_cmp_ne_u64_e32 vcc, s[16:17], v[12:13]
	s_and_saveexec_b64 s[0:1], vcc
	s_xor_b64 s[34:35], exec, s[0:1]
	s_cbranch_execz .LBB98_40
; %bb.27:                               ;   in Loop: Header=BB98_10 Depth=1
	v_and_b32_e32 v12, 0x7fffffff, v8
	v_mov_b32_e32 v13, v3
	v_cmp_gt_u64_e32 vcc, s[28:29], v[12:13]
	s_and_saveexec_b64 s[0:1], vcc
	s_xor_b64 s[36:37], exec, s[0:1]
	s_cbranch_execz .LBB98_39
; %bb.28:                               ;   in Loop: Header=BB98_10 Depth=1
	v_cmp_ne_u32_e32 vcc, 0, v8
	v_mov_b32_e32 v9, 0
	s_and_saveexec_b64 s[38:39], vcc
	s_cbranch_execz .LBB98_38
; %bb.29:                               ;   in Loop: Header=BB98_10 Depth=1
	v_bfe_u32 v8, v8, 23, 8
	v_sub_u32_e32 v12, 0x79, v8
	v_cmp_gt_u32_e32 vcc, s56, v8
	v_cndmask_b32_e32 v12, 0, v12, vcc
	v_cmp_eq_u32_e32 vcc, 0, v8
	v_cndmask_b32_e32 v12, v12, v5, vcc
	v_add_u32_e32 v9, 0xffffff81, v8
	v_or_b32_e32 v13, 0x800000, v2
	v_add_u32_e32 v8, 20, v12
	v_cndmask_b32_e32 v18, v9, v1, vcc
	v_cndmask_b32_e32 v2, v13, v2, vcc
	v_lshlrev_b64 v[8:9], v8, -1
	v_not_b32_e32 v8, v8
	v_lshrrev_b64 v[16:17], v12, v[2:3]
	v_not_b32_e32 v9, v9
	v_and_b32_e32 v8, v2, v8
	v_add_u32_e32 v13, 19, v12
	v_lshrrev_b32_e32 v2, 23, v16
	v_and_b32_e32 v9, 0, v9
	v_lshlrev_b64 v[14:15], v13, 1
	v_add3_u32 v13, v12, v18, v2
	v_bfe_u32 v2, v16, 20, 1
	v_add_u32_e32 v2, -1, v2
	v_cmp_eq_u64_e32 vcc, v[8:9], v[14:15]
	v_cndmask_b32_e32 v2, 0, v2, vcc
	v_add_u32_e32 v2, v2, v16
	v_and_b32_e32 v2, 0xfffff, v2
	v_add_co_u32_e32 v8, vcc, v2, v16
	v_add_u32_e32 v12, 6, v13
	v_addc_co_u32_e32 v9, vcc, 0, v17, vcc
	v_cmp_ne_u32_e32 vcc, 0, v12
                                        ; implicit-def: $vgpr2
	s_and_saveexec_b64 s[0:1], vcc
	s_xor_b64 s[0:1], exec, s[0:1]
; %bb.30:                               ;   in Loop: Header=BB98_10 Depth=1
	v_add_u32_e32 v2, 7, v13
	v_cmp_lt_u64_e32 vcc, s[30:31], v[8:9]
	v_cndmask_b32_e32 v2, v12, v2, vcc
	v_cndmask_b32_e64 v12, 0, 1, vcc
	v_lshrrev_b64 v[8:9], v12, v[8:9]
; %bb.31:                               ;   in Loop: Header=BB98_10 Depth=1
	s_andn2_saveexec_b64 s[0:1], s[0:1]
; %bb.32:                               ;   in Loop: Header=BB98_10 Depth=1
	v_bfe_u32 v2, v8, 23, 1
; %bb.33:                               ;   in Loop: Header=BB98_10 Depth=1
	s_or_b64 exec, exec, s[0:1]
	v_lshrrev_b64 v[8:9], 20, v[8:9]
	v_cmp_gt_i32_e32 vcc, 16, v2
	v_cndmask_b32_e32 v9, 0, v9, vcc
	v_cndmask_b32_e32 v8, 7, v8, vcc
	v_cmp_ne_u32_e32 vcc, 0, v2
	v_cmp_ne_u64_e64 s[0:1], 0, v[8:9]
	s_or_b64 s[0:1], vcc, s[0:1]
                                        ; implicit-def: $vgpr9
	s_and_saveexec_b64 s[58:59], s[0:1]
	s_xor_b64 s[0:1], exec, s[58:59]
; %bb.34:                               ;   in Loop: Header=BB98_10 Depth=1
	v_min_i32_e32 v2, 15, v2
	v_lshl_or_b32 v2, v2, 3, v11
	v_and_or_b32 v9, v8, 7, v2
                                        ; implicit-def: $vgpr11
; %bb.35:                               ;   in Loop: Header=BB98_10 Depth=1
	s_andn2_saveexec_b64 s[0:1], s[0:1]
; %bb.36:                               ;   in Loop: Header=BB98_10 Depth=1
	v_mov_b32_e32 v9, v11
; %bb.37:                               ;   in Loop: Header=BB98_10 Depth=1
	s_or_b64 exec, exec, s[0:1]
.LBB98_38:                              ;   in Loop: Header=BB98_10 Depth=1
	s_or_b64 exec, exec, s[38:39]
.LBB98_39:                              ;   in Loop: Header=BB98_10 Depth=1
	s_andn2_saveexec_b64 s[0:1], s[36:37]
	s_or_b64 exec, exec, s[0:1]
                                        ; implicit-def: $vgpr8
.LBB98_40:                              ;   in Loop: Header=BB98_10 Depth=1
	s_andn2_saveexec_b64 s[0:1], s[34:35]
	s_cbranch_execz .LBB98_9
; %bb.41:                               ;   in Loop: Header=BB98_10 Depth=1
	v_or_b32_sdwa v8, v8, s57 dst_sel:DWORD dst_unused:UNUSED_PAD src0_sel:BYTE_3 src1_sel:DWORD
	v_cmp_eq_u64_e32 vcc, 0, v[2:3]
	v_cndmask_b32_e32 v9, v8, v9, vcc
	s_branch .LBB98_9
.LBB98_42:
	s_or_b64 exec, exec, s[26:27]
	v_cmp_gt_i32_e32 vcc, s10, v0
	s_and_saveexec_b64 s[0:1], vcc
	s_cbranch_execz .LBB98_61
; %bb.43:
	s_mul_i32 s0, s6, s15
	s_mul_hi_u32 s1, s6, s14
	s_add_i32 s1, s1, s0
	s_mul_i32 s0, s6, s14
	s_lshl_b64 s[0:1], s[0:1], 1
	s_add_u32 s18, s18, s0
	s_addc_u32 s0, s19, s1
	s_ashr_i32 s1, s8, 31
	s_mul_i32 s1, s22, s1
	s_add_i32 s1, s42, s1
	s_add_i32 s1, s1, s43
	s_add_u32 s2, s2, s44
	s_addc_u32 s1, s3, s1
	s_ashr_i32 s3, s9, 31
	s_load_dword s4, s[4:5], 0x8c
	s_mul_i32 s11, s11, s3
	s_waitcnt lgkmcnt(0)
	s_load_dword s20, s[24:25], 0x0
	s_add_i32 s3, s41, s11
	s_add_i32 s3, s3, s23
	s_add_u32 s11, s2, s40
	s_addc_u32 s19, s1, s3
	s_and_b32 s21, s4, 0xffff
	s_mov_b64 s[2:3], 0
	v_mov_b32_e32 v6, s0
	v_mov_b32_e32 v3, 0
	s_movk_i32 s22, 0x80
	s_mov_b64 s[4:5], 0x7f800000
	s_mov_b64 s[6:7], 0x43e00001
	s_movk_i32 s23, 0x7a
	s_mov_b64 s[8:9], 0xffffff
	s_movk_i32 s24, 0x7f
	v_mov_b32_e32 v7, 0xffffff82
	v_mov_b32_e32 v8, 0x78
	s_branch .LBB98_45
.LBB98_44:                              ;   in Loop: Header=BB98_45 Depth=1
	s_or_b64 exec, exec, s[0:1]
	v_mov_b32_e32 v2, s19
	v_add_co_u32_e32 v10, vcc, s11, v0
	v_addc_co_u32_e32 v11, vcc, v2, v1, vcc
	v_add_u32_e32 v0, s21, v0
	v_cmp_le_i32_e32 vcc, s10, v0
	s_or_b64 s[2:3], vcc, s[2:3]
	global_store_byte v[10:11], v5, off
	s_andn2_b64 exec, exec, s[2:3]
	s_cbranch_execz .LBB98_61
.LBB98_45:                              ; =>This Inner Loop Header: Depth=1
	v_ashrrev_i32_e32 v1, 31, v0
	v_lshlrev_b64 v[4:5], 1, v[0:1]
	v_add_co_u32_e32 v4, vcc, s18, v4
	v_addc_co_u32_e32 v5, vcc, v6, v5, vcc
	global_load_ushort v2, v[4:5], off
	v_mov_b32_e32 v11, v3
	s_waitcnt vmcnt(0)
	v_lshlrev_b32_e32 v2, 16, v2
	s_waitcnt lgkmcnt(0)
	v_div_scale_f32 v4, s[0:1], s20, s20, v2
	v_rcp_f32_e32 v5, v4
	v_div_scale_f32 v9, vcc, v2, s20, v2
	v_fma_f32 v10, -v4, v5, 1.0
	v_fmac_f32_e32 v5, v10, v5
	v_mul_f32_e32 v10, v9, v5
	v_fma_f32 v12, -v4, v10, v9
	v_fmac_f32_e32 v10, v12, v5
	v_fma_f32 v4, -v4, v10, v9
	v_div_fmas_f32 v4, v4, v5, v10
	v_div_fixup_f32 v4, v4, s20, v2
	v_and_b32_sdwa v9, v4, s22 dst_sel:DWORD dst_unused:UNUSED_PAD src0_sel:BYTE_3 src1_sel:DWORD
	v_and_b32_e32 v10, 0x7f800000, v4
	v_and_b32_e32 v2, 0x7fffff, v4
	v_or_b32_e32 v5, 0x7e, v9
	v_cmp_ne_u64_e32 vcc, s[4:5], v[10:11]
	s_and_saveexec_b64 s[0:1], vcc
	s_xor_b64 s[12:13], exec, s[0:1]
	s_cbranch_execz .LBB98_59
; %bb.46:                               ;   in Loop: Header=BB98_45 Depth=1
	v_and_b32_e32 v10, 0x7fffffff, v4
	v_mov_b32_e32 v11, v3
	v_cmp_gt_u64_e32 vcc, s[6:7], v[10:11]
	s_and_saveexec_b64 s[0:1], vcc
	s_xor_b64 s[14:15], exec, s[0:1]
	s_cbranch_execz .LBB98_58
; %bb.47:                               ;   in Loop: Header=BB98_45 Depth=1
	v_cmp_ne_u32_e32 vcc, 0, v4
	v_mov_b32_e32 v5, 0
	s_and_saveexec_b64 s[16:17], vcc
	s_cbranch_execz .LBB98_57
; %bb.48:                               ;   in Loop: Header=BB98_45 Depth=1
	v_bfe_u32 v4, v4, 23, 8
	v_sub_u32_e32 v10, 0x79, v4
	v_cmp_gt_u32_e32 vcc, s23, v4
	v_cndmask_b32_e32 v10, 0, v10, vcc
	v_cmp_eq_u32_e32 vcc, 0, v4
	v_cndmask_b32_e32 v10, v10, v8, vcc
	v_add_u32_e32 v5, 0xffffff81, v4
	v_or_b32_e32 v11, 0x800000, v2
	v_add_u32_e32 v4, 20, v10
	v_cndmask_b32_e32 v16, v5, v7, vcc
	v_cndmask_b32_e32 v2, v11, v2, vcc
	v_lshlrev_b64 v[4:5], v4, -1
	v_not_b32_e32 v4, v4
	v_lshrrev_b64 v[14:15], v10, v[2:3]
	v_not_b32_e32 v5, v5
	v_and_b32_e32 v4, v2, v4
	v_add_u32_e32 v11, 19, v10
	v_lshrrev_b32_e32 v2, 23, v14
	v_and_b32_e32 v5, 0, v5
	v_lshlrev_b64 v[12:13], v11, 1
	v_add3_u32 v11, v10, v16, v2
	v_bfe_u32 v2, v14, 20, 1
	v_add_u32_e32 v2, -1, v2
	v_cmp_eq_u64_e32 vcc, v[4:5], v[12:13]
	v_cndmask_b32_e32 v2, 0, v2, vcc
	v_add_u32_e32 v2, v2, v14
	v_and_b32_e32 v2, 0xfffff, v2
	v_add_co_u32_e32 v4, vcc, v2, v14
	v_add_u32_e32 v10, 6, v11
	v_addc_co_u32_e32 v5, vcc, 0, v15, vcc
	v_cmp_ne_u32_e32 vcc, 0, v10
                                        ; implicit-def: $vgpr2
	s_and_saveexec_b64 s[0:1], vcc
	s_xor_b64 s[0:1], exec, s[0:1]
; %bb.49:                               ;   in Loop: Header=BB98_45 Depth=1
	v_add_u32_e32 v2, 7, v11
	v_cmp_lt_u64_e32 vcc, s[8:9], v[4:5]
	v_cndmask_b32_e32 v2, v10, v2, vcc
	v_cndmask_b32_e64 v10, 0, 1, vcc
	v_lshrrev_b64 v[4:5], v10, v[4:5]
; %bb.50:                               ;   in Loop: Header=BB98_45 Depth=1
	s_andn2_saveexec_b64 s[0:1], s[0:1]
; %bb.51:                               ;   in Loop: Header=BB98_45 Depth=1
	v_bfe_u32 v2, v4, 23, 1
; %bb.52:                               ;   in Loop: Header=BB98_45 Depth=1
	s_or_b64 exec, exec, s[0:1]
	v_lshrrev_b64 v[4:5], 20, v[4:5]
	v_cmp_gt_i32_e32 vcc, 16, v2
	v_cndmask_b32_e32 v5, 0, v5, vcc
	v_cndmask_b32_e32 v4, 7, v4, vcc
	v_cmp_ne_u32_e32 vcc, 0, v2
	v_cmp_ne_u64_e64 s[0:1], 0, v[4:5]
	s_or_b64 s[0:1], vcc, s[0:1]
                                        ; implicit-def: $vgpr5
	s_and_saveexec_b64 s[26:27], s[0:1]
	s_xor_b64 s[0:1], exec, s[26:27]
; %bb.53:                               ;   in Loop: Header=BB98_45 Depth=1
	v_min_i32_e32 v2, 15, v2
	v_lshl_or_b32 v2, v2, 3, v9
	v_and_or_b32 v5, v4, 7, v2
                                        ; implicit-def: $vgpr9
; %bb.54:                               ;   in Loop: Header=BB98_45 Depth=1
	s_andn2_saveexec_b64 s[0:1], s[0:1]
; %bb.55:                               ;   in Loop: Header=BB98_45 Depth=1
	v_mov_b32_e32 v5, v9
; %bb.56:                               ;   in Loop: Header=BB98_45 Depth=1
	s_or_b64 exec, exec, s[0:1]
.LBB98_57:                              ;   in Loop: Header=BB98_45 Depth=1
	s_or_b64 exec, exec, s[16:17]
.LBB98_58:                              ;   in Loop: Header=BB98_45 Depth=1
	s_andn2_saveexec_b64 s[0:1], s[14:15]
	s_or_b64 exec, exec, s[0:1]
                                        ; implicit-def: $vgpr4
.LBB98_59:                              ;   in Loop: Header=BB98_45 Depth=1
	s_andn2_saveexec_b64 s[0:1], s[12:13]
	s_cbranch_execz .LBB98_44
; %bb.60:                               ;   in Loop: Header=BB98_45 Depth=1
	v_or_b32_sdwa v4, v4, s24 dst_sel:DWORD dst_unused:UNUSED_PAD src0_sel:BYTE_3 src1_sel:DWORD
	v_cmp_eq_u64_e32 vcc, 0, v[2:3]
	v_cndmask_b32_e32 v5, v4, v5, vcc
	s_branch .LBB98_44
.LBB98_61:
	s_endpgm
.LBB98_62:
                                        ; implicit-def: $sgpr22_sgpr23
	s_branch .LBB98_6
	.section	.rodata,"a",@progbits
	.p2align	6, 0x0
	.amdhsa_kernel _ZN4vllm38concat_and_cache_mla_rope_fused_kernelIN3c104HalfES2_Lb1E14__hip_bfloat16hLNS_18Fp8KVCacheDataTypeE1EEEvPKlPT_S8_PKS7_PKT0_illlliPT3_S6_iiiiPKf
		.amdhsa_group_segment_fixed_size 0
		.amdhsa_private_segment_fixed_size 0
		.amdhsa_kernarg_size 384
		.amdhsa_user_sgpr_count 6
		.amdhsa_user_sgpr_private_segment_buffer 1
		.amdhsa_user_sgpr_dispatch_ptr 0
		.amdhsa_user_sgpr_queue_ptr 0
		.amdhsa_user_sgpr_kernarg_segment_ptr 1
		.amdhsa_user_sgpr_dispatch_id 0
		.amdhsa_user_sgpr_flat_scratch_init 0
		.amdhsa_user_sgpr_kernarg_preload_length 0
		.amdhsa_user_sgpr_kernarg_preload_offset 0
		.amdhsa_user_sgpr_private_segment_size 0
		.amdhsa_uses_dynamic_stack 0
		.amdhsa_system_sgpr_private_segment_wavefront_offset 0
		.amdhsa_system_sgpr_workgroup_id_x 1
		.amdhsa_system_sgpr_workgroup_id_y 0
		.amdhsa_system_sgpr_workgroup_id_z 0
		.amdhsa_system_sgpr_workgroup_info 0
		.amdhsa_system_vgpr_workitem_id 0
		.amdhsa_next_free_vgpr 20
		.amdhsa_next_free_sgpr 60
		.amdhsa_accum_offset 20
		.amdhsa_reserve_vcc 1
		.amdhsa_reserve_flat_scratch 0
		.amdhsa_float_round_mode_32 0
		.amdhsa_float_round_mode_16_64 0
		.amdhsa_float_denorm_mode_32 3
		.amdhsa_float_denorm_mode_16_64 3
		.amdhsa_dx10_clamp 1
		.amdhsa_ieee_mode 1
		.amdhsa_fp16_overflow 0
		.amdhsa_tg_split 0
		.amdhsa_exception_fp_ieee_invalid_op 0
		.amdhsa_exception_fp_denorm_src 0
		.amdhsa_exception_fp_ieee_div_zero 0
		.amdhsa_exception_fp_ieee_overflow 0
		.amdhsa_exception_fp_ieee_underflow 0
		.amdhsa_exception_fp_ieee_inexact 0
		.amdhsa_exception_int_div_zero 0
	.end_amdhsa_kernel
	.section	.text._ZN4vllm38concat_and_cache_mla_rope_fused_kernelIN3c104HalfES2_Lb1E14__hip_bfloat16hLNS_18Fp8KVCacheDataTypeE1EEEvPKlPT_S8_PKS7_PKT0_illlliPT3_S6_iiiiPKf,"axG",@progbits,_ZN4vllm38concat_and_cache_mla_rope_fused_kernelIN3c104HalfES2_Lb1E14__hip_bfloat16hLNS_18Fp8KVCacheDataTypeE1EEEvPKlPT_S8_PKS7_PKT0_illlliPT3_S6_iiiiPKf,comdat
.Lfunc_end98:
	.size	_ZN4vllm38concat_and_cache_mla_rope_fused_kernelIN3c104HalfES2_Lb1E14__hip_bfloat16hLNS_18Fp8KVCacheDataTypeE1EEEvPKlPT_S8_PKS7_PKT0_illlliPT3_S6_iiiiPKf, .Lfunc_end98-_ZN4vllm38concat_and_cache_mla_rope_fused_kernelIN3c104HalfES2_Lb1E14__hip_bfloat16hLNS_18Fp8KVCacheDataTypeE1EEEvPKlPT_S8_PKS7_PKT0_illlliPT3_S6_iiiiPKf
                                        ; -- End function
	.section	.AMDGPU.csdata,"",@progbits
; Kernel info:
; codeLenInByte = 3632
; NumSgprs: 64
; NumVgprs: 20
; NumAgprs: 0
; TotalNumVgprs: 20
; ScratchSize: 0
; MemoryBound: 0
; FloatMode: 240
; IeeeMode: 1
; LDSByteSize: 0 bytes/workgroup (compile time only)
; SGPRBlocks: 7
; VGPRBlocks: 2
; NumSGPRsForWavesPerEU: 64
; NumVGPRsForWavesPerEU: 20
; AccumOffset: 20
; Occupancy: 8
; WaveLimiterHint : 1
; COMPUTE_PGM_RSRC2:SCRATCH_EN: 0
; COMPUTE_PGM_RSRC2:USER_SGPR: 6
; COMPUTE_PGM_RSRC2:TRAP_HANDLER: 0
; COMPUTE_PGM_RSRC2:TGID_X_EN: 1
; COMPUTE_PGM_RSRC2:TGID_Y_EN: 0
; COMPUTE_PGM_RSRC2:TGID_Z_EN: 0
; COMPUTE_PGM_RSRC2:TIDIG_COMP_CNT: 0
; COMPUTE_PGM_RSRC3_GFX90A:ACCUM_OFFSET: 4
; COMPUTE_PGM_RSRC3_GFX90A:TG_SPLIT: 0
	.section	.text._ZN4vllm38concat_and_cache_mla_rope_fused_kernelIN3c104HalfES2_Lb0E14__hip_bfloat16hLNS_18Fp8KVCacheDataTypeE1EEEvPKlPT_S8_PKS7_PKT0_illlliPT3_S6_iiiiPKf,"axG",@progbits,_ZN4vllm38concat_and_cache_mla_rope_fused_kernelIN3c104HalfES2_Lb0E14__hip_bfloat16hLNS_18Fp8KVCacheDataTypeE1EEEvPKlPT_S8_PKS7_PKT0_illlliPT3_S6_iiiiPKf,comdat
	.protected	_ZN4vllm38concat_and_cache_mla_rope_fused_kernelIN3c104HalfES2_Lb0E14__hip_bfloat16hLNS_18Fp8KVCacheDataTypeE1EEEvPKlPT_S8_PKS7_PKT0_illlliPT3_S6_iiiiPKf ; -- Begin function _ZN4vllm38concat_and_cache_mla_rope_fused_kernelIN3c104HalfES2_Lb0E14__hip_bfloat16hLNS_18Fp8KVCacheDataTypeE1EEEvPKlPT_S8_PKS7_PKT0_illlliPT3_S6_iiiiPKf
	.globl	_ZN4vllm38concat_and_cache_mla_rope_fused_kernelIN3c104HalfES2_Lb0E14__hip_bfloat16hLNS_18Fp8KVCacheDataTypeE1EEEvPKlPT_S8_PKS7_PKT0_illlliPT3_S6_iiiiPKf
	.p2align	8
	.type	_ZN4vllm38concat_and_cache_mla_rope_fused_kernelIN3c104HalfES2_Lb0E14__hip_bfloat16hLNS_18Fp8KVCacheDataTypeE1EEEvPKlPT_S8_PKS7_PKT0_illlliPT3_S6_iiiiPKf,@function
_ZN4vllm38concat_and_cache_mla_rope_fused_kernelIN3c104HalfES2_Lb0E14__hip_bfloat16hLNS_18Fp8KVCacheDataTypeE1EEEvPKlPT_S8_PKS7_PKT0_illlliPT3_S6_iiiiPKf: ; @_ZN4vllm38concat_and_cache_mla_rope_fused_kernelIN3c104HalfES2_Lb0E14__hip_bfloat16hLNS_18Fp8KVCacheDataTypeE1EEEvPKlPT_S8_PKS7_PKT0_illlliPT3_S6_iiiiPKf
; %bb.0:
	s_load_dwordx2 s[2:3], s[4:5], 0x60
	s_mov_b32 s7, 0
	s_lshl_b64 s[0:1], s[6:7], 3
	s_waitcnt lgkmcnt(0)
	s_add_u32 s2, s2, s0
	s_addc_u32 s3, s3, s1
	s_load_dwordx2 s[26:27], s[2:3], 0x0
	s_waitcnt lgkmcnt(0)
	v_cmp_lt_i64_e64 s[2:3], s[26:27], 0
	s_and_b64 vcc, exec, s[2:3]
	s_cbranch_vccnz .LBB99_61
; %bb.1:
	s_load_dword s7, s[4:5], 0x28
	s_load_dwordx2 s[2:3], s[4:5], 0x0
	s_load_dwordx4 s[16:19], s[4:5], 0x10
	v_lshlrev_b32_e32 v3, 1, v0
	s_waitcnt lgkmcnt(0)
	s_ashr_i32 s22, s7, 31
	s_add_u32 s0, s2, s0
	s_addc_u32 s1, s3, s1
	s_load_dwordx2 s[20:21], s[0:1], 0x0
	s_load_dwordx2 s[28:29], s[4:5], 0x20
	s_load_dwordx8 s[8:15], s[4:5], 0x30
	s_load_dwordx2 s[2:3], s[4:5], 0x58
	s_load_dword s23, s[4:5], 0x50
	s_waitcnt lgkmcnt(0)
	s_mul_i32 s0, s20, s22
	s_mul_hi_u32 s1, s20, s7
	s_mul_i32 s21, s21, s7
	s_add_i32 s0, s1, s0
	s_add_i32 s31, s0, s21
	s_lshr_b32 s0, s7, 31
	s_mul_i32 s30, s20, s7
	s_add_i32 s7, s7, s0
	s_ashr_i32 s20, s7, 1
	s_mul_i32 s7, s20, s23
	v_cmp_gt_i32_e32 vcc, s7, v0
	s_and_saveexec_b64 s[0:1], vcc
	s_cbranch_execz .LBB99_4
; %bb.2:
	s_lshl_b64 s[22:23], s[30:31], 1
	s_add_u32 s24, s28, s22
	s_addc_u32 s38, s29, s23
	s_load_dwordx2 s[22:23], s[4:5], 0x8
	s_load_dword s34, s[4:5], 0x8c
	s_mul_i32 s9, s6, s9
	s_mul_hi_u32 s25, s6, s8
	s_add_i32 s9, s25, s9
	s_mul_i32 s8, s6, s8
	s_ashr_i32 s21, s20, 31
	s_lshl_b64 s[8:9], s[8:9], 1
	s_waitcnt lgkmcnt(0)
	s_add_u32 s25, s22, s8
	s_addc_u32 s39, s23, s9
	s_abs_i32 s33, s20
	v_cvt_f32_u32_e32 v1, s33
	s_sub_i32 s8, 0, s33
	s_and_b32 s34, s34, 0xffff
	s_lshl_b64 s[22:23], s[20:21], 1
	v_rcp_iflag_f32_e32 v1, v1
	s_sub_i32 s35, 0, s20
	s_lshl_b32 s37, s34, 1
	v_mov_b32_e32 v5, s38
	v_mul_f32_e32 v1, 0x4f7ffffe, v1
	v_cvt_u32_f32_e32 v1, v1
	v_mov_b32_e32 v6, s23
	v_mov_b32_e32 v7, s39
	v_mov_b32_e32 v4, v0
	v_mul_lo_u32 v2, s8, v1
	v_mul_hi_u32 v2, v1, v2
	s_lshl_b32 s8, s20, 1
	v_add_u32_e32 v1, v1, v2
	s_sub_i32 s36, 0, s8
	s_mov_b64 s[8:9], 0
	v_mov_b32_e32 v2, v3
.LBB99_3:                               ; =>This Inner Loop Header: Depth=1
	v_sub_u32_e32 v9, 0, v4
	v_max_i32_e32 v9, v4, v9
	v_mul_hi_u32 v10, v9, v1
	v_mul_lo_u32 v11, v10, s33
	v_sub_u32_e32 v9, v9, v11
	v_add_u32_e32 v12, 1, v10
	v_cmp_le_u32_e32 vcc, s33, v9
	v_subrev_u32_e32 v11, s33, v9
	v_cndmask_b32_e32 v10, v10, v12, vcc
	v_cndmask_b32_e32 v9, v9, v11, vcc
	v_ashrrev_i32_e32 v8, 31, v4
	v_add_u32_e32 v11, 1, v10
	v_cmp_le_u32_e32 vcc, s33, v9
	v_xor_b32_e32 v8, s21, v8
	v_cndmask_b32_e32 v9, v10, v11, vcc
	v_xor_b32_e32 v9, v9, v8
	v_sub_u32_e32 v12, v9, v8
	v_mad_u64_u32 v[8:9], s[38:39], s35, v12, v[4:5]
	v_ashrrev_i32_e32 v9, 31, v8
	v_lshlrev_b64 v[8:9], 1, v[8:9]
	v_ashrrev_i32_e32 v14, 31, v12
	v_add_co_u32_e32 v8, vcc, s24, v8
	v_mul_lo_u32 v15, v12, s11
	v_mad_u64_u32 v[10:11], s[38:39], v12, s10, 0
	v_mul_lo_u32 v14, v14, s10
	v_addc_co_u32_e32 v9, vcc, v5, v9, vcc
	v_add3_u32 v11, v11, v15, v14
	v_add_co_u32_e32 v14, vcc, s22, v8
	v_mad_u64_u32 v[12:13], s[38:39], s36, v12, v[2:3]
	v_lshlrev_b64 v[10:11], 1, v[10:11]
	v_addc_co_u32_e32 v15, vcc, v9, v6, vcc
	v_ashrrev_i32_e32 v13, 31, v12
	v_add_co_u32_e32 v10, vcc, s25, v10
	v_lshlrev_b64 v[12:13], 1, v[12:13]
	v_addc_co_u32_e32 v11, vcc, v7, v11, vcc
	global_load_ushort v16, v[8:9], off
	global_load_ushort v17, v[14:15], off
	v_add_co_u32_e32 v8, vcc, v10, v12
	v_addc_co_u32_e32 v9, vcc, v11, v13, vcc
	global_load_dword v10, v[8:9], off
	v_add_u32_e32 v4, s34, v4
	v_cmp_le_i32_e32 vcc, s7, v4
	v_add_u32_e32 v2, s37, v2
	s_or_b64 s[8:9], vcc, s[8:9]
	s_waitcnt vmcnt(0)
	v_mul_f16_sdwa v11, v17, v10 dst_sel:DWORD dst_unused:UNUSED_PAD src0_sel:DWORD src1_sel:WORD_1
	v_mul_f16_sdwa v12, v16, v10 dst_sel:DWORD dst_unused:UNUSED_PAD src0_sel:DWORD src1_sel:WORD_1
	v_fma_f16 v11, v16, v10, -v11
	v_fma_f16 v10, v17, v10, v12
	v_pack_b32_f16 v10, v11, v10
	global_store_dword v[8:9], v10, off
	s_andn2_b64 exec, exec, s[8:9]
	s_cbranch_execnz .LBB99_3
.LBB99_4:
	s_or_b64 exec, exec, s[0:1]
	s_load_dwordx4 s[8:11], s[4:5], 0x68
	s_waitcnt lgkmcnt(0)
	s_ashr_i32 s35, s11, 31
	s_mov_b32 s34, s11
	s_or_b64 s[0:1], s[26:27], s[34:35]
	s_mov_b32 s0, 0
	s_cmp_lg_u64 s[0:1], 0
	s_cbranch_scc0 .LBB99_62
; %bb.5:
	s_add_u32 s0, s34, s35
	s_mov_b32 s22, s35
	s_mov_b32 s23, s35
	s_addc_u32 s1, s35, s35
	s_xor_b64 s[36:37], s[0:1], s[22:23]
	v_cvt_f32_u32_e32 v1, s36
	v_cvt_f32_u32_e32 v2, s37
	s_sub_u32 s0, 0, s36
	s_subb_u32 s1, 0, s37
	v_madmk_f32 v1, v2, 0x4f800000, v1
	v_rcp_f32_e32 v1, v1
	v_mul_f32_e32 v1, 0x5f7ffffc, v1
	v_mul_f32_e32 v2, 0x2f800000, v1
	v_trunc_f32_e32 v2, v2
	v_madmk_f32 v1, v2, 0xcf800000, v1
	v_cvt_u32_f32_e32 v2, v2
	v_cvt_u32_f32_e32 v1, v1
	v_readfirstlane_b32 s7, v2
	v_readfirstlane_b32 s11, v1
	s_mul_i32 s21, s0, s7
	s_mul_hi_u32 s38, s0, s11
	s_mul_i32 s33, s1, s11
	s_add_i32 s21, s38, s21
	s_add_i32 s21, s21, s33
	s_mul_i32 s39, s0, s11
	s_mul_hi_u32 s33, s11, s21
	s_mul_i32 s38, s11, s21
	s_mul_hi_u32 s11, s11, s39
	s_add_u32 s11, s11, s38
	s_addc_u32 s33, 0, s33
	s_mul_hi_u32 s40, s7, s39
	s_mul_i32 s39, s7, s39
	s_add_u32 s11, s11, s39
	s_mul_hi_u32 s38, s7, s21
	s_addc_u32 s11, s33, s40
	s_addc_u32 s33, s38, 0
	s_mul_i32 s21, s7, s21
	s_add_u32 s11, s11, s21
	s_addc_u32 s21, 0, s33
	v_add_co_u32_e32 v1, vcc, s11, v1
	s_cmp_lg_u64 vcc, 0
	s_addc_u32 s7, s7, s21
	v_readfirstlane_b32 s21, v1
	s_mul_i32 s11, s0, s7
	s_mul_hi_u32 s33, s0, s21
	s_add_i32 s11, s33, s11
	s_mul_i32 s1, s1, s21
	s_add_i32 s11, s11, s1
	s_mul_i32 s0, s0, s21
	s_mul_hi_u32 s33, s7, s0
	s_mul_i32 s38, s7, s0
	s_mul_i32 s40, s21, s11
	s_mul_hi_u32 s0, s21, s0
	s_mul_hi_u32 s39, s21, s11
	s_add_u32 s0, s0, s40
	s_addc_u32 s21, 0, s39
	s_add_u32 s0, s0, s38
	s_mul_hi_u32 s1, s7, s11
	s_addc_u32 s0, s21, s33
	s_addc_u32 s1, s1, 0
	s_mul_i32 s11, s7, s11
	s_add_u32 s0, s0, s11
	s_addc_u32 s1, 0, s1
	v_add_co_u32_e32 v1, vcc, s0, v1
	s_cmp_lg_u64 vcc, 0
	s_addc_u32 s7, s7, s1
	s_ashr_i32 s38, s27, 31
	s_add_u32 s0, s26, s38
	s_mov_b32 s39, s38
	s_addc_u32 s1, s27, s38
	s_xor_b64 s[40:41], s[0:1], s[38:39]
	v_readfirstlane_b32 s11, v1
	s_mul_i32 s1, s40, s7
	s_mul_hi_u32 s21, s40, s11
	s_mul_hi_u32 s0, s40, s7
	s_add_u32 s1, s21, s1
	s_addc_u32 s0, 0, s0
	s_mul_hi_u32 s33, s41, s11
	s_mul_i32 s11, s41, s11
	s_add_u32 s1, s1, s11
	s_mul_hi_u32 s21, s41, s7
	s_addc_u32 s0, s0, s33
	s_addc_u32 s1, s21, 0
	s_mul_i32 s7, s41, s7
	s_add_u32 s7, s0, s7
	s_addc_u32 s11, 0, s1
	s_mul_i32 s0, s36, s11
	s_mul_hi_u32 s1, s36, s7
	s_add_i32 s0, s1, s0
	s_mul_i32 s1, s37, s7
	s_add_i32 s21, s0, s1
	s_mul_i32 s1, s36, s7
	v_mov_b32_e32 v1, s1
	s_sub_i32 s0, s41, s21
	v_sub_co_u32_e32 v1, vcc, s40, v1
	s_cmp_lg_u64 vcc, 0
	s_subb_u32 s33, s0, s37
	v_subrev_co_u32_e64 v2, s[0:1], s36, v1
	s_cmp_lg_u64 s[0:1], 0
	s_subb_u32 s0, s33, 0
	s_cmp_ge_u32 s0, s37
	v_readfirstlane_b32 s33, v2
	s_cselect_b32 s1, -1, 0
	s_cmp_ge_u32 s33, s36
	s_cselect_b32 s33, -1, 0
	s_cmp_eq_u32 s0, s37
	s_cselect_b32 s0, s33, s1
	s_add_u32 s1, s7, 1
	s_addc_u32 s33, s11, 0
	s_add_u32 s40, s7, 2
	s_addc_u32 s42, s11, 0
	s_cmp_lg_u32 s0, 0
	s_cselect_b32 s0, s40, s1
	s_cselect_b32 s1, s42, s33
	s_cmp_lg_u64 vcc, 0
	s_subb_u32 s21, s41, s21
	s_cmp_ge_u32 s21, s37
	v_readfirstlane_b32 s40, v1
	s_cselect_b32 s33, -1, 0
	s_cmp_ge_u32 s40, s36
	s_cselect_b32 s36, -1, 0
	s_cmp_eq_u32 s21, s37
	s_cselect_b32 s21, s36, s33
	s_cmp_lg_u32 s21, 0
	s_cselect_b32 s1, s1, s11
	s_cselect_b32 s0, s0, s7
	s_xor_b64 s[22:23], s[38:39], s[22:23]
	s_xor_b64 s[0:1], s[0:1], s[22:23]
	s_sub_u32 s22, s0, s22
	s_subb_u32 s23, s1, s23
	s_cbranch_execnz .LBB99_7
.LBB99_6:
	v_cvt_f32_u32_e32 v1, s34
	s_sub_i32 s0, 0, s34
	s_mov_b32 s23, 0
	v_rcp_iflag_f32_e32 v1, v1
	v_mul_f32_e32 v1, 0x4f7ffffe, v1
	v_cvt_u32_f32_e32 v1, v1
	v_readfirstlane_b32 s1, v1
	s_mul_i32 s0, s0, s1
	s_mul_hi_u32 s0, s1, s0
	s_add_i32 s1, s1, s0
	s_mul_hi_u32 s0, s26, s1
	s_mul_i32 s7, s0, s34
	s_sub_i32 s7, s26, s7
	s_add_i32 s1, s0, 1
	s_sub_i32 s11, s7, s34
	s_cmp_ge_u32 s7, s34
	s_cselect_b32 s0, s1, s0
	s_cselect_b32 s7, s11, s7
	s_add_i32 s1, s0, 1
	s_cmp_ge_u32 s7, s34
	s_cselect_b32 s22, s1, s0
.LBB99_7:
	s_mul_i32 s0, s22, s35
	s_mul_hi_u32 s1, s22, s34
	s_load_dwordx2 s[24:25], s[4:5], 0x78
	s_add_i32 s0, s1, s0
	s_mul_i32 s1, s23, s34
	s_add_i32 s0, s0, s1
	s_mul_i32 s1, s22, s34
	s_sub_u32 s7, s26, s1
	s_subb_u32 s11, s27, s0
	v_cmp_gt_i32_e32 vcc, s20, v0
	s_mul_hi_u32 s42, s22, s8
	s_mul_i32 s43, s23, s8
	s_mul_i32 s44, s22, s8
	s_mul_hi_u32 s33, s7, s9
	s_mul_i32 s11, s11, s9
	s_mul_i32 s23, s7, s9
	s_and_saveexec_b64 s[26:27], vcc
	s_cbranch_execz .LBB99_42
; %bb.8:
	s_ashr_i32 s0, s8, 31
	s_mul_i32 s0, s22, s0
	s_load_dword s1, s[4:5], 0x8c
	s_add_i32 s0, s42, s0
	s_add_i32 s34, s0, s43
	s_ashr_i32 s0, s9, 31
	s_mul_i32 s0, s7, s0
	s_add_i32 s0, s33, s0
	s_ashr_i32 s21, s20, 31
	s_add_i32 s35, s0, s11
	s_ashr_i32 s36, s10, 31
	s_waitcnt lgkmcnt(0)
	s_and_b32 s46, s1, 0xffff
	s_lshl_b64 s[0:1], s[30:31], 1
	s_add_u32 s0, s28, s0
	s_addc_u32 s1, s29, s1
	v_mov_b32_e32 v2, s1
	v_add_co_u32_e32 v1, vcc, s0, v3
	v_addc_co_u32_e32 v10, vcc, 0, v2, vcc
	s_lshl_b32 s48, s46, 1
	s_lshl_b64 s[0:1], s[20:21], 1
	v_add_co_u32_e32 v11, vcc, s0, v1
	s_add_u32 s0, s44, s23
	v_mov_b32_e32 v2, s1
	s_addc_u32 s1, s34, s35
	s_add_u32 s21, s2, s10
	s_addc_u32 s28, s3, s36
	s_add_u32 s0, s21, s0
	v_addc_co_u32_e32 v12, vcc, v10, v2, vcc
	s_addc_u32 s1, s28, s1
	v_mov_b32_e32 v2, s1
	v_add_co_u32_e32 v3, vcc, s0, v3
	s_mul_i32 s0, s13, s6
	s_mul_hi_u32 s1, s12, s6
	s_add_i32 s1, s1, s0
	s_mul_i32 s0, s12, s6
	v_addc_co_u32_e32 v2, vcc, 0, v2, vcc
	s_lshl_b64 s[0:1], s[0:1], 1
	v_add_co_u32_e32 v13, vcc, 1, v3
	s_add_u32 s0, s16, s0
	s_load_dword s45, s[24:25], 0x0
	v_addc_co_u32_e32 v14, vcc, 0, v2, vcc
	v_lshlrev_b32_e32 v2, 2, v0
	s_addc_u32 s1, s17, s1
	v_mov_b32_e32 v3, s1
	v_add_co_u32_e32 v2, vcc, s0, v2
	v_addc_co_u32_e32 v3, vcc, 0, v3, vcc
	v_add_co_u32_e32 v2, vcc, 2, v2
	s_mov_b32 s47, 0
	v_addc_co_u32_e32 v3, vcc, 0, v3, vcc
	s_lshl_b32 s21, s46, 2
	s_mov_b64 s[12:13], 0
	v_mov_b32_e32 v5, 0
	s_movk_i32 s49, 0x80
	s_mov_b64 s[16:17], 0x7f800000
	s_mov_b64 s[28:29], 0x43e00001
	s_movk_i32 s50, 0x7a
	s_mov_b64 s[30:31], 0xffffff
	s_movk_i32 s51, 0x7f
	v_mov_b32_e32 v15, 0xffffff82
	v_mov_b32_e32 v16, 0x78
	s_mov_b64 s[34:35], 0
	v_mov_b32_e32 v17, v0
	s_branch .LBB99_10
.LBB99_9:                               ;   in Loop: Header=BB99_10 Depth=1
	s_or_b64 exec, exec, s[0:1]
	v_add_u32_e32 v17, s46, v17
	s_add_u32 s34, s34, s48
	s_addc_u32 s35, s35, 0
	v_cmp_le_i32_e32 vcc, s20, v17
	v_mov_b32_e32 v4, s47
	s_or_b64 s[12:13], vcc, s[12:13]
	v_add_co_u32_e32 v2, vcc, s21, v2
	v_addc_co_u32_e32 v3, vcc, v3, v4, vcc
	global_store_byte v[6:7], v9, off
	s_andn2_b64 exec, exec, s[12:13]
	s_cbranch_execz .LBB99_42
.LBB99_10:                              ; =>This Inner Loop Header: Depth=1
	v_mov_b32_e32 v4, s35
	v_add_co_u32_e32 v6, vcc, s34, v1
	v_addc_co_u32_e32 v7, vcc, v10, v4, vcc
	v_add_co_u32_e32 v8, vcc, s34, v11
	v_addc_co_u32_e32 v9, vcc, v12, v4, vcc
	global_load_ushort v4, v[8:9], off
	global_load_dword v18, v[2:3], off offset:-2
	global_load_ushort v19, v[6:7], off
	v_mov_b32_e32 v21, v5
	s_waitcnt vmcnt(1)
	v_mul_f16_sdwa v6, v4, v18 dst_sel:DWORD dst_unused:UNUSED_PAD src0_sel:DWORD src1_sel:WORD_1
	s_waitcnt vmcnt(0)
	v_mul_f16_sdwa v7, v19, v18 dst_sel:DWORD dst_unused:UNUSED_PAD src0_sel:DWORD src1_sel:WORD_1
	v_fma_f16 v6, v19, v18, -v6
	v_fma_f16 v8, v4, v18, v7
	v_pack_b32_f16 v4, v6, v8
	v_lshlrev_b32_e32 v6, 16, v6
	s_waitcnt lgkmcnt(0)
	v_div_scale_f32 v7, s[0:1], s45, s45, v6
	v_rcp_f32_e32 v9, v7
	global_store_dword v[2:3], v4, off offset:-2
	v_div_scale_f32 v4, vcc, v6, s45, v6
	v_fma_f32 v18, -v7, v9, 1.0
	v_fmac_f32_e32 v9, v18, v9
	v_mul_f32_e32 v18, v4, v9
	v_fma_f32 v19, -v7, v18, v4
	v_fmac_f32_e32 v18, v19, v9
	v_fma_f32 v4, -v7, v18, v4
	v_div_fmas_f32 v4, v4, v9, v18
	v_div_fixup_f32 v6, v4, s45, v6
	v_and_b32_sdwa v9, v6, s49 dst_sel:DWORD dst_unused:UNUSED_PAD src0_sel:BYTE_3 src1_sel:DWORD
	v_and_b32_e32 v20, 0x7f800000, v6
	v_and_b32_e32 v4, 0x7fffff, v6
	v_or_b32_e32 v18, 0x7e, v9
	v_cmp_ne_u64_e32 vcc, s[16:17], v[20:21]
	s_and_saveexec_b64 s[0:1], vcc
	s_xor_b64 s[36:37], exec, s[0:1]
	s_cbranch_execz .LBB99_24
; %bb.11:                               ;   in Loop: Header=BB99_10 Depth=1
	v_and_b32_e32 v20, 0x7fffffff, v6
	v_mov_b32_e32 v21, v5
	v_cmp_gt_u64_e32 vcc, s[28:29], v[20:21]
	s_and_saveexec_b64 s[0:1], vcc
	s_xor_b64 s[38:39], exec, s[0:1]
	s_cbranch_execz .LBB99_23
; %bb.12:                               ;   in Loop: Header=BB99_10 Depth=1
	v_cmp_ne_u32_e32 vcc, 0, v6
	v_mov_b32_e32 v18, 0
	s_and_saveexec_b64 s[40:41], vcc
	s_cbranch_execz .LBB99_22
; %bb.13:                               ;   in Loop: Header=BB99_10 Depth=1
	v_bfe_u32 v6, v6, 23, 8
	v_sub_u32_e32 v18, 0x79, v6
	v_cmp_gt_u32_e32 vcc, s50, v6
	v_cndmask_b32_e32 v18, 0, v18, vcc
	v_cmp_eq_u32_e32 vcc, 0, v6
	v_cndmask_b32_e32 v18, v18, v16, vcc
	v_add_u32_e32 v7, 0xffffff81, v6
	v_or_b32_e32 v19, 0x800000, v4
	v_add_u32_e32 v6, 20, v18
	v_cndmask_b32_e32 v24, v7, v15, vcc
	v_cndmask_b32_e32 v4, v19, v4, vcc
	v_lshlrev_b64 v[6:7], v6, -1
	v_not_b32_e32 v6, v6
	v_lshrrev_b64 v[22:23], v18, v[4:5]
	v_not_b32_e32 v7, v7
	v_and_b32_e32 v6, v4, v6
	v_add_u32_e32 v19, 19, v18
	v_lshrrev_b32_e32 v4, 23, v22
	v_and_b32_e32 v7, 0, v7
	v_lshlrev_b64 v[20:21], v19, 1
	v_add3_u32 v19, v18, v24, v4
	v_bfe_u32 v4, v22, 20, 1
	v_add_u32_e32 v4, -1, v4
	v_cmp_eq_u64_e32 vcc, v[6:7], v[20:21]
	v_cndmask_b32_e32 v4, 0, v4, vcc
	v_add_u32_e32 v4, v4, v22
	v_and_b32_e32 v4, 0xfffff, v4
	v_add_co_u32_e32 v6, vcc, v4, v22
	v_add_u32_e32 v18, 6, v19
	v_addc_co_u32_e32 v7, vcc, 0, v23, vcc
	v_cmp_ne_u32_e32 vcc, 0, v18
                                        ; implicit-def: $vgpr4
	s_and_saveexec_b64 s[0:1], vcc
	s_xor_b64 s[0:1], exec, s[0:1]
; %bb.14:                               ;   in Loop: Header=BB99_10 Depth=1
	v_add_u32_e32 v4, 7, v19
	v_cmp_lt_u64_e32 vcc, s[30:31], v[6:7]
	v_cndmask_b32_e32 v4, v18, v4, vcc
	v_cndmask_b32_e64 v18, 0, 1, vcc
	v_lshrrev_b64 v[6:7], v18, v[6:7]
; %bb.15:                               ;   in Loop: Header=BB99_10 Depth=1
	s_andn2_saveexec_b64 s[0:1], s[0:1]
; %bb.16:                               ;   in Loop: Header=BB99_10 Depth=1
	v_bfe_u32 v4, v6, 23, 1
; %bb.17:                               ;   in Loop: Header=BB99_10 Depth=1
	s_or_b64 exec, exec, s[0:1]
	v_lshrrev_b64 v[6:7], 20, v[6:7]
	v_cmp_gt_i32_e32 vcc, 16, v4
	v_cndmask_b32_e32 v7, 0, v7, vcc
	v_cndmask_b32_e32 v6, 7, v6, vcc
	v_cmp_ne_u32_e32 vcc, 0, v4
	v_cmp_ne_u64_e64 s[0:1], 0, v[6:7]
	s_or_b64 s[0:1], vcc, s[0:1]
                                        ; implicit-def: $vgpr18
	s_and_saveexec_b64 s[52:53], s[0:1]
	s_xor_b64 s[0:1], exec, s[52:53]
; %bb.18:                               ;   in Loop: Header=BB99_10 Depth=1
	v_min_i32_e32 v4, 15, v4
	v_lshl_or_b32 v4, v4, 3, v9
	v_and_or_b32 v18, v6, 7, v4
                                        ; implicit-def: $vgpr9
; %bb.19:                               ;   in Loop: Header=BB99_10 Depth=1
	s_andn2_saveexec_b64 s[0:1], s[0:1]
; %bb.20:                               ;   in Loop: Header=BB99_10 Depth=1
	v_mov_b32_e32 v18, v9
; %bb.21:                               ;   in Loop: Header=BB99_10 Depth=1
	s_or_b64 exec, exec, s[0:1]
.LBB99_22:                              ;   in Loop: Header=BB99_10 Depth=1
	s_or_b64 exec, exec, s[40:41]
.LBB99_23:                              ;   in Loop: Header=BB99_10 Depth=1
	s_andn2_saveexec_b64 s[0:1], s[38:39]
	s_or_b64 exec, exec, s[0:1]
                                        ; implicit-def: $vgpr6
.LBB99_24:                              ;   in Loop: Header=BB99_10 Depth=1
	s_andn2_saveexec_b64 s[0:1], s[36:37]
; %bb.25:                               ;   in Loop: Header=BB99_10 Depth=1
	v_or_b32_sdwa v6, v6, s51 dst_sel:DWORD dst_unused:UNUSED_PAD src0_sel:BYTE_3 src1_sel:DWORD
	v_cmp_eq_u64_e32 vcc, 0, v[4:5]
	v_cndmask_b32_e32 v18, v6, v18, vcc
; %bb.26:                               ;   in Loop: Header=BB99_10 Depth=1
	s_or_b64 exec, exec, s[0:1]
	v_lshlrev_b32_e32 v8, 16, v8
	v_div_scale_f32 v9, s[0:1], s45, s45, v8
	v_rcp_f32_e32 v19, v9
	v_mov_b32_e32 v4, s35
	v_add_co_u32_e32 v6, vcc, s34, v13
	v_addc_co_u32_e32 v7, vcc, v14, v4, vcc
	v_fma_f32 v4, -v9, v19, 1.0
	v_fmac_f32_e32 v19, v4, v19
	v_div_scale_f32 v4, vcc, v8, s45, v8
	global_store_byte v[6:7], v18, off offset:-1
	v_mul_f32_e32 v18, v4, v19
	v_fma_f32 v20, -v9, v18, v4
	v_fmac_f32_e32 v18, v20, v19
	v_fma_f32 v4, -v9, v18, v4
	v_div_fmas_f32 v4, v4, v19, v18
	v_div_fixup_f32 v8, v4, s45, v8
	v_and_b32_sdwa v18, v8, s49 dst_sel:DWORD dst_unused:UNUSED_PAD src0_sel:BYTE_3 src1_sel:DWORD
	v_and_b32_e32 v20, 0x7f800000, v8
	v_mov_b32_e32 v21, v5
	v_and_b32_e32 v4, 0x7fffff, v8
	v_or_b32_e32 v9, 0x7e, v18
	v_cmp_ne_u64_e32 vcc, s[16:17], v[20:21]
	s_and_saveexec_b64 s[0:1], vcc
	s_xor_b64 s[36:37], exec, s[0:1]
	s_cbranch_execz .LBB99_40
; %bb.27:                               ;   in Loop: Header=BB99_10 Depth=1
	v_and_b32_e32 v20, 0x7fffffff, v8
	v_mov_b32_e32 v21, v5
	v_cmp_gt_u64_e32 vcc, s[28:29], v[20:21]
	s_and_saveexec_b64 s[0:1], vcc
	s_xor_b64 s[38:39], exec, s[0:1]
	s_cbranch_execz .LBB99_39
; %bb.28:                               ;   in Loop: Header=BB99_10 Depth=1
	v_cmp_ne_u32_e32 vcc, 0, v8
	v_mov_b32_e32 v9, 0
	s_and_saveexec_b64 s[40:41], vcc
	s_cbranch_execz .LBB99_38
; %bb.29:                               ;   in Loop: Header=BB99_10 Depth=1
	v_bfe_u32 v8, v8, 23, 8
	v_sub_u32_e32 v19, 0x79, v8
	v_cmp_gt_u32_e32 vcc, s50, v8
	v_cndmask_b32_e32 v19, 0, v19, vcc
	v_cmp_eq_u32_e32 vcc, 0, v8
	v_cndmask_b32_e32 v19, v19, v16, vcc
	v_add_u32_e32 v9, 0xffffff81, v8
	v_or_b32_e32 v20, 0x800000, v4
	v_add_u32_e32 v8, 20, v19
	v_cndmask_b32_e32 v21, v9, v15, vcc
	v_cndmask_b32_e32 v4, v20, v4, vcc
	v_lshlrev_b64 v[8:9], v8, -1
	v_not_b32_e32 v8, v8
	v_lshrrev_b64 v[24:25], v19, v[4:5]
	v_not_b32_e32 v9, v9
	v_and_b32_e32 v8, v4, v8
	v_add_u32_e32 v20, 19, v19
	v_lshrrev_b32_e32 v4, 23, v24
	v_and_b32_e32 v9, 0, v9
	v_lshlrev_b64 v[22:23], v20, 1
	v_add3_u32 v20, v19, v21, v4
	v_bfe_u32 v4, v24, 20, 1
	v_add_u32_e32 v4, -1, v4
	v_cmp_eq_u64_e32 vcc, v[8:9], v[22:23]
	v_cndmask_b32_e32 v4, 0, v4, vcc
	v_add_u32_e32 v4, v4, v24
	v_and_b32_e32 v4, 0xfffff, v4
	v_add_co_u32_e32 v8, vcc, v4, v24
	v_add_u32_e32 v19, 6, v20
	v_addc_co_u32_e32 v9, vcc, 0, v25, vcc
	v_cmp_ne_u32_e32 vcc, 0, v19
                                        ; implicit-def: $vgpr4
	s_and_saveexec_b64 s[0:1], vcc
	s_xor_b64 s[0:1], exec, s[0:1]
; %bb.30:                               ;   in Loop: Header=BB99_10 Depth=1
	v_add_u32_e32 v4, 7, v20
	v_cmp_lt_u64_e32 vcc, s[30:31], v[8:9]
	v_cndmask_b32_e32 v4, v19, v4, vcc
	v_cndmask_b32_e64 v19, 0, 1, vcc
	v_lshrrev_b64 v[8:9], v19, v[8:9]
; %bb.31:                               ;   in Loop: Header=BB99_10 Depth=1
	s_andn2_saveexec_b64 s[0:1], s[0:1]
; %bb.32:                               ;   in Loop: Header=BB99_10 Depth=1
	v_bfe_u32 v4, v8, 23, 1
; %bb.33:                               ;   in Loop: Header=BB99_10 Depth=1
	s_or_b64 exec, exec, s[0:1]
	v_lshrrev_b64 v[8:9], 20, v[8:9]
	v_cmp_gt_i32_e32 vcc, 16, v4
	v_cndmask_b32_e32 v9, 0, v9, vcc
	v_cndmask_b32_e32 v8, 7, v8, vcc
	v_cmp_ne_u32_e32 vcc, 0, v4
	v_cmp_ne_u64_e64 s[0:1], 0, v[8:9]
	s_or_b64 s[0:1], vcc, s[0:1]
                                        ; implicit-def: $vgpr9
	s_and_saveexec_b64 s[52:53], s[0:1]
	s_xor_b64 s[0:1], exec, s[52:53]
; %bb.34:                               ;   in Loop: Header=BB99_10 Depth=1
	v_min_i32_e32 v4, 15, v4
	v_lshl_or_b32 v4, v4, 3, v18
	v_and_or_b32 v9, v8, 7, v4
                                        ; implicit-def: $vgpr18
; %bb.35:                               ;   in Loop: Header=BB99_10 Depth=1
	s_andn2_saveexec_b64 s[0:1], s[0:1]
; %bb.36:                               ;   in Loop: Header=BB99_10 Depth=1
	v_mov_b32_e32 v9, v18
; %bb.37:                               ;   in Loop: Header=BB99_10 Depth=1
	s_or_b64 exec, exec, s[0:1]
.LBB99_38:                              ;   in Loop: Header=BB99_10 Depth=1
	s_or_b64 exec, exec, s[40:41]
.LBB99_39:                              ;   in Loop: Header=BB99_10 Depth=1
	s_andn2_saveexec_b64 s[0:1], s[38:39]
	s_or_b64 exec, exec, s[0:1]
                                        ; implicit-def: $vgpr8
.LBB99_40:                              ;   in Loop: Header=BB99_10 Depth=1
	s_andn2_saveexec_b64 s[0:1], s[36:37]
	s_cbranch_execz .LBB99_9
; %bb.41:                               ;   in Loop: Header=BB99_10 Depth=1
	v_or_b32_sdwa v8, v8, s51 dst_sel:DWORD dst_unused:UNUSED_PAD src0_sel:BYTE_3 src1_sel:DWORD
	v_cmp_eq_u64_e32 vcc, 0, v[4:5]
	v_cndmask_b32_e32 v9, v8, v9, vcc
	s_branch .LBB99_9
.LBB99_42:
	s_or_b64 exec, exec, s[26:27]
	v_cmp_gt_i32_e32 vcc, s10, v0
	s_and_saveexec_b64 s[0:1], vcc
	s_cbranch_execz .LBB99_61
; %bb.43:
	s_mul_i32 s0, s6, s15
	s_mul_hi_u32 s1, s6, s14
	s_add_i32 s1, s1, s0
	s_mul_i32 s0, s6, s14
	s_lshl_b64 s[0:1], s[0:1], 1
	s_add_u32 s18, s18, s0
	s_addc_u32 s0, s19, s1
	s_ashr_i32 s1, s8, 31
	s_mul_i32 s1, s22, s1
	s_add_i32 s1, s42, s1
	s_add_i32 s1, s1, s43
	s_add_u32 s2, s2, s44
	s_addc_u32 s1, s3, s1
	s_ashr_i32 s3, s9, 31
	s_load_dword s4, s[4:5], 0x8c
	s_mul_i32 s7, s7, s3
	s_waitcnt lgkmcnt(0)
	s_load_dword s20, s[24:25], 0x0
	s_add_i32 s3, s33, s7
	s_add_i32 s3, s3, s11
	s_add_u32 s11, s2, s23
	s_addc_u32 s19, s1, s3
	s_and_b32 s21, s4, 0xffff
	s_mov_b64 s[2:3], 0
	v_mov_b32_e32 v6, s0
	v_mov_b32_e32 v3, 0
	s_movk_i32 s22, 0x80
	s_mov_b64 s[4:5], 0x7f800000
	s_mov_b64 s[6:7], 0x43e00001
	s_movk_i32 s23, 0x7a
	s_mov_b64 s[8:9], 0xffffff
	s_movk_i32 s24, 0x7f
	v_mov_b32_e32 v7, 0xffffff82
	v_mov_b32_e32 v8, 0x78
	s_branch .LBB99_45
.LBB99_44:                              ;   in Loop: Header=BB99_45 Depth=1
	s_or_b64 exec, exec, s[0:1]
	v_mov_b32_e32 v2, s19
	v_add_co_u32_e32 v10, vcc, s11, v0
	v_addc_co_u32_e32 v11, vcc, v2, v1, vcc
	v_add_u32_e32 v0, s21, v0
	v_cmp_le_i32_e32 vcc, s10, v0
	s_or_b64 s[2:3], vcc, s[2:3]
	global_store_byte v[10:11], v5, off
	s_andn2_b64 exec, exec, s[2:3]
	s_cbranch_execz .LBB99_61
.LBB99_45:                              ; =>This Inner Loop Header: Depth=1
	v_ashrrev_i32_e32 v1, 31, v0
	v_lshlrev_b64 v[4:5], 1, v[0:1]
	v_add_co_u32_e32 v4, vcc, s18, v4
	v_addc_co_u32_e32 v5, vcc, v6, v5, vcc
	global_load_ushort v2, v[4:5], off
	v_mov_b32_e32 v11, v3
	s_waitcnt vmcnt(0)
	v_lshlrev_b32_e32 v2, 16, v2
	s_waitcnt lgkmcnt(0)
	v_div_scale_f32 v4, s[0:1], s20, s20, v2
	v_rcp_f32_e32 v5, v4
	v_div_scale_f32 v9, vcc, v2, s20, v2
	v_fma_f32 v10, -v4, v5, 1.0
	v_fmac_f32_e32 v5, v10, v5
	v_mul_f32_e32 v10, v9, v5
	v_fma_f32 v12, -v4, v10, v9
	v_fmac_f32_e32 v10, v12, v5
	v_fma_f32 v4, -v4, v10, v9
	v_div_fmas_f32 v4, v4, v5, v10
	v_div_fixup_f32 v4, v4, s20, v2
	v_and_b32_sdwa v9, v4, s22 dst_sel:DWORD dst_unused:UNUSED_PAD src0_sel:BYTE_3 src1_sel:DWORD
	v_and_b32_e32 v10, 0x7f800000, v4
	v_and_b32_e32 v2, 0x7fffff, v4
	v_or_b32_e32 v5, 0x7e, v9
	v_cmp_ne_u64_e32 vcc, s[4:5], v[10:11]
	s_and_saveexec_b64 s[0:1], vcc
	s_xor_b64 s[12:13], exec, s[0:1]
	s_cbranch_execz .LBB99_59
; %bb.46:                               ;   in Loop: Header=BB99_45 Depth=1
	v_and_b32_e32 v10, 0x7fffffff, v4
	v_mov_b32_e32 v11, v3
	v_cmp_gt_u64_e32 vcc, s[6:7], v[10:11]
	s_and_saveexec_b64 s[0:1], vcc
	s_xor_b64 s[14:15], exec, s[0:1]
	s_cbranch_execz .LBB99_58
; %bb.47:                               ;   in Loop: Header=BB99_45 Depth=1
	v_cmp_ne_u32_e32 vcc, 0, v4
	v_mov_b32_e32 v5, 0
	s_and_saveexec_b64 s[16:17], vcc
	s_cbranch_execz .LBB99_57
; %bb.48:                               ;   in Loop: Header=BB99_45 Depth=1
	v_bfe_u32 v4, v4, 23, 8
	v_sub_u32_e32 v10, 0x79, v4
	v_cmp_gt_u32_e32 vcc, s23, v4
	v_cndmask_b32_e32 v10, 0, v10, vcc
	v_cmp_eq_u32_e32 vcc, 0, v4
	v_cndmask_b32_e32 v10, v10, v8, vcc
	v_add_u32_e32 v5, 0xffffff81, v4
	v_or_b32_e32 v11, 0x800000, v2
	v_add_u32_e32 v4, 20, v10
	v_cndmask_b32_e32 v16, v5, v7, vcc
	v_cndmask_b32_e32 v2, v11, v2, vcc
	v_lshlrev_b64 v[4:5], v4, -1
	v_not_b32_e32 v4, v4
	v_lshrrev_b64 v[14:15], v10, v[2:3]
	v_not_b32_e32 v5, v5
	v_and_b32_e32 v4, v2, v4
	v_add_u32_e32 v11, 19, v10
	v_lshrrev_b32_e32 v2, 23, v14
	v_and_b32_e32 v5, 0, v5
	v_lshlrev_b64 v[12:13], v11, 1
	v_add3_u32 v11, v10, v16, v2
	v_bfe_u32 v2, v14, 20, 1
	v_add_u32_e32 v2, -1, v2
	v_cmp_eq_u64_e32 vcc, v[4:5], v[12:13]
	v_cndmask_b32_e32 v2, 0, v2, vcc
	v_add_u32_e32 v2, v2, v14
	v_and_b32_e32 v2, 0xfffff, v2
	v_add_co_u32_e32 v4, vcc, v2, v14
	v_add_u32_e32 v10, 6, v11
	v_addc_co_u32_e32 v5, vcc, 0, v15, vcc
	v_cmp_ne_u32_e32 vcc, 0, v10
                                        ; implicit-def: $vgpr2
	s_and_saveexec_b64 s[0:1], vcc
	s_xor_b64 s[0:1], exec, s[0:1]
; %bb.49:                               ;   in Loop: Header=BB99_45 Depth=1
	v_add_u32_e32 v2, 7, v11
	v_cmp_lt_u64_e32 vcc, s[8:9], v[4:5]
	v_cndmask_b32_e32 v2, v10, v2, vcc
	v_cndmask_b32_e64 v10, 0, 1, vcc
	v_lshrrev_b64 v[4:5], v10, v[4:5]
; %bb.50:                               ;   in Loop: Header=BB99_45 Depth=1
	s_andn2_saveexec_b64 s[0:1], s[0:1]
; %bb.51:                               ;   in Loop: Header=BB99_45 Depth=1
	v_bfe_u32 v2, v4, 23, 1
; %bb.52:                               ;   in Loop: Header=BB99_45 Depth=1
	s_or_b64 exec, exec, s[0:1]
	v_lshrrev_b64 v[4:5], 20, v[4:5]
	v_cmp_gt_i32_e32 vcc, 16, v2
	v_cndmask_b32_e32 v5, 0, v5, vcc
	v_cndmask_b32_e32 v4, 7, v4, vcc
	v_cmp_ne_u32_e32 vcc, 0, v2
	v_cmp_ne_u64_e64 s[0:1], 0, v[4:5]
	s_or_b64 s[0:1], vcc, s[0:1]
                                        ; implicit-def: $vgpr5
	s_and_saveexec_b64 s[26:27], s[0:1]
	s_xor_b64 s[0:1], exec, s[26:27]
; %bb.53:                               ;   in Loop: Header=BB99_45 Depth=1
	v_min_i32_e32 v2, 15, v2
	v_lshl_or_b32 v2, v2, 3, v9
	v_and_or_b32 v5, v4, 7, v2
                                        ; implicit-def: $vgpr9
; %bb.54:                               ;   in Loop: Header=BB99_45 Depth=1
	s_andn2_saveexec_b64 s[0:1], s[0:1]
; %bb.55:                               ;   in Loop: Header=BB99_45 Depth=1
	v_mov_b32_e32 v5, v9
; %bb.56:                               ;   in Loop: Header=BB99_45 Depth=1
	s_or_b64 exec, exec, s[0:1]
.LBB99_57:                              ;   in Loop: Header=BB99_45 Depth=1
	s_or_b64 exec, exec, s[16:17]
.LBB99_58:                              ;   in Loop: Header=BB99_45 Depth=1
	s_andn2_saveexec_b64 s[0:1], s[14:15]
	s_or_b64 exec, exec, s[0:1]
                                        ; implicit-def: $vgpr4
.LBB99_59:                              ;   in Loop: Header=BB99_45 Depth=1
	s_andn2_saveexec_b64 s[0:1], s[12:13]
	s_cbranch_execz .LBB99_44
; %bb.60:                               ;   in Loop: Header=BB99_45 Depth=1
	v_or_b32_sdwa v4, v4, s24 dst_sel:DWORD dst_unused:UNUSED_PAD src0_sel:BYTE_3 src1_sel:DWORD
	v_cmp_eq_u64_e32 vcc, 0, v[2:3]
	v_cndmask_b32_e32 v5, v4, v5, vcc
	s_branch .LBB99_44
.LBB99_61:
	s_endpgm
.LBB99_62:
                                        ; implicit-def: $sgpr22_sgpr23
	s_branch .LBB99_6
	.section	.rodata,"a",@progbits
	.p2align	6, 0x0
	.amdhsa_kernel _ZN4vllm38concat_and_cache_mla_rope_fused_kernelIN3c104HalfES2_Lb0E14__hip_bfloat16hLNS_18Fp8KVCacheDataTypeE1EEEvPKlPT_S8_PKS7_PKT0_illlliPT3_S6_iiiiPKf
		.amdhsa_group_segment_fixed_size 0
		.amdhsa_private_segment_fixed_size 0
		.amdhsa_kernarg_size 384
		.amdhsa_user_sgpr_count 6
		.amdhsa_user_sgpr_private_segment_buffer 1
		.amdhsa_user_sgpr_dispatch_ptr 0
		.amdhsa_user_sgpr_queue_ptr 0
		.amdhsa_user_sgpr_kernarg_segment_ptr 1
		.amdhsa_user_sgpr_dispatch_id 0
		.amdhsa_user_sgpr_flat_scratch_init 0
		.amdhsa_user_sgpr_kernarg_preload_length 0
		.amdhsa_user_sgpr_kernarg_preload_offset 0
		.amdhsa_user_sgpr_private_segment_size 0
		.amdhsa_uses_dynamic_stack 0
		.amdhsa_system_sgpr_private_segment_wavefront_offset 0
		.amdhsa_system_sgpr_workgroup_id_x 1
		.amdhsa_system_sgpr_workgroup_id_y 0
		.amdhsa_system_sgpr_workgroup_id_z 0
		.amdhsa_system_sgpr_workgroup_info 0
		.amdhsa_system_vgpr_workitem_id 0
		.amdhsa_next_free_vgpr 26
		.amdhsa_next_free_sgpr 54
		.amdhsa_accum_offset 28
		.amdhsa_reserve_vcc 1
		.amdhsa_reserve_flat_scratch 0
		.amdhsa_float_round_mode_32 0
		.amdhsa_float_round_mode_16_64 0
		.amdhsa_float_denorm_mode_32 3
		.amdhsa_float_denorm_mode_16_64 3
		.amdhsa_dx10_clamp 1
		.amdhsa_ieee_mode 1
		.amdhsa_fp16_overflow 0
		.amdhsa_tg_split 0
		.amdhsa_exception_fp_ieee_invalid_op 0
		.amdhsa_exception_fp_denorm_src 0
		.amdhsa_exception_fp_ieee_div_zero 0
		.amdhsa_exception_fp_ieee_overflow 0
		.amdhsa_exception_fp_ieee_underflow 0
		.amdhsa_exception_fp_ieee_inexact 0
		.amdhsa_exception_int_div_zero 0
	.end_amdhsa_kernel
	.section	.text._ZN4vllm38concat_and_cache_mla_rope_fused_kernelIN3c104HalfES2_Lb0E14__hip_bfloat16hLNS_18Fp8KVCacheDataTypeE1EEEvPKlPT_S8_PKS7_PKT0_illlliPT3_S6_iiiiPKf,"axG",@progbits,_ZN4vllm38concat_and_cache_mla_rope_fused_kernelIN3c104HalfES2_Lb0E14__hip_bfloat16hLNS_18Fp8KVCacheDataTypeE1EEEvPKlPT_S8_PKS7_PKT0_illlliPT3_S6_iiiiPKf,comdat
.Lfunc_end99:
	.size	_ZN4vllm38concat_and_cache_mla_rope_fused_kernelIN3c104HalfES2_Lb0E14__hip_bfloat16hLNS_18Fp8KVCacheDataTypeE1EEEvPKlPT_S8_PKS7_PKT0_illlliPT3_S6_iiiiPKf, .Lfunc_end99-_ZN4vllm38concat_and_cache_mla_rope_fused_kernelIN3c104HalfES2_Lb0E14__hip_bfloat16hLNS_18Fp8KVCacheDataTypeE1EEEvPKlPT_S8_PKS7_PKT0_illlliPT3_S6_iiiiPKf
                                        ; -- End function
	.section	.AMDGPU.csdata,"",@progbits
; Kernel info:
; codeLenInByte = 3656
; NumSgprs: 58
; NumVgprs: 26
; NumAgprs: 0
; TotalNumVgprs: 26
; ScratchSize: 0
; MemoryBound: 0
; FloatMode: 240
; IeeeMode: 1
; LDSByteSize: 0 bytes/workgroup (compile time only)
; SGPRBlocks: 7
; VGPRBlocks: 3
; NumSGPRsForWavesPerEU: 58
; NumVGPRsForWavesPerEU: 26
; AccumOffset: 28
; Occupancy: 8
; WaveLimiterHint : 1
; COMPUTE_PGM_RSRC2:SCRATCH_EN: 0
; COMPUTE_PGM_RSRC2:USER_SGPR: 6
; COMPUTE_PGM_RSRC2:TRAP_HANDLER: 0
; COMPUTE_PGM_RSRC2:TGID_X_EN: 1
; COMPUTE_PGM_RSRC2:TGID_Y_EN: 0
; COMPUTE_PGM_RSRC2:TGID_Z_EN: 0
; COMPUTE_PGM_RSRC2:TIDIG_COMP_CNT: 0
; COMPUTE_PGM_RSRC3_GFX90A:ACCUM_OFFSET: 6
; COMPUTE_PGM_RSRC3_GFX90A:TG_SPLIT: 0
	.section	.text._ZN4vllm38concat_and_cache_mla_rope_fused_kernelIN3c104HalfENS1_8BFloat16ELb1E14__hip_bfloat16hLNS_18Fp8KVCacheDataTypeE1EEEvPKlPT_S9_PKS8_PKT0_illlliPT3_S7_iiiiPKf,"axG",@progbits,_ZN4vllm38concat_and_cache_mla_rope_fused_kernelIN3c104HalfENS1_8BFloat16ELb1E14__hip_bfloat16hLNS_18Fp8KVCacheDataTypeE1EEEvPKlPT_S9_PKS8_PKT0_illlliPT3_S7_iiiiPKf,comdat
	.protected	_ZN4vllm38concat_and_cache_mla_rope_fused_kernelIN3c104HalfENS1_8BFloat16ELb1E14__hip_bfloat16hLNS_18Fp8KVCacheDataTypeE1EEEvPKlPT_S9_PKS8_PKT0_illlliPT3_S7_iiiiPKf ; -- Begin function _ZN4vllm38concat_and_cache_mla_rope_fused_kernelIN3c104HalfENS1_8BFloat16ELb1E14__hip_bfloat16hLNS_18Fp8KVCacheDataTypeE1EEEvPKlPT_S9_PKS8_PKT0_illlliPT3_S7_iiiiPKf
	.globl	_ZN4vllm38concat_and_cache_mla_rope_fused_kernelIN3c104HalfENS1_8BFloat16ELb1E14__hip_bfloat16hLNS_18Fp8KVCacheDataTypeE1EEEvPKlPT_S9_PKS8_PKT0_illlliPT3_S7_iiiiPKf
	.p2align	8
	.type	_ZN4vllm38concat_and_cache_mla_rope_fused_kernelIN3c104HalfENS1_8BFloat16ELb1E14__hip_bfloat16hLNS_18Fp8KVCacheDataTypeE1EEEvPKlPT_S9_PKS8_PKT0_illlliPT3_S7_iiiiPKf,@function
_ZN4vllm38concat_and_cache_mla_rope_fused_kernelIN3c104HalfENS1_8BFloat16ELb1E14__hip_bfloat16hLNS_18Fp8KVCacheDataTypeE1EEEvPKlPT_S9_PKS8_PKT0_illlliPT3_S7_iiiiPKf: ; @_ZN4vllm38concat_and_cache_mla_rope_fused_kernelIN3c104HalfENS1_8BFloat16ELb1E14__hip_bfloat16hLNS_18Fp8KVCacheDataTypeE1EEEvPKlPT_S9_PKS8_PKT0_illlliPT3_S7_iiiiPKf
; %bb.0:
	s_load_dwordx2 s[2:3], s[4:5], 0x60
	s_mov_b32 s7, 0
	s_lshl_b64 s[0:1], s[6:7], 3
	s_waitcnt lgkmcnt(0)
	s_add_u32 s2, s2, s0
	s_addc_u32 s3, s3, s1
	s_load_dwordx2 s[26:27], s[2:3], 0x0
	s_waitcnt lgkmcnt(0)
	v_cmp_lt_i64_e64 s[2:3], s[26:27], 0
	s_and_b64 vcc, exec, s[2:3]
	s_cbranch_vccnz .LBB100_61
; %bb.1:
	s_load_dword s22, s[4:5], 0x28
	s_load_dwordx2 s[2:3], s[4:5], 0x0
	s_load_dwordx4 s[16:19], s[4:5], 0x10
	s_waitcnt lgkmcnt(0)
	s_ashr_i32 s7, s22, 31
	s_add_u32 s0, s2, s0
	s_addc_u32 s1, s3, s1
	s_load_dwordx2 s[20:21], s[0:1], 0x0
	s_load_dwordx2 s[28:29], s[4:5], 0x20
	s_load_dwordx8 s[8:15], s[4:5], 0x30
	s_load_dwordx2 s[2:3], s[4:5], 0x58
	s_load_dword s23, s[4:5], 0x50
	s_waitcnt lgkmcnt(0)
	s_mul_i32 s0, s20, s7
	s_mul_hi_u32 s1, s20, s22
	s_mul_i32 s7, s21, s22
	s_add_i32 s0, s1, s0
	s_add_i32 s1, s0, s7
	s_mul_i32 s0, s20, s22
	s_lshl_b64 s[30:31], s[0:1], 1
	s_add_u32 s7, s28, s30
	s_addc_u32 s33, s29, s31
	s_lshr_b32 s0, s22, 31
	s_add_i32 s22, s22, s0
	s_ashr_i32 s20, s22, 1
	s_mul_i32 s24, s20, s23
	v_cmp_gt_i32_e32 vcc, s24, v0
	s_and_saveexec_b64 s[0:1], vcc
	s_cbranch_execz .LBB100_4
; %bb.2:
	s_load_dwordx2 s[22:23], s[4:5], 0x8
	s_load_dword s35, s[4:5], 0x8c
	s_mul_i32 s9, s6, s9
	s_mul_hi_u32 s25, s6, s8
	s_add_i32 s9, s25, s9
	s_mul_i32 s8, s6, s8
	s_ashr_i32 s21, s20, 31
	s_lshl_b64 s[8:9], s[8:9], 1
	s_waitcnt lgkmcnt(0)
	s_add_u32 s25, s22, s8
	s_addc_u32 s37, s23, s9
	s_abs_i32 s34, s20
	v_cvt_f32_u32_e32 v1, s34
	s_sub_i32 s22, 0, s34
	s_mov_b64 s[8:9], 0
	s_and_b32 s35, s35, 0xffff
	v_rcp_iflag_f32_e32 v2, v1
	v_mov_b32_e32 v1, s33
	s_sub_i32 s36, 0, s20
	v_mov_b32_e32 v5, s37
	v_mul_f32_e32 v2, 0x4f7ffffe, v2
	v_cvt_u32_f32_e32 v2, v2
	v_mul_lo_u32 v3, s22, v2
	v_mul_hi_u32 v3, v2, v3
	s_lshl_b64 s[22:23], s[20:21], 1
	v_add_u32_e32 v3, v2, v3
	v_mov_b32_e32 v4, s23
	v_mov_b32_e32 v2, v0
.LBB100_3:                              ; =>This Inner Loop Header: Depth=1
	v_sub_u32_e32 v7, 0, v2
	v_max_i32_e32 v7, v2, v7
	v_mul_hi_u32 v8, v7, v3
	v_mul_lo_u32 v9, v8, s34
	v_sub_u32_e32 v7, v7, v9
	v_add_u32_e32 v10, 1, v8
	v_cmp_le_u32_e32 vcc, s34, v7
	v_subrev_u32_e32 v9, s34, v7
	v_cndmask_b32_e32 v8, v8, v10, vcc
	v_cndmask_b32_e32 v7, v7, v9, vcc
	v_ashrrev_i32_e32 v6, 31, v2
	v_add_u32_e32 v9, 1, v8
	v_cmp_le_u32_e32 vcc, s34, v7
	v_xor_b32_e32 v6, s21, v6
	v_cndmask_b32_e32 v7, v8, v9, vcc
	v_xor_b32_e32 v7, v7, v6
	v_sub_u32_e32 v8, v7, v6
	v_mad_u64_u32 v[6:7], s[38:39], s36, v8, v[2:3]
	v_ashrrev_i32_e32 v10, 31, v8
	v_ashrrev_i32_e32 v7, 31, v6
	v_mul_lo_u32 v11, v8, s11
	v_mad_u64_u32 v[8:9], s[38:39], v8, s10, 0
	v_mul_lo_u32 v10, v10, s10
	v_lshlrev_b64 v[6:7], 1, v[6:7]
	v_add3_u32 v9, v9, v11, v10
	v_add_co_u32_e32 v10, vcc, s7, v6
	v_addc_co_u32_e32 v11, vcc, v1, v7, vcc
	v_add_co_u32_e32 v12, vcc, s22, v10
	v_lshlrev_b64 v[8:9], 1, v[8:9]
	v_addc_co_u32_e32 v13, vcc, v11, v4, vcc
	v_add_co_u32_e32 v8, vcc, s25, v8
	global_load_ushort v14, v[10:11], off
	global_load_ushort v15, v[12:13], off
	v_addc_co_u32_e32 v9, vcc, v5, v9, vcc
	v_add_co_u32_e32 v6, vcc, v8, v6
	v_addc_co_u32_e32 v7, vcc, v9, v7, vcc
	v_add_co_u32_e32 v8, vcc, s22, v6
	v_addc_co_u32_e32 v9, vcc, v7, v4, vcc
	global_load_ushort v10, v[6:7], off
	global_load_ushort v11, v[8:9], off
	v_add_u32_e32 v2, s35, v2
	v_cmp_le_i32_e32 vcc, s24, v2
	s_or_b64 s[8:9], vcc, s[8:9]
	s_waitcnt vmcnt(3)
	v_lshlrev_b32_e32 v12, 16, v14
	s_waitcnt vmcnt(2)
	v_lshlrev_b32_e32 v13, 16, v15
	v_cvt_f16_f32_e32 v13, v13
	v_cvt_f16_f32_e32 v12, v12
	s_waitcnt vmcnt(0)
	v_mul_f16_e32 v14, v11, v13
	v_mul_f16_e32 v13, v10, v13
	v_fma_f16 v10, v10, v12, -v14
	v_fma_f16 v11, v11, v12, v13
	global_store_short v[6:7], v10, off
	global_store_short v[8:9], v11, off
	s_andn2_b64 exec, exec, s[8:9]
	s_cbranch_execnz .LBB100_3
.LBB100_4:
	s_or_b64 exec, exec, s[0:1]
	s_load_dwordx4 s[8:11], s[4:5], 0x68
	s_waitcnt lgkmcnt(0)
	s_ashr_i32 s35, s11, 31
	s_mov_b32 s34, s11
	s_or_b64 s[0:1], s[26:27], s[34:35]
	s_mov_b32 s0, 0
	s_cmp_lg_u64 s[0:1], 0
	s_cbranch_scc0 .LBB100_62
; %bb.5:
	s_add_u32 s0, s34, s35
	s_mov_b32 s22, s35
	s_mov_b32 s23, s35
	s_addc_u32 s1, s35, s35
	s_xor_b64 s[36:37], s[0:1], s[22:23]
	v_cvt_f32_u32_e32 v1, s36
	v_cvt_f32_u32_e32 v2, s37
	s_sub_u32 s0, 0, s36
	s_subb_u32 s1, 0, s37
	v_madmk_f32 v1, v2, 0x4f800000, v1
	v_rcp_f32_e32 v1, v1
	v_mul_f32_e32 v1, 0x5f7ffffc, v1
	v_mul_f32_e32 v2, 0x2f800000, v1
	v_trunc_f32_e32 v2, v2
	v_madmk_f32 v1, v2, 0xcf800000, v1
	v_cvt_u32_f32_e32 v2, v2
	v_cvt_u32_f32_e32 v1, v1
	v_readfirstlane_b32 s11, v2
	v_readfirstlane_b32 s21, v1
	s_mul_i32 s38, s0, s11
	s_mul_hi_u32 s40, s0, s21
	s_mul_i32 s39, s1, s21
	s_add_i32 s38, s40, s38
	s_add_i32 s38, s38, s39
	s_mul_i32 s41, s0, s21
	s_mul_hi_u32 s39, s21, s38
	s_mul_i32 s40, s21, s38
	s_mul_hi_u32 s21, s21, s41
	s_add_u32 s21, s21, s40
	s_addc_u32 s39, 0, s39
	s_mul_hi_u32 s42, s11, s41
	s_mul_i32 s41, s11, s41
	s_add_u32 s21, s21, s41
	s_mul_hi_u32 s40, s11, s38
	s_addc_u32 s21, s39, s42
	s_addc_u32 s39, s40, 0
	s_mul_i32 s38, s11, s38
	s_add_u32 s21, s21, s38
	s_addc_u32 s38, 0, s39
	v_add_co_u32_e32 v1, vcc, s21, v1
	s_cmp_lg_u64 vcc, 0
	s_addc_u32 s11, s11, s38
	v_readfirstlane_b32 s38, v1
	s_mul_i32 s21, s0, s11
	s_mul_hi_u32 s39, s0, s38
	s_add_i32 s21, s39, s21
	s_mul_i32 s1, s1, s38
	s_add_i32 s21, s21, s1
	s_mul_i32 s0, s0, s38
	s_mul_hi_u32 s39, s11, s0
	s_mul_i32 s40, s11, s0
	s_mul_i32 s42, s38, s21
	s_mul_hi_u32 s0, s38, s0
	s_mul_hi_u32 s41, s38, s21
	s_add_u32 s0, s0, s42
	s_addc_u32 s38, 0, s41
	s_add_u32 s0, s0, s40
	s_mul_hi_u32 s1, s11, s21
	s_addc_u32 s0, s38, s39
	s_addc_u32 s1, s1, 0
	s_mul_i32 s21, s11, s21
	s_add_u32 s0, s0, s21
	s_addc_u32 s1, 0, s1
	v_add_co_u32_e32 v1, vcc, s0, v1
	s_cmp_lg_u64 vcc, 0
	s_addc_u32 s11, s11, s1
	s_ashr_i32 s38, s27, 31
	s_add_u32 s0, s26, s38
	s_mov_b32 s39, s38
	s_addc_u32 s1, s27, s38
	s_xor_b64 s[40:41], s[0:1], s[38:39]
	v_readfirstlane_b32 s21, v1
	s_mul_i32 s1, s40, s11
	s_mul_hi_u32 s42, s40, s21
	s_mul_hi_u32 s0, s40, s11
	s_add_u32 s1, s42, s1
	s_addc_u32 s0, 0, s0
	s_mul_hi_u32 s43, s41, s21
	s_mul_i32 s21, s41, s21
	s_add_u32 s1, s1, s21
	s_mul_hi_u32 s42, s41, s11
	s_addc_u32 s0, s0, s43
	s_addc_u32 s1, s42, 0
	s_mul_i32 s11, s41, s11
	s_add_u32 s11, s0, s11
	s_addc_u32 s21, 0, s1
	s_mul_i32 s0, s36, s21
	s_mul_hi_u32 s1, s36, s11
	s_add_i32 s0, s1, s0
	s_mul_i32 s1, s37, s11
	s_add_i32 s42, s0, s1
	s_mul_i32 s1, s36, s11
	v_mov_b32_e32 v1, s1
	s_sub_i32 s0, s41, s42
	v_sub_co_u32_e32 v1, vcc, s40, v1
	s_cmp_lg_u64 vcc, 0
	s_subb_u32 s40, s0, s37
	v_subrev_co_u32_e64 v2, s[0:1], s36, v1
	s_cmp_lg_u64 s[0:1], 0
	s_subb_u32 s0, s40, 0
	s_cmp_ge_u32 s0, s37
	v_readfirstlane_b32 s40, v2
	s_cselect_b32 s1, -1, 0
	s_cmp_ge_u32 s40, s36
	s_cselect_b32 s40, -1, 0
	s_cmp_eq_u32 s0, s37
	s_cselect_b32 s0, s40, s1
	s_add_u32 s1, s11, 1
	s_addc_u32 s40, s21, 0
	s_add_u32 s43, s11, 2
	s_addc_u32 s44, s21, 0
	s_cmp_lg_u32 s0, 0
	s_cselect_b32 s0, s43, s1
	s_cselect_b32 s1, s44, s40
	s_cmp_lg_u64 vcc, 0
	s_subb_u32 s40, s41, s42
	s_cmp_ge_u32 s40, s37
	v_readfirstlane_b32 s42, v1
	s_cselect_b32 s41, -1, 0
	s_cmp_ge_u32 s42, s36
	s_cselect_b32 s36, -1, 0
	s_cmp_eq_u32 s40, s37
	s_cselect_b32 s36, s36, s41
	s_cmp_lg_u32 s36, 0
	s_cselect_b32 s1, s1, s21
	s_cselect_b32 s0, s0, s11
	s_xor_b64 s[22:23], s[38:39], s[22:23]
	s_xor_b64 s[0:1], s[0:1], s[22:23]
	s_sub_u32 s22, s0, s22
	s_subb_u32 s23, s1, s23
	s_cbranch_execnz .LBB100_7
.LBB100_6:
	v_cvt_f32_u32_e32 v1, s34
	s_sub_i32 s0, 0, s34
	s_mov_b32 s23, 0
	v_rcp_iflag_f32_e32 v1, v1
	v_mul_f32_e32 v1, 0x4f7ffffe, v1
	v_cvt_u32_f32_e32 v1, v1
	v_readfirstlane_b32 s1, v1
	s_mul_i32 s0, s0, s1
	s_mul_hi_u32 s0, s1, s0
	s_add_i32 s1, s1, s0
	s_mul_hi_u32 s0, s26, s1
	s_mul_i32 s11, s0, s34
	s_sub_i32 s11, s26, s11
	s_add_i32 s1, s0, 1
	s_sub_i32 s21, s11, s34
	s_cmp_ge_u32 s11, s34
	s_cselect_b32 s0, s1, s0
	s_cselect_b32 s11, s21, s11
	s_add_i32 s1, s0, 1
	s_cmp_ge_u32 s11, s34
	s_cselect_b32 s22, s1, s0
.LBB100_7:
	s_mul_i32 s0, s22, s35
	s_mul_hi_u32 s1, s22, s34
	s_load_dwordx2 s[24:25], s[4:5], 0x78
	s_add_i32 s0, s1, s0
	s_mul_i32 s1, s23, s34
	s_add_i32 s0, s0, s1
	s_mul_i32 s1, s22, s34
	s_sub_u32 s11, s26, s1
	s_subb_u32 s0, s27, s0
	v_cmp_gt_i32_e32 vcc, s20, v0
	s_mul_hi_u32 s42, s22, s8
	s_mul_i32 s43, s23, s8
	s_mul_i32 s44, s22, s8
	s_mul_hi_u32 s41, s11, s9
	s_mul_i32 s23, s0, s9
	s_mul_i32 s40, s11, s9
	s_and_saveexec_b64 s[26:27], vcc
	s_cbranch_execz .LBB100_42
; %bb.8:
	s_mul_i32 s0, s6, s13
	s_mul_hi_u32 s1, s6, s12
	s_add_i32 s1, s1, s0
	s_mul_i32 s0, s6, s12
	s_ashr_i32 s21, s20, 31
	s_lshl_b64 s[0:1], s[0:1], 1
	s_add_u32 s45, s16, s0
	s_addc_u32 s46, s17, s1
	s_ashr_i32 s12, s8, 31
	s_load_dword s13, s[4:5], 0x8c
	s_mul_i32 s12, s22, s12
	s_add_i32 s12, s42, s12
	s_add_i32 s34, s12, s43
	s_ashr_i32 s12, s9, 31
	s_mul_i32 s12, s11, s12
	s_add_i32 s12, s41, s12
	s_waitcnt lgkmcnt(0)
	s_and_b32 s48, s13, 0xffff
	s_add_i32 s35, s12, s23
	s_ashr_i32 s36, s10, 31
	s_lshl_b32 s50, s48, 1
	s_lshl_b64 s[12:13], s[20:21], 1
	s_add_u32 s30, s30, s12
	s_addc_u32 s31, s31, s13
	s_add_u32 s51, s28, s30
	s_addc_u32 s52, s29, s31
	;; [unrolled: 2-line block ×5, first 2 shown]
	s_add_u32 s0, s0, s10
	s_load_dword s47, s[24:25], 0x0
	s_addc_u32 s1, s1, s36
	s_add_u32 s0, s2, s0
	s_addc_u32 s1, s3, s1
	v_mov_b32_e32 v1, s1
	v_add_co_u32_e32 v6, vcc, s0, v0
	s_mov_b32 s49, 0
	v_mov_b32_e32 v3, 0
	v_lshlrev_b32_e32 v4, 1, v0
	v_addc_co_u32_e32 v7, vcc, 0, v1, vcc
	s_mov_b64 s[12:13], 0
	s_movk_i32 s55, 0x80
	s_mov_b64 s[16:17], 0x7f800000
	s_mov_b64 s[28:29], 0x43e00001
	s_movk_i32 s56, 0x7a
	s_mov_b64 s[30:31], 0xffffff
	s_movk_i32 s57, 0x7f
	v_mov_b32_e32 v1, 0xffffff82
	v_mov_b32_e32 v5, 0x78
	;; [unrolled: 1-line block ×3, first 2 shown]
	s_branch .LBB100_10
.LBB100_9:                              ;   in Loop: Header=BB100_10 Depth=1
	s_or_b64 exec, exec, s[0:1]
	s_add_u32 s7, s7, s50
	s_addc_u32 s33, s33, 0
	s_add_u32 s51, s51, s50
	s_addc_u32 s52, s52, 0
	s_add_u32 s53, s53, s50
	v_mov_b32_e32 v2, s21
	v_add_co_u32_e32 v12, vcc, s20, v6
	s_addc_u32 s54, s54, 0
	v_addc_co_u32_e32 v13, vcc, v7, v2, vcc
	v_add_u32_e32 v10, s48, v10
	s_add_u32 s45, s45, s50
	s_addc_u32 s46, s46, 0
	v_cmp_le_i32_e32 vcc, s20, v10
	v_mov_b32_e32 v2, s49
	s_or_b64 s[12:13], vcc, s[12:13]
	v_add_co_u32_e32 v6, vcc, s48, v6
	v_addc_co_u32_e32 v7, vcc, v7, v2, vcc
	global_store_byte v[12:13], v9, off
	s_andn2_b64 exec, exec, s[12:13]
	s_cbranch_execz .LBB100_42
.LBB100_10:                             ; =>This Inner Loop Header: Depth=1
	v_mov_b32_e32 v2, s33
	v_add_co_u32_e32 v8, vcc, s7, v4
	v_addc_co_u32_e32 v9, vcc, 0, v2, vcc
	global_load_ushort v2, v[8:9], off
	v_mov_b32_e32 v9, s52
	v_add_co_u32_e32 v8, vcc, s51, v4
	v_addc_co_u32_e32 v9, vcc, 0, v9, vcc
	global_load_ushort v11, v[8:9], off
	v_mov_b32_e32 v9, s46
	v_add_co_u32_e32 v8, vcc, s45, v4
	v_addc_co_u32_e32 v9, vcc, 0, v9, vcc
	v_mov_b32_e32 v13, s54
	v_add_co_u32_e32 v12, vcc, s53, v4
	v_addc_co_u32_e32 v13, vcc, 0, v13, vcc
	global_load_ushort v14, v[12:13], off
	global_load_ushort v16, v[8:9], off
	v_mov_b32_e32 v15, v3
	s_waitcnt vmcnt(3)
	v_lshlrev_b32_e32 v2, 16, v2
	v_cvt_f16_f32_e32 v2, v2
	s_waitcnt vmcnt(2)
	v_lshlrev_b32_e32 v11, 16, v11
	v_cvt_f16_f32_e32 v11, v11
	s_waitcnt vmcnt(1)
	v_mul_f16_e32 v17, v14, v11
	s_waitcnt vmcnt(0)
	v_mul_f16_e32 v11, v16, v11
	v_fma_f16 v16, v16, v2, -v17
	v_fma_f16 v11, v14, v2, v11
	v_lshlrev_b32_e32 v2, 16, v16
	global_store_short v[8:9], v16, off
	s_waitcnt lgkmcnt(0)
	v_div_scale_f32 v8, s[0:1], s47, s47, v2
	v_rcp_f32_e32 v9, v8
	global_store_short v[12:13], v11, off
	v_div_scale_f32 v12, vcc, v2, s47, v2
	v_fma_f32 v13, -v8, v9, 1.0
	v_fmac_f32_e32 v9, v13, v9
	v_mul_f32_e32 v13, v12, v9
	v_fma_f32 v14, -v8, v13, v12
	v_fmac_f32_e32 v13, v14, v9
	v_fma_f32 v8, -v8, v13, v12
	v_div_fmas_f32 v8, v8, v9, v13
	v_div_fixup_f32 v8, v8, s47, v2
	v_and_b32_sdwa v12, v8, s55 dst_sel:DWORD dst_unused:UNUSED_PAD src0_sel:BYTE_3 src1_sel:DWORD
	v_and_b32_e32 v14, 0x7f800000, v8
	v_and_b32_e32 v2, 0x7fffff, v8
	v_or_b32_e32 v9, 0x7e, v12
	v_cmp_ne_u64_e32 vcc, s[16:17], v[14:15]
	s_and_saveexec_b64 s[0:1], vcc
	s_xor_b64 s[34:35], exec, s[0:1]
	s_cbranch_execz .LBB100_24
; %bb.11:                               ;   in Loop: Header=BB100_10 Depth=1
	v_and_b32_e32 v14, 0x7fffffff, v8
	v_mov_b32_e32 v15, v3
	v_cmp_gt_u64_e32 vcc, s[28:29], v[14:15]
	s_and_saveexec_b64 s[0:1], vcc
	s_xor_b64 s[36:37], exec, s[0:1]
	s_cbranch_execz .LBB100_23
; %bb.12:                               ;   in Loop: Header=BB100_10 Depth=1
	v_cmp_ne_u32_e32 vcc, 0, v8
	v_mov_b32_e32 v9, 0
	s_and_saveexec_b64 s[38:39], vcc
	s_cbranch_execz .LBB100_22
; %bb.13:                               ;   in Loop: Header=BB100_10 Depth=1
	v_bfe_u32 v8, v8, 23, 8
	v_sub_u32_e32 v13, 0x79, v8
	v_cmp_gt_u32_e32 vcc, s56, v8
	v_cndmask_b32_e32 v13, 0, v13, vcc
	v_cmp_eq_u32_e32 vcc, 0, v8
	v_cndmask_b32_e32 v13, v13, v5, vcc
	v_add_u32_e32 v9, 0xffffff81, v8
	v_or_b32_e32 v14, 0x800000, v2
	v_add_u32_e32 v8, 20, v13
	v_cndmask_b32_e32 v15, v9, v1, vcc
	v_cndmask_b32_e32 v2, v14, v2, vcc
	v_lshlrev_b64 v[8:9], v8, -1
	v_not_b32_e32 v8, v8
	v_lshrrev_b64 v[18:19], v13, v[2:3]
	v_not_b32_e32 v9, v9
	v_and_b32_e32 v8, v2, v8
	v_add_u32_e32 v14, 19, v13
	v_lshrrev_b32_e32 v2, 23, v18
	v_and_b32_e32 v9, 0, v9
	v_lshlrev_b64 v[16:17], v14, 1
	v_add3_u32 v14, v13, v15, v2
	v_bfe_u32 v2, v18, 20, 1
	v_add_u32_e32 v2, -1, v2
	v_cmp_eq_u64_e32 vcc, v[8:9], v[16:17]
	v_cndmask_b32_e32 v2, 0, v2, vcc
	v_add_u32_e32 v2, v2, v18
	v_and_b32_e32 v2, 0xfffff, v2
	v_add_co_u32_e32 v8, vcc, v2, v18
	v_add_u32_e32 v13, 6, v14
	v_addc_co_u32_e32 v9, vcc, 0, v19, vcc
	v_cmp_ne_u32_e32 vcc, 0, v13
                                        ; implicit-def: $vgpr2
	s_and_saveexec_b64 s[0:1], vcc
	s_xor_b64 s[0:1], exec, s[0:1]
; %bb.14:                               ;   in Loop: Header=BB100_10 Depth=1
	v_add_u32_e32 v2, 7, v14
	v_cmp_lt_u64_e32 vcc, s[30:31], v[8:9]
	v_cndmask_b32_e32 v2, v13, v2, vcc
	v_cndmask_b32_e64 v13, 0, 1, vcc
	v_lshrrev_b64 v[8:9], v13, v[8:9]
; %bb.15:                               ;   in Loop: Header=BB100_10 Depth=1
	s_andn2_saveexec_b64 s[0:1], s[0:1]
; %bb.16:                               ;   in Loop: Header=BB100_10 Depth=1
	v_bfe_u32 v2, v8, 23, 1
; %bb.17:                               ;   in Loop: Header=BB100_10 Depth=1
	s_or_b64 exec, exec, s[0:1]
	v_lshrrev_b64 v[8:9], 20, v[8:9]
	v_cmp_gt_i32_e32 vcc, 16, v2
	v_cndmask_b32_e32 v9, 0, v9, vcc
	v_cndmask_b32_e32 v8, 7, v8, vcc
	v_cmp_ne_u32_e32 vcc, 0, v2
	v_cmp_ne_u64_e64 s[0:1], 0, v[8:9]
	s_or_b64 s[0:1], vcc, s[0:1]
                                        ; implicit-def: $vgpr9
	s_and_saveexec_b64 s[58:59], s[0:1]
	s_xor_b64 s[0:1], exec, s[58:59]
; %bb.18:                               ;   in Loop: Header=BB100_10 Depth=1
	v_min_i32_e32 v2, 15, v2
	v_lshl_or_b32 v2, v2, 3, v12
	v_and_or_b32 v9, v8, 7, v2
                                        ; implicit-def: $vgpr12
; %bb.19:                               ;   in Loop: Header=BB100_10 Depth=1
	s_andn2_saveexec_b64 s[0:1], s[0:1]
; %bb.20:                               ;   in Loop: Header=BB100_10 Depth=1
	v_mov_b32_e32 v9, v12
; %bb.21:                               ;   in Loop: Header=BB100_10 Depth=1
	s_or_b64 exec, exec, s[0:1]
.LBB100_22:                             ;   in Loop: Header=BB100_10 Depth=1
	s_or_b64 exec, exec, s[38:39]
.LBB100_23:                             ;   in Loop: Header=BB100_10 Depth=1
	s_andn2_saveexec_b64 s[0:1], s[36:37]
	s_or_b64 exec, exec, s[0:1]
                                        ; implicit-def: $vgpr8
.LBB100_24:                             ;   in Loop: Header=BB100_10 Depth=1
	s_andn2_saveexec_b64 s[0:1], s[34:35]
; %bb.25:                               ;   in Loop: Header=BB100_10 Depth=1
	v_or_b32_sdwa v8, v8, s57 dst_sel:DWORD dst_unused:UNUSED_PAD src0_sel:BYTE_3 src1_sel:DWORD
	v_cmp_eq_u64_e32 vcc, 0, v[2:3]
	v_cndmask_b32_e32 v9, v8, v9, vcc
; %bb.26:                               ;   in Loop: Header=BB100_10 Depth=1
	s_or_b64 exec, exec, s[0:1]
	v_lshlrev_b32_e32 v2, 16, v11
	v_div_scale_f32 v8, s[0:1], s47, s47, v2
	v_rcp_f32_e32 v11, v8
	global_store_byte v[6:7], v9, off
	v_fma_f32 v9, -v8, v11, 1.0
	v_fmac_f32_e32 v11, v9, v11
	v_div_scale_f32 v9, vcc, v2, s47, v2
	v_mul_f32_e32 v12, v9, v11
	v_fma_f32 v13, -v8, v12, v9
	v_fmac_f32_e32 v12, v13, v11
	v_fma_f32 v8, -v8, v12, v9
	v_div_fmas_f32 v8, v8, v11, v12
	v_div_fixup_f32 v8, v8, s47, v2
	v_and_b32_sdwa v11, v8, s55 dst_sel:DWORD dst_unused:UNUSED_PAD src0_sel:BYTE_3 src1_sel:DWORD
	v_and_b32_e32 v12, 0x7f800000, v8
	v_mov_b32_e32 v13, v3
	v_and_b32_e32 v2, 0x7fffff, v8
	v_or_b32_e32 v9, 0x7e, v11
	v_cmp_ne_u64_e32 vcc, s[16:17], v[12:13]
	s_and_saveexec_b64 s[0:1], vcc
	s_xor_b64 s[34:35], exec, s[0:1]
	s_cbranch_execz .LBB100_40
; %bb.27:                               ;   in Loop: Header=BB100_10 Depth=1
	v_and_b32_e32 v12, 0x7fffffff, v8
	v_mov_b32_e32 v13, v3
	v_cmp_gt_u64_e32 vcc, s[28:29], v[12:13]
	s_and_saveexec_b64 s[0:1], vcc
	s_xor_b64 s[36:37], exec, s[0:1]
	s_cbranch_execz .LBB100_39
; %bb.28:                               ;   in Loop: Header=BB100_10 Depth=1
	v_cmp_ne_u32_e32 vcc, 0, v8
	v_mov_b32_e32 v9, 0
	s_and_saveexec_b64 s[38:39], vcc
	s_cbranch_execz .LBB100_38
; %bb.29:                               ;   in Loop: Header=BB100_10 Depth=1
	v_bfe_u32 v8, v8, 23, 8
	v_sub_u32_e32 v12, 0x79, v8
	v_cmp_gt_u32_e32 vcc, s56, v8
	v_cndmask_b32_e32 v12, 0, v12, vcc
	v_cmp_eq_u32_e32 vcc, 0, v8
	v_cndmask_b32_e32 v12, v12, v5, vcc
	v_add_u32_e32 v9, 0xffffff81, v8
	v_or_b32_e32 v13, 0x800000, v2
	v_add_u32_e32 v8, 20, v12
	v_cndmask_b32_e32 v18, v9, v1, vcc
	v_cndmask_b32_e32 v2, v13, v2, vcc
	v_lshlrev_b64 v[8:9], v8, -1
	v_not_b32_e32 v8, v8
	v_lshrrev_b64 v[16:17], v12, v[2:3]
	v_not_b32_e32 v9, v9
	v_and_b32_e32 v8, v2, v8
	v_add_u32_e32 v13, 19, v12
	v_lshrrev_b32_e32 v2, 23, v16
	v_and_b32_e32 v9, 0, v9
	v_lshlrev_b64 v[14:15], v13, 1
	v_add3_u32 v13, v12, v18, v2
	v_bfe_u32 v2, v16, 20, 1
	v_add_u32_e32 v2, -1, v2
	v_cmp_eq_u64_e32 vcc, v[8:9], v[14:15]
	v_cndmask_b32_e32 v2, 0, v2, vcc
	v_add_u32_e32 v2, v2, v16
	v_and_b32_e32 v2, 0xfffff, v2
	v_add_co_u32_e32 v8, vcc, v2, v16
	v_add_u32_e32 v12, 6, v13
	v_addc_co_u32_e32 v9, vcc, 0, v17, vcc
	v_cmp_ne_u32_e32 vcc, 0, v12
                                        ; implicit-def: $vgpr2
	s_and_saveexec_b64 s[0:1], vcc
	s_xor_b64 s[0:1], exec, s[0:1]
; %bb.30:                               ;   in Loop: Header=BB100_10 Depth=1
	v_add_u32_e32 v2, 7, v13
	v_cmp_lt_u64_e32 vcc, s[30:31], v[8:9]
	v_cndmask_b32_e32 v2, v12, v2, vcc
	v_cndmask_b32_e64 v12, 0, 1, vcc
	v_lshrrev_b64 v[8:9], v12, v[8:9]
; %bb.31:                               ;   in Loop: Header=BB100_10 Depth=1
	s_andn2_saveexec_b64 s[0:1], s[0:1]
; %bb.32:                               ;   in Loop: Header=BB100_10 Depth=1
	v_bfe_u32 v2, v8, 23, 1
; %bb.33:                               ;   in Loop: Header=BB100_10 Depth=1
	s_or_b64 exec, exec, s[0:1]
	v_lshrrev_b64 v[8:9], 20, v[8:9]
	v_cmp_gt_i32_e32 vcc, 16, v2
	v_cndmask_b32_e32 v9, 0, v9, vcc
	v_cndmask_b32_e32 v8, 7, v8, vcc
	v_cmp_ne_u32_e32 vcc, 0, v2
	v_cmp_ne_u64_e64 s[0:1], 0, v[8:9]
	s_or_b64 s[0:1], vcc, s[0:1]
                                        ; implicit-def: $vgpr9
	s_and_saveexec_b64 s[58:59], s[0:1]
	s_xor_b64 s[0:1], exec, s[58:59]
; %bb.34:                               ;   in Loop: Header=BB100_10 Depth=1
	v_min_i32_e32 v2, 15, v2
	v_lshl_or_b32 v2, v2, 3, v11
	v_and_or_b32 v9, v8, 7, v2
                                        ; implicit-def: $vgpr11
; %bb.35:                               ;   in Loop: Header=BB100_10 Depth=1
	s_andn2_saveexec_b64 s[0:1], s[0:1]
; %bb.36:                               ;   in Loop: Header=BB100_10 Depth=1
	v_mov_b32_e32 v9, v11
; %bb.37:                               ;   in Loop: Header=BB100_10 Depth=1
	s_or_b64 exec, exec, s[0:1]
.LBB100_38:                             ;   in Loop: Header=BB100_10 Depth=1
	s_or_b64 exec, exec, s[38:39]
.LBB100_39:                             ;   in Loop: Header=BB100_10 Depth=1
	s_andn2_saveexec_b64 s[0:1], s[36:37]
	s_or_b64 exec, exec, s[0:1]
                                        ; implicit-def: $vgpr8
.LBB100_40:                             ;   in Loop: Header=BB100_10 Depth=1
	s_andn2_saveexec_b64 s[0:1], s[34:35]
	s_cbranch_execz .LBB100_9
; %bb.41:                               ;   in Loop: Header=BB100_10 Depth=1
	v_or_b32_sdwa v8, v8, s57 dst_sel:DWORD dst_unused:UNUSED_PAD src0_sel:BYTE_3 src1_sel:DWORD
	v_cmp_eq_u64_e32 vcc, 0, v[2:3]
	v_cndmask_b32_e32 v9, v8, v9, vcc
	s_branch .LBB100_9
.LBB100_42:
	s_or_b64 exec, exec, s[26:27]
	v_cmp_gt_i32_e32 vcc, s10, v0
	s_and_saveexec_b64 s[0:1], vcc
	s_cbranch_execz .LBB100_61
; %bb.43:
	s_mul_i32 s0, s6, s15
	s_mul_hi_u32 s1, s6, s14
	s_add_i32 s1, s1, s0
	s_mul_i32 s0, s6, s14
	s_lshl_b64 s[0:1], s[0:1], 1
	s_add_u32 s18, s18, s0
	s_addc_u32 s0, s19, s1
	s_ashr_i32 s1, s8, 31
	s_mul_i32 s1, s22, s1
	s_add_i32 s1, s42, s1
	s_add_i32 s1, s1, s43
	s_add_u32 s2, s2, s44
	s_addc_u32 s1, s3, s1
	s_ashr_i32 s3, s9, 31
	s_load_dword s4, s[4:5], 0x8c
	s_mul_i32 s11, s11, s3
	s_waitcnt lgkmcnt(0)
	s_load_dword s20, s[24:25], 0x0
	s_add_i32 s3, s41, s11
	s_add_i32 s3, s3, s23
	s_add_u32 s11, s2, s40
	s_addc_u32 s19, s1, s3
	s_and_b32 s21, s4, 0xffff
	s_mov_b64 s[2:3], 0
	v_mov_b32_e32 v6, s0
	v_mov_b32_e32 v3, 0
	s_movk_i32 s22, 0x80
	s_mov_b64 s[4:5], 0x7f800000
	s_mov_b64 s[6:7], 0x43e00001
	s_movk_i32 s23, 0x7a
	s_mov_b64 s[8:9], 0xffffff
	s_movk_i32 s24, 0x7f
	v_mov_b32_e32 v7, 0xffffff82
	v_mov_b32_e32 v8, 0x78
	s_branch .LBB100_45
.LBB100_44:                             ;   in Loop: Header=BB100_45 Depth=1
	s_or_b64 exec, exec, s[0:1]
	v_mov_b32_e32 v2, s19
	v_add_co_u32_e32 v10, vcc, s11, v0
	v_addc_co_u32_e32 v11, vcc, v2, v1, vcc
	v_add_u32_e32 v0, s21, v0
	v_cmp_le_i32_e32 vcc, s10, v0
	s_or_b64 s[2:3], vcc, s[2:3]
	global_store_byte v[10:11], v5, off
	s_andn2_b64 exec, exec, s[2:3]
	s_cbranch_execz .LBB100_61
.LBB100_45:                             ; =>This Inner Loop Header: Depth=1
	v_ashrrev_i32_e32 v1, 31, v0
	v_lshlrev_b64 v[4:5], 1, v[0:1]
	v_add_co_u32_e32 v4, vcc, s18, v4
	v_addc_co_u32_e32 v5, vcc, v6, v5, vcc
	global_load_ushort v2, v[4:5], off
	v_mov_b32_e32 v11, v3
	s_waitcnt vmcnt(0)
	v_lshlrev_b32_e32 v2, 16, v2
	s_waitcnt lgkmcnt(0)
	v_div_scale_f32 v4, s[0:1], s20, s20, v2
	v_rcp_f32_e32 v5, v4
	v_div_scale_f32 v9, vcc, v2, s20, v2
	v_fma_f32 v10, -v4, v5, 1.0
	v_fmac_f32_e32 v5, v10, v5
	v_mul_f32_e32 v10, v9, v5
	v_fma_f32 v12, -v4, v10, v9
	v_fmac_f32_e32 v10, v12, v5
	v_fma_f32 v4, -v4, v10, v9
	v_div_fmas_f32 v4, v4, v5, v10
	v_div_fixup_f32 v4, v4, s20, v2
	v_and_b32_sdwa v9, v4, s22 dst_sel:DWORD dst_unused:UNUSED_PAD src0_sel:BYTE_3 src1_sel:DWORD
	v_and_b32_e32 v10, 0x7f800000, v4
	v_and_b32_e32 v2, 0x7fffff, v4
	v_or_b32_e32 v5, 0x7e, v9
	v_cmp_ne_u64_e32 vcc, s[4:5], v[10:11]
	s_and_saveexec_b64 s[0:1], vcc
	s_xor_b64 s[12:13], exec, s[0:1]
	s_cbranch_execz .LBB100_59
; %bb.46:                               ;   in Loop: Header=BB100_45 Depth=1
	v_and_b32_e32 v10, 0x7fffffff, v4
	v_mov_b32_e32 v11, v3
	v_cmp_gt_u64_e32 vcc, s[6:7], v[10:11]
	s_and_saveexec_b64 s[0:1], vcc
	s_xor_b64 s[14:15], exec, s[0:1]
	s_cbranch_execz .LBB100_58
; %bb.47:                               ;   in Loop: Header=BB100_45 Depth=1
	v_cmp_ne_u32_e32 vcc, 0, v4
	v_mov_b32_e32 v5, 0
	s_and_saveexec_b64 s[16:17], vcc
	s_cbranch_execz .LBB100_57
; %bb.48:                               ;   in Loop: Header=BB100_45 Depth=1
	v_bfe_u32 v4, v4, 23, 8
	v_sub_u32_e32 v10, 0x79, v4
	v_cmp_gt_u32_e32 vcc, s23, v4
	v_cndmask_b32_e32 v10, 0, v10, vcc
	v_cmp_eq_u32_e32 vcc, 0, v4
	v_cndmask_b32_e32 v10, v10, v8, vcc
	v_add_u32_e32 v5, 0xffffff81, v4
	v_or_b32_e32 v11, 0x800000, v2
	v_add_u32_e32 v4, 20, v10
	v_cndmask_b32_e32 v16, v5, v7, vcc
	v_cndmask_b32_e32 v2, v11, v2, vcc
	v_lshlrev_b64 v[4:5], v4, -1
	v_not_b32_e32 v4, v4
	v_lshrrev_b64 v[14:15], v10, v[2:3]
	v_not_b32_e32 v5, v5
	v_and_b32_e32 v4, v2, v4
	v_add_u32_e32 v11, 19, v10
	v_lshrrev_b32_e32 v2, 23, v14
	v_and_b32_e32 v5, 0, v5
	v_lshlrev_b64 v[12:13], v11, 1
	v_add3_u32 v11, v10, v16, v2
	v_bfe_u32 v2, v14, 20, 1
	v_add_u32_e32 v2, -1, v2
	v_cmp_eq_u64_e32 vcc, v[4:5], v[12:13]
	v_cndmask_b32_e32 v2, 0, v2, vcc
	v_add_u32_e32 v2, v2, v14
	v_and_b32_e32 v2, 0xfffff, v2
	v_add_co_u32_e32 v4, vcc, v2, v14
	v_add_u32_e32 v10, 6, v11
	v_addc_co_u32_e32 v5, vcc, 0, v15, vcc
	v_cmp_ne_u32_e32 vcc, 0, v10
                                        ; implicit-def: $vgpr2
	s_and_saveexec_b64 s[0:1], vcc
	s_xor_b64 s[0:1], exec, s[0:1]
; %bb.49:                               ;   in Loop: Header=BB100_45 Depth=1
	v_add_u32_e32 v2, 7, v11
	v_cmp_lt_u64_e32 vcc, s[8:9], v[4:5]
	v_cndmask_b32_e32 v2, v10, v2, vcc
	v_cndmask_b32_e64 v10, 0, 1, vcc
	v_lshrrev_b64 v[4:5], v10, v[4:5]
; %bb.50:                               ;   in Loop: Header=BB100_45 Depth=1
	s_andn2_saveexec_b64 s[0:1], s[0:1]
; %bb.51:                               ;   in Loop: Header=BB100_45 Depth=1
	v_bfe_u32 v2, v4, 23, 1
; %bb.52:                               ;   in Loop: Header=BB100_45 Depth=1
	s_or_b64 exec, exec, s[0:1]
	v_lshrrev_b64 v[4:5], 20, v[4:5]
	v_cmp_gt_i32_e32 vcc, 16, v2
	v_cndmask_b32_e32 v5, 0, v5, vcc
	v_cndmask_b32_e32 v4, 7, v4, vcc
	v_cmp_ne_u32_e32 vcc, 0, v2
	v_cmp_ne_u64_e64 s[0:1], 0, v[4:5]
	s_or_b64 s[0:1], vcc, s[0:1]
                                        ; implicit-def: $vgpr5
	s_and_saveexec_b64 s[26:27], s[0:1]
	s_xor_b64 s[0:1], exec, s[26:27]
; %bb.53:                               ;   in Loop: Header=BB100_45 Depth=1
	v_min_i32_e32 v2, 15, v2
	v_lshl_or_b32 v2, v2, 3, v9
	v_and_or_b32 v5, v4, 7, v2
                                        ; implicit-def: $vgpr9
; %bb.54:                               ;   in Loop: Header=BB100_45 Depth=1
	s_andn2_saveexec_b64 s[0:1], s[0:1]
; %bb.55:                               ;   in Loop: Header=BB100_45 Depth=1
	v_mov_b32_e32 v5, v9
; %bb.56:                               ;   in Loop: Header=BB100_45 Depth=1
	s_or_b64 exec, exec, s[0:1]
.LBB100_57:                             ;   in Loop: Header=BB100_45 Depth=1
	s_or_b64 exec, exec, s[16:17]
.LBB100_58:                             ;   in Loop: Header=BB100_45 Depth=1
	s_andn2_saveexec_b64 s[0:1], s[14:15]
	s_or_b64 exec, exec, s[0:1]
                                        ; implicit-def: $vgpr4
.LBB100_59:                             ;   in Loop: Header=BB100_45 Depth=1
	s_andn2_saveexec_b64 s[0:1], s[12:13]
	s_cbranch_execz .LBB100_44
; %bb.60:                               ;   in Loop: Header=BB100_45 Depth=1
	v_or_b32_sdwa v4, v4, s24 dst_sel:DWORD dst_unused:UNUSED_PAD src0_sel:BYTE_3 src1_sel:DWORD
	v_cmp_eq_u64_e32 vcc, 0, v[2:3]
	v_cndmask_b32_e32 v5, v4, v5, vcc
	s_branch .LBB100_44
.LBB100_61:
	s_endpgm
.LBB100_62:
                                        ; implicit-def: $sgpr22_sgpr23
	s_branch .LBB100_6
	.section	.rodata,"a",@progbits
	.p2align	6, 0x0
	.amdhsa_kernel _ZN4vllm38concat_and_cache_mla_rope_fused_kernelIN3c104HalfENS1_8BFloat16ELb1E14__hip_bfloat16hLNS_18Fp8KVCacheDataTypeE1EEEvPKlPT_S9_PKS8_PKT0_illlliPT3_S7_iiiiPKf
		.amdhsa_group_segment_fixed_size 0
		.amdhsa_private_segment_fixed_size 0
		.amdhsa_kernarg_size 384
		.amdhsa_user_sgpr_count 6
		.amdhsa_user_sgpr_private_segment_buffer 1
		.amdhsa_user_sgpr_dispatch_ptr 0
		.amdhsa_user_sgpr_queue_ptr 0
		.amdhsa_user_sgpr_kernarg_segment_ptr 1
		.amdhsa_user_sgpr_dispatch_id 0
		.amdhsa_user_sgpr_flat_scratch_init 0
		.amdhsa_user_sgpr_kernarg_preload_length 0
		.amdhsa_user_sgpr_kernarg_preload_offset 0
		.amdhsa_user_sgpr_private_segment_size 0
		.amdhsa_uses_dynamic_stack 0
		.amdhsa_system_sgpr_private_segment_wavefront_offset 0
		.amdhsa_system_sgpr_workgroup_id_x 1
		.amdhsa_system_sgpr_workgroup_id_y 0
		.amdhsa_system_sgpr_workgroup_id_z 0
		.amdhsa_system_sgpr_workgroup_info 0
		.amdhsa_system_vgpr_workitem_id 0
		.amdhsa_next_free_vgpr 20
		.amdhsa_next_free_sgpr 60
		.amdhsa_accum_offset 20
		.amdhsa_reserve_vcc 1
		.amdhsa_reserve_flat_scratch 0
		.amdhsa_float_round_mode_32 0
		.amdhsa_float_round_mode_16_64 0
		.amdhsa_float_denorm_mode_32 3
		.amdhsa_float_denorm_mode_16_64 3
		.amdhsa_dx10_clamp 1
		.amdhsa_ieee_mode 1
		.amdhsa_fp16_overflow 0
		.amdhsa_tg_split 0
		.amdhsa_exception_fp_ieee_invalid_op 0
		.amdhsa_exception_fp_denorm_src 0
		.amdhsa_exception_fp_ieee_div_zero 0
		.amdhsa_exception_fp_ieee_overflow 0
		.amdhsa_exception_fp_ieee_underflow 0
		.amdhsa_exception_fp_ieee_inexact 0
		.amdhsa_exception_int_div_zero 0
	.end_amdhsa_kernel
	.section	.text._ZN4vllm38concat_and_cache_mla_rope_fused_kernelIN3c104HalfENS1_8BFloat16ELb1E14__hip_bfloat16hLNS_18Fp8KVCacheDataTypeE1EEEvPKlPT_S9_PKS8_PKT0_illlliPT3_S7_iiiiPKf,"axG",@progbits,_ZN4vllm38concat_and_cache_mla_rope_fused_kernelIN3c104HalfENS1_8BFloat16ELb1E14__hip_bfloat16hLNS_18Fp8KVCacheDataTypeE1EEEvPKlPT_S9_PKS8_PKT0_illlliPT3_S7_iiiiPKf,comdat
.Lfunc_end100:
	.size	_ZN4vllm38concat_and_cache_mla_rope_fused_kernelIN3c104HalfENS1_8BFloat16ELb1E14__hip_bfloat16hLNS_18Fp8KVCacheDataTypeE1EEEvPKlPT_S9_PKS8_PKT0_illlliPT3_S7_iiiiPKf, .Lfunc_end100-_ZN4vllm38concat_and_cache_mla_rope_fused_kernelIN3c104HalfENS1_8BFloat16ELb1E14__hip_bfloat16hLNS_18Fp8KVCacheDataTypeE1EEEvPKlPT_S9_PKS8_PKT0_illlliPT3_S7_iiiiPKf
                                        ; -- End function
	.section	.AMDGPU.csdata,"",@progbits
; Kernel info:
; codeLenInByte = 3680
; NumSgprs: 64
; NumVgprs: 20
; NumAgprs: 0
; TotalNumVgprs: 20
; ScratchSize: 0
; MemoryBound: 0
; FloatMode: 240
; IeeeMode: 1
; LDSByteSize: 0 bytes/workgroup (compile time only)
; SGPRBlocks: 7
; VGPRBlocks: 2
; NumSGPRsForWavesPerEU: 64
; NumVGPRsForWavesPerEU: 20
; AccumOffset: 20
; Occupancy: 8
; WaveLimiterHint : 1
; COMPUTE_PGM_RSRC2:SCRATCH_EN: 0
; COMPUTE_PGM_RSRC2:USER_SGPR: 6
; COMPUTE_PGM_RSRC2:TRAP_HANDLER: 0
; COMPUTE_PGM_RSRC2:TGID_X_EN: 1
; COMPUTE_PGM_RSRC2:TGID_Y_EN: 0
; COMPUTE_PGM_RSRC2:TGID_Z_EN: 0
; COMPUTE_PGM_RSRC2:TIDIG_COMP_CNT: 0
; COMPUTE_PGM_RSRC3_GFX90A:ACCUM_OFFSET: 4
; COMPUTE_PGM_RSRC3_GFX90A:TG_SPLIT: 0
	.section	.text._ZN4vllm38concat_and_cache_mla_rope_fused_kernelIN3c104HalfENS1_8BFloat16ELb0E14__hip_bfloat16hLNS_18Fp8KVCacheDataTypeE1EEEvPKlPT_S9_PKS8_PKT0_illlliPT3_S7_iiiiPKf,"axG",@progbits,_ZN4vllm38concat_and_cache_mla_rope_fused_kernelIN3c104HalfENS1_8BFloat16ELb0E14__hip_bfloat16hLNS_18Fp8KVCacheDataTypeE1EEEvPKlPT_S9_PKS8_PKT0_illlliPT3_S7_iiiiPKf,comdat
	.protected	_ZN4vllm38concat_and_cache_mla_rope_fused_kernelIN3c104HalfENS1_8BFloat16ELb0E14__hip_bfloat16hLNS_18Fp8KVCacheDataTypeE1EEEvPKlPT_S9_PKS8_PKT0_illlliPT3_S7_iiiiPKf ; -- Begin function _ZN4vllm38concat_and_cache_mla_rope_fused_kernelIN3c104HalfENS1_8BFloat16ELb0E14__hip_bfloat16hLNS_18Fp8KVCacheDataTypeE1EEEvPKlPT_S9_PKS8_PKT0_illlliPT3_S7_iiiiPKf
	.globl	_ZN4vllm38concat_and_cache_mla_rope_fused_kernelIN3c104HalfENS1_8BFloat16ELb0E14__hip_bfloat16hLNS_18Fp8KVCacheDataTypeE1EEEvPKlPT_S9_PKS8_PKT0_illlliPT3_S7_iiiiPKf
	.p2align	8
	.type	_ZN4vllm38concat_and_cache_mla_rope_fused_kernelIN3c104HalfENS1_8BFloat16ELb0E14__hip_bfloat16hLNS_18Fp8KVCacheDataTypeE1EEEvPKlPT_S9_PKS8_PKT0_illlliPT3_S7_iiiiPKf,@function
_ZN4vllm38concat_and_cache_mla_rope_fused_kernelIN3c104HalfENS1_8BFloat16ELb0E14__hip_bfloat16hLNS_18Fp8KVCacheDataTypeE1EEEvPKlPT_S9_PKS8_PKT0_illlliPT3_S7_iiiiPKf: ; @_ZN4vllm38concat_and_cache_mla_rope_fused_kernelIN3c104HalfENS1_8BFloat16ELb0E14__hip_bfloat16hLNS_18Fp8KVCacheDataTypeE1EEEvPKlPT_S9_PKS8_PKT0_illlliPT3_S7_iiiiPKf
; %bb.0:
	s_load_dwordx2 s[2:3], s[4:5], 0x60
	s_mov_b32 s7, 0
	s_lshl_b64 s[0:1], s[6:7], 3
	s_waitcnt lgkmcnt(0)
	s_add_u32 s2, s2, s0
	s_addc_u32 s3, s3, s1
	s_load_dwordx2 s[26:27], s[2:3], 0x0
	s_waitcnt lgkmcnt(0)
	v_cmp_lt_i64_e64 s[2:3], s[26:27], 0
	s_and_b64 vcc, exec, s[2:3]
	s_cbranch_vccnz .LBB101_61
; %bb.1:
	s_load_dword s7, s[4:5], 0x28
	s_load_dwordx2 s[2:3], s[4:5], 0x0
	s_load_dwordx4 s[16:19], s[4:5], 0x10
	v_lshlrev_b32_e32 v3, 1, v0
	s_waitcnt lgkmcnt(0)
	s_ashr_i32 s22, s7, 31
	s_add_u32 s0, s2, s0
	s_addc_u32 s1, s3, s1
	s_load_dwordx2 s[20:21], s[0:1], 0x0
	s_load_dwordx2 s[28:29], s[4:5], 0x20
	s_load_dwordx8 s[8:15], s[4:5], 0x30
	s_load_dwordx2 s[2:3], s[4:5], 0x58
	s_load_dword s23, s[4:5], 0x50
	s_waitcnt lgkmcnt(0)
	s_mul_i32 s0, s20, s22
	s_mul_hi_u32 s1, s20, s7
	s_mul_i32 s21, s21, s7
	s_add_i32 s0, s1, s0
	s_add_i32 s31, s0, s21
	s_lshr_b32 s0, s7, 31
	s_mul_i32 s30, s20, s7
	s_add_i32 s7, s7, s0
	s_ashr_i32 s20, s7, 1
	s_mul_i32 s7, s20, s23
	v_cmp_gt_i32_e32 vcc, s7, v0
	s_and_saveexec_b64 s[0:1], vcc
	s_cbranch_execz .LBB101_4
; %bb.2:
	s_lshl_b64 s[22:23], s[30:31], 1
	s_add_u32 s24, s28, s22
	s_addc_u32 s38, s29, s23
	s_load_dwordx2 s[22:23], s[4:5], 0x8
	s_load_dword s34, s[4:5], 0x8c
	s_mul_i32 s9, s6, s9
	s_mul_hi_u32 s25, s6, s8
	s_add_i32 s9, s25, s9
	s_mul_i32 s8, s6, s8
	s_ashr_i32 s21, s20, 31
	s_lshl_b64 s[8:9], s[8:9], 1
	s_waitcnt lgkmcnt(0)
	s_add_u32 s25, s22, s8
	s_addc_u32 s39, s23, s9
	s_abs_i32 s33, s20
	v_cvt_f32_u32_e32 v1, s33
	s_sub_i32 s8, 0, s33
	s_and_b32 s34, s34, 0xffff
	s_lshl_b64 s[22:23], s[20:21], 1
	v_rcp_iflag_f32_e32 v1, v1
	s_sub_i32 s35, 0, s20
	s_lshl_b32 s37, s34, 1
	v_mov_b32_e32 v5, s38
	v_mul_f32_e32 v1, 0x4f7ffffe, v1
	v_cvt_u32_f32_e32 v1, v1
	v_mov_b32_e32 v6, s23
	v_mov_b32_e32 v7, s39
	;; [unrolled: 1-line block ×3, first 2 shown]
	v_mul_lo_u32 v2, s8, v1
	v_mul_hi_u32 v2, v1, v2
	s_lshl_b32 s8, s20, 1
	v_add_u32_e32 v1, v1, v2
	s_sub_i32 s36, 0, s8
	s_mov_b64 s[8:9], 0
	v_mov_b32_e32 v2, v3
.LBB101_3:                              ; =>This Inner Loop Header: Depth=1
	v_sub_u32_e32 v9, 0, v4
	v_max_i32_e32 v9, v4, v9
	v_mul_hi_u32 v10, v9, v1
	v_mul_lo_u32 v11, v10, s33
	v_sub_u32_e32 v9, v9, v11
	v_add_u32_e32 v12, 1, v10
	v_cmp_le_u32_e32 vcc, s33, v9
	v_subrev_u32_e32 v11, s33, v9
	v_cndmask_b32_e32 v10, v10, v12, vcc
	v_cndmask_b32_e32 v9, v9, v11, vcc
	v_ashrrev_i32_e32 v8, 31, v4
	v_add_u32_e32 v11, 1, v10
	v_cmp_le_u32_e32 vcc, s33, v9
	v_xor_b32_e32 v8, s21, v8
	v_cndmask_b32_e32 v9, v10, v11, vcc
	v_xor_b32_e32 v9, v9, v8
	v_sub_u32_e32 v12, v9, v8
	v_mad_u64_u32 v[8:9], s[38:39], s35, v12, v[4:5]
	v_ashrrev_i32_e32 v9, 31, v8
	v_lshlrev_b64 v[8:9], 1, v[8:9]
	v_ashrrev_i32_e32 v14, 31, v12
	v_add_co_u32_e32 v8, vcc, s24, v8
	v_mul_lo_u32 v15, v12, s11
	v_mad_u64_u32 v[10:11], s[38:39], v12, s10, 0
	v_mul_lo_u32 v14, v14, s10
	v_addc_co_u32_e32 v9, vcc, v5, v9, vcc
	v_add3_u32 v11, v11, v15, v14
	v_add_co_u32_e32 v14, vcc, s22, v8
	v_mad_u64_u32 v[12:13], s[38:39], s36, v12, v[2:3]
	v_lshlrev_b64 v[10:11], 1, v[10:11]
	v_addc_co_u32_e32 v15, vcc, v9, v6, vcc
	v_ashrrev_i32_e32 v13, 31, v12
	v_add_co_u32_e32 v10, vcc, s25, v10
	global_load_ushort v16, v[8:9], off
	global_load_ushort v17, v[14:15], off
	v_lshlrev_b64 v[12:13], 1, v[12:13]
	v_addc_co_u32_e32 v11, vcc, v7, v11, vcc
	v_add_co_u32_e32 v8, vcc, v10, v12
	v_addc_co_u32_e32 v9, vcc, v11, v13, vcc
	global_load_dword v10, v[8:9], off
	v_add_u32_e32 v4, s34, v4
	v_cmp_le_i32_e32 vcc, s7, v4
	v_add_u32_e32 v2, s37, v2
	s_or_b64 s[8:9], vcc, s[8:9]
	s_waitcnt vmcnt(2)
	v_lshlrev_b32_e32 v11, 16, v16
	s_waitcnt vmcnt(1)
	v_lshlrev_b32_e32 v12, 16, v17
	v_cvt_f16_f32_e32 v12, v12
	v_cvt_f16_f32_e32 v11, v11
	s_waitcnt vmcnt(0)
	v_lshrrev_b32_e32 v13, 16, v10
	v_mul_f16_e32 v14, v13, v12
	v_mul_f16_e32 v12, v10, v12
	v_fma_f16 v10, v10, v11, -v14
	v_fma_f16 v11, v13, v11, v12
	v_pack_b32_f16 v10, v10, v11
	global_store_dword v[8:9], v10, off
	s_andn2_b64 exec, exec, s[8:9]
	s_cbranch_execnz .LBB101_3
.LBB101_4:
	s_or_b64 exec, exec, s[0:1]
	s_load_dwordx4 s[8:11], s[4:5], 0x68
	s_waitcnt lgkmcnt(0)
	s_ashr_i32 s35, s11, 31
	s_mov_b32 s34, s11
	s_or_b64 s[0:1], s[26:27], s[34:35]
	s_mov_b32 s0, 0
	s_cmp_lg_u64 s[0:1], 0
	s_cbranch_scc0 .LBB101_62
; %bb.5:
	s_add_u32 s0, s34, s35
	s_mov_b32 s22, s35
	s_mov_b32 s23, s35
	s_addc_u32 s1, s35, s35
	s_xor_b64 s[36:37], s[0:1], s[22:23]
	v_cvt_f32_u32_e32 v1, s36
	v_cvt_f32_u32_e32 v2, s37
	s_sub_u32 s0, 0, s36
	s_subb_u32 s1, 0, s37
	v_madmk_f32 v1, v2, 0x4f800000, v1
	v_rcp_f32_e32 v1, v1
	v_mul_f32_e32 v1, 0x5f7ffffc, v1
	v_mul_f32_e32 v2, 0x2f800000, v1
	v_trunc_f32_e32 v2, v2
	v_madmk_f32 v1, v2, 0xcf800000, v1
	v_cvt_u32_f32_e32 v2, v2
	v_cvt_u32_f32_e32 v1, v1
	v_readfirstlane_b32 s7, v2
	v_readfirstlane_b32 s11, v1
	s_mul_i32 s21, s0, s7
	s_mul_hi_u32 s38, s0, s11
	s_mul_i32 s33, s1, s11
	s_add_i32 s21, s38, s21
	s_add_i32 s21, s21, s33
	s_mul_i32 s39, s0, s11
	s_mul_hi_u32 s33, s11, s21
	s_mul_i32 s38, s11, s21
	s_mul_hi_u32 s11, s11, s39
	s_add_u32 s11, s11, s38
	s_addc_u32 s33, 0, s33
	s_mul_hi_u32 s40, s7, s39
	s_mul_i32 s39, s7, s39
	s_add_u32 s11, s11, s39
	s_mul_hi_u32 s38, s7, s21
	s_addc_u32 s11, s33, s40
	s_addc_u32 s33, s38, 0
	s_mul_i32 s21, s7, s21
	s_add_u32 s11, s11, s21
	s_addc_u32 s21, 0, s33
	v_add_co_u32_e32 v1, vcc, s11, v1
	s_cmp_lg_u64 vcc, 0
	s_addc_u32 s7, s7, s21
	v_readfirstlane_b32 s21, v1
	s_mul_i32 s11, s0, s7
	s_mul_hi_u32 s33, s0, s21
	s_add_i32 s11, s33, s11
	s_mul_i32 s1, s1, s21
	s_add_i32 s11, s11, s1
	s_mul_i32 s0, s0, s21
	s_mul_hi_u32 s33, s7, s0
	s_mul_i32 s38, s7, s0
	s_mul_i32 s40, s21, s11
	s_mul_hi_u32 s0, s21, s0
	s_mul_hi_u32 s39, s21, s11
	s_add_u32 s0, s0, s40
	s_addc_u32 s21, 0, s39
	s_add_u32 s0, s0, s38
	s_mul_hi_u32 s1, s7, s11
	s_addc_u32 s0, s21, s33
	s_addc_u32 s1, s1, 0
	s_mul_i32 s11, s7, s11
	s_add_u32 s0, s0, s11
	s_addc_u32 s1, 0, s1
	v_add_co_u32_e32 v1, vcc, s0, v1
	s_cmp_lg_u64 vcc, 0
	s_addc_u32 s7, s7, s1
	s_ashr_i32 s38, s27, 31
	s_add_u32 s0, s26, s38
	s_mov_b32 s39, s38
	s_addc_u32 s1, s27, s38
	s_xor_b64 s[40:41], s[0:1], s[38:39]
	v_readfirstlane_b32 s11, v1
	s_mul_i32 s1, s40, s7
	s_mul_hi_u32 s21, s40, s11
	s_mul_hi_u32 s0, s40, s7
	s_add_u32 s1, s21, s1
	s_addc_u32 s0, 0, s0
	s_mul_hi_u32 s33, s41, s11
	s_mul_i32 s11, s41, s11
	s_add_u32 s1, s1, s11
	s_mul_hi_u32 s21, s41, s7
	s_addc_u32 s0, s0, s33
	s_addc_u32 s1, s21, 0
	s_mul_i32 s7, s41, s7
	s_add_u32 s7, s0, s7
	s_addc_u32 s11, 0, s1
	s_mul_i32 s0, s36, s11
	s_mul_hi_u32 s1, s36, s7
	s_add_i32 s0, s1, s0
	s_mul_i32 s1, s37, s7
	s_add_i32 s21, s0, s1
	s_mul_i32 s1, s36, s7
	v_mov_b32_e32 v1, s1
	s_sub_i32 s0, s41, s21
	v_sub_co_u32_e32 v1, vcc, s40, v1
	s_cmp_lg_u64 vcc, 0
	s_subb_u32 s33, s0, s37
	v_subrev_co_u32_e64 v2, s[0:1], s36, v1
	s_cmp_lg_u64 s[0:1], 0
	s_subb_u32 s0, s33, 0
	s_cmp_ge_u32 s0, s37
	v_readfirstlane_b32 s33, v2
	s_cselect_b32 s1, -1, 0
	s_cmp_ge_u32 s33, s36
	s_cselect_b32 s33, -1, 0
	s_cmp_eq_u32 s0, s37
	s_cselect_b32 s0, s33, s1
	s_add_u32 s1, s7, 1
	s_addc_u32 s33, s11, 0
	s_add_u32 s40, s7, 2
	s_addc_u32 s42, s11, 0
	s_cmp_lg_u32 s0, 0
	s_cselect_b32 s0, s40, s1
	s_cselect_b32 s1, s42, s33
	s_cmp_lg_u64 vcc, 0
	s_subb_u32 s21, s41, s21
	s_cmp_ge_u32 s21, s37
	v_readfirstlane_b32 s40, v1
	s_cselect_b32 s33, -1, 0
	s_cmp_ge_u32 s40, s36
	s_cselect_b32 s36, -1, 0
	s_cmp_eq_u32 s21, s37
	s_cselect_b32 s21, s36, s33
	s_cmp_lg_u32 s21, 0
	s_cselect_b32 s1, s1, s11
	s_cselect_b32 s0, s0, s7
	s_xor_b64 s[22:23], s[38:39], s[22:23]
	s_xor_b64 s[0:1], s[0:1], s[22:23]
	s_sub_u32 s22, s0, s22
	s_subb_u32 s23, s1, s23
	s_cbranch_execnz .LBB101_7
.LBB101_6:
	v_cvt_f32_u32_e32 v1, s34
	s_sub_i32 s0, 0, s34
	s_mov_b32 s23, 0
	v_rcp_iflag_f32_e32 v1, v1
	v_mul_f32_e32 v1, 0x4f7ffffe, v1
	v_cvt_u32_f32_e32 v1, v1
	v_readfirstlane_b32 s1, v1
	s_mul_i32 s0, s0, s1
	s_mul_hi_u32 s0, s1, s0
	s_add_i32 s1, s1, s0
	s_mul_hi_u32 s0, s26, s1
	s_mul_i32 s7, s0, s34
	s_sub_i32 s7, s26, s7
	s_add_i32 s1, s0, 1
	s_sub_i32 s11, s7, s34
	s_cmp_ge_u32 s7, s34
	s_cselect_b32 s0, s1, s0
	s_cselect_b32 s7, s11, s7
	s_add_i32 s1, s0, 1
	s_cmp_ge_u32 s7, s34
	s_cselect_b32 s22, s1, s0
.LBB101_7:
	s_mul_i32 s0, s22, s35
	s_mul_hi_u32 s1, s22, s34
	s_load_dwordx2 s[24:25], s[4:5], 0x78
	s_add_i32 s0, s1, s0
	s_mul_i32 s1, s23, s34
	s_add_i32 s0, s0, s1
	s_mul_i32 s1, s22, s34
	s_sub_u32 s7, s26, s1
	s_subb_u32 s11, s27, s0
	v_cmp_gt_i32_e32 vcc, s20, v0
	s_mul_hi_u32 s42, s22, s8
	s_mul_i32 s43, s23, s8
	s_mul_i32 s44, s22, s8
	s_mul_hi_u32 s33, s7, s9
	s_mul_i32 s11, s11, s9
	s_mul_i32 s23, s7, s9
	s_and_saveexec_b64 s[26:27], vcc
	s_cbranch_execz .LBB101_42
; %bb.8:
	s_ashr_i32 s0, s8, 31
	s_mul_i32 s0, s22, s0
	s_load_dword s1, s[4:5], 0x8c
	s_add_i32 s0, s42, s0
	s_add_i32 s34, s0, s43
	s_ashr_i32 s0, s9, 31
	s_mul_i32 s0, s7, s0
	s_add_i32 s0, s33, s0
	s_ashr_i32 s21, s20, 31
	s_add_i32 s35, s0, s11
	s_ashr_i32 s36, s10, 31
	s_waitcnt lgkmcnt(0)
	s_and_b32 s46, s1, 0xffff
	s_lshl_b64 s[0:1], s[30:31], 1
	s_add_u32 s0, s28, s0
	s_addc_u32 s1, s29, s1
	v_mov_b32_e32 v2, s1
	v_add_co_u32_e32 v1, vcc, s0, v3
	v_addc_co_u32_e32 v10, vcc, 0, v2, vcc
	s_lshl_b32 s48, s46, 1
	s_lshl_b64 s[0:1], s[20:21], 1
	v_add_co_u32_e32 v11, vcc, s0, v1
	s_add_u32 s0, s44, s23
	v_mov_b32_e32 v2, s1
	s_addc_u32 s1, s34, s35
	s_add_u32 s21, s2, s10
	s_addc_u32 s28, s3, s36
	s_add_u32 s0, s21, s0
	v_addc_co_u32_e32 v12, vcc, v10, v2, vcc
	s_addc_u32 s1, s28, s1
	v_mov_b32_e32 v2, s1
	v_add_co_u32_e32 v3, vcc, s0, v3
	s_mul_i32 s0, s13, s6
	s_mul_hi_u32 s1, s12, s6
	s_add_i32 s1, s1, s0
	s_mul_i32 s0, s12, s6
	v_addc_co_u32_e32 v2, vcc, 0, v2, vcc
	s_lshl_b64 s[0:1], s[0:1], 1
	v_add_co_u32_e32 v13, vcc, 1, v3
	s_add_u32 s0, s16, s0
	s_load_dword s45, s[24:25], 0x0
	v_addc_co_u32_e32 v14, vcc, 0, v2, vcc
	v_lshlrev_b32_e32 v2, 2, v0
	s_addc_u32 s1, s17, s1
	v_mov_b32_e32 v3, s1
	v_add_co_u32_e32 v2, vcc, s0, v2
	v_addc_co_u32_e32 v3, vcc, 0, v3, vcc
	v_add_co_u32_e32 v2, vcc, 2, v2
	s_mov_b32 s47, 0
	v_addc_co_u32_e32 v3, vcc, 0, v3, vcc
	s_lshl_b32 s21, s46, 2
	s_mov_b64 s[12:13], 0
	v_mov_b32_e32 v5, 0
	s_movk_i32 s49, 0x80
	s_mov_b64 s[16:17], 0x7f800000
	s_mov_b64 s[28:29], 0x43e00001
	s_movk_i32 s50, 0x7a
	s_mov_b64 s[30:31], 0xffffff
	s_movk_i32 s51, 0x7f
	v_mov_b32_e32 v15, 0xffffff82
	v_mov_b32_e32 v16, 0x78
	s_mov_b64 s[34:35], 0
	v_mov_b32_e32 v17, v0
	s_branch .LBB101_10
.LBB101_9:                              ;   in Loop: Header=BB101_10 Depth=1
	s_or_b64 exec, exec, s[0:1]
	v_add_u32_e32 v17, s46, v17
	s_add_u32 s34, s34, s48
	s_addc_u32 s35, s35, 0
	v_cmp_le_i32_e32 vcc, s20, v17
	v_mov_b32_e32 v4, s47
	s_or_b64 s[12:13], vcc, s[12:13]
	v_add_co_u32_e32 v2, vcc, s21, v2
	v_addc_co_u32_e32 v3, vcc, v3, v4, vcc
	global_store_byte v[6:7], v9, off
	s_andn2_b64 exec, exec, s[12:13]
	s_cbranch_execz .LBB101_42
.LBB101_10:                             ; =>This Inner Loop Header: Depth=1
	v_mov_b32_e32 v4, s35
	v_add_co_u32_e32 v6, vcc, s34, v11
	v_addc_co_u32_e32 v7, vcc, v12, v4, vcc
	global_load_ushort v8, v[6:7], off
	v_add_co_u32_e32 v6, vcc, s34, v1
	v_addc_co_u32_e32 v7, vcc, v10, v4, vcc
	global_load_ushort v4, v[6:7], off
	global_load_dword v9, v[2:3], off offset:-2
	v_mov_b32_e32 v21, v5
	s_waitcnt vmcnt(2)
	v_lshlrev_b32_e32 v6, 16, v8
	v_cvt_f16_f32_e32 v6, v6
	s_waitcnt vmcnt(1)
	v_lshlrev_b32_e32 v4, 16, v4
	v_cvt_f16_f32_e32 v4, v4
	s_waitcnt vmcnt(0)
	v_lshrrev_b32_e32 v7, 16, v9
	v_mul_f16_e32 v8, v7, v6
	v_mul_f16_e32 v6, v9, v6
	v_fma_f16 v9, v9, v4, -v8
	v_fma_f16 v8, v7, v4, v6
	v_lshlrev_b32_e32 v6, 16, v9
	s_waitcnt lgkmcnt(0)
	v_div_scale_f32 v7, s[0:1], s45, s45, v6
	v_pack_b32_f16 v4, v9, v8
	v_rcp_f32_e32 v9, v7
	global_store_dword v[2:3], v4, off offset:-2
	v_div_scale_f32 v4, vcc, v6, s45, v6
	v_fma_f32 v18, -v7, v9, 1.0
	v_fmac_f32_e32 v9, v18, v9
	v_mul_f32_e32 v18, v4, v9
	v_fma_f32 v19, -v7, v18, v4
	v_fmac_f32_e32 v18, v19, v9
	v_fma_f32 v4, -v7, v18, v4
	v_div_fmas_f32 v4, v4, v9, v18
	v_div_fixup_f32 v6, v4, s45, v6
	v_and_b32_sdwa v9, v6, s49 dst_sel:DWORD dst_unused:UNUSED_PAD src0_sel:BYTE_3 src1_sel:DWORD
	v_and_b32_e32 v20, 0x7f800000, v6
	v_and_b32_e32 v4, 0x7fffff, v6
	v_or_b32_e32 v18, 0x7e, v9
	v_cmp_ne_u64_e32 vcc, s[16:17], v[20:21]
	s_and_saveexec_b64 s[0:1], vcc
	s_xor_b64 s[36:37], exec, s[0:1]
	s_cbranch_execz .LBB101_24
; %bb.11:                               ;   in Loop: Header=BB101_10 Depth=1
	v_and_b32_e32 v20, 0x7fffffff, v6
	v_mov_b32_e32 v21, v5
	v_cmp_gt_u64_e32 vcc, s[28:29], v[20:21]
	s_and_saveexec_b64 s[0:1], vcc
	s_xor_b64 s[38:39], exec, s[0:1]
	s_cbranch_execz .LBB101_23
; %bb.12:                               ;   in Loop: Header=BB101_10 Depth=1
	v_cmp_ne_u32_e32 vcc, 0, v6
	v_mov_b32_e32 v18, 0
	s_and_saveexec_b64 s[40:41], vcc
	s_cbranch_execz .LBB101_22
; %bb.13:                               ;   in Loop: Header=BB101_10 Depth=1
	v_bfe_u32 v6, v6, 23, 8
	v_sub_u32_e32 v18, 0x79, v6
	v_cmp_gt_u32_e32 vcc, s50, v6
	v_cndmask_b32_e32 v18, 0, v18, vcc
	v_cmp_eq_u32_e32 vcc, 0, v6
	v_cndmask_b32_e32 v18, v18, v16, vcc
	v_add_u32_e32 v7, 0xffffff81, v6
	v_or_b32_e32 v19, 0x800000, v4
	v_add_u32_e32 v6, 20, v18
	v_cndmask_b32_e32 v24, v7, v15, vcc
	v_cndmask_b32_e32 v4, v19, v4, vcc
	v_lshlrev_b64 v[6:7], v6, -1
	v_not_b32_e32 v6, v6
	v_lshrrev_b64 v[22:23], v18, v[4:5]
	v_not_b32_e32 v7, v7
	v_and_b32_e32 v6, v4, v6
	v_add_u32_e32 v19, 19, v18
	v_lshrrev_b32_e32 v4, 23, v22
	v_and_b32_e32 v7, 0, v7
	v_lshlrev_b64 v[20:21], v19, 1
	v_add3_u32 v19, v18, v24, v4
	v_bfe_u32 v4, v22, 20, 1
	v_add_u32_e32 v4, -1, v4
	v_cmp_eq_u64_e32 vcc, v[6:7], v[20:21]
	v_cndmask_b32_e32 v4, 0, v4, vcc
	v_add_u32_e32 v4, v4, v22
	v_and_b32_e32 v4, 0xfffff, v4
	v_add_co_u32_e32 v6, vcc, v4, v22
	v_add_u32_e32 v18, 6, v19
	v_addc_co_u32_e32 v7, vcc, 0, v23, vcc
	v_cmp_ne_u32_e32 vcc, 0, v18
                                        ; implicit-def: $vgpr4
	s_and_saveexec_b64 s[0:1], vcc
	s_xor_b64 s[0:1], exec, s[0:1]
; %bb.14:                               ;   in Loop: Header=BB101_10 Depth=1
	v_add_u32_e32 v4, 7, v19
	v_cmp_lt_u64_e32 vcc, s[30:31], v[6:7]
	v_cndmask_b32_e32 v4, v18, v4, vcc
	v_cndmask_b32_e64 v18, 0, 1, vcc
	v_lshrrev_b64 v[6:7], v18, v[6:7]
; %bb.15:                               ;   in Loop: Header=BB101_10 Depth=1
	s_andn2_saveexec_b64 s[0:1], s[0:1]
; %bb.16:                               ;   in Loop: Header=BB101_10 Depth=1
	v_bfe_u32 v4, v6, 23, 1
; %bb.17:                               ;   in Loop: Header=BB101_10 Depth=1
	s_or_b64 exec, exec, s[0:1]
	v_lshrrev_b64 v[6:7], 20, v[6:7]
	v_cmp_gt_i32_e32 vcc, 16, v4
	v_cndmask_b32_e32 v7, 0, v7, vcc
	v_cndmask_b32_e32 v6, 7, v6, vcc
	v_cmp_ne_u32_e32 vcc, 0, v4
	v_cmp_ne_u64_e64 s[0:1], 0, v[6:7]
	s_or_b64 s[0:1], vcc, s[0:1]
                                        ; implicit-def: $vgpr18
	s_and_saveexec_b64 s[52:53], s[0:1]
	s_xor_b64 s[0:1], exec, s[52:53]
; %bb.18:                               ;   in Loop: Header=BB101_10 Depth=1
	v_min_i32_e32 v4, 15, v4
	v_lshl_or_b32 v4, v4, 3, v9
	v_and_or_b32 v18, v6, 7, v4
                                        ; implicit-def: $vgpr9
; %bb.19:                               ;   in Loop: Header=BB101_10 Depth=1
	s_andn2_saveexec_b64 s[0:1], s[0:1]
; %bb.20:                               ;   in Loop: Header=BB101_10 Depth=1
	v_mov_b32_e32 v18, v9
; %bb.21:                               ;   in Loop: Header=BB101_10 Depth=1
	s_or_b64 exec, exec, s[0:1]
.LBB101_22:                             ;   in Loop: Header=BB101_10 Depth=1
	s_or_b64 exec, exec, s[40:41]
.LBB101_23:                             ;   in Loop: Header=BB101_10 Depth=1
	s_andn2_saveexec_b64 s[0:1], s[38:39]
	s_or_b64 exec, exec, s[0:1]
                                        ; implicit-def: $vgpr6
.LBB101_24:                             ;   in Loop: Header=BB101_10 Depth=1
	s_andn2_saveexec_b64 s[0:1], s[36:37]
; %bb.25:                               ;   in Loop: Header=BB101_10 Depth=1
	v_or_b32_sdwa v6, v6, s51 dst_sel:DWORD dst_unused:UNUSED_PAD src0_sel:BYTE_3 src1_sel:DWORD
	v_cmp_eq_u64_e32 vcc, 0, v[4:5]
	v_cndmask_b32_e32 v18, v6, v18, vcc
; %bb.26:                               ;   in Loop: Header=BB101_10 Depth=1
	s_or_b64 exec, exec, s[0:1]
	v_lshlrev_b32_e32 v8, 16, v8
	v_div_scale_f32 v9, s[0:1], s45, s45, v8
	v_rcp_f32_e32 v19, v9
	v_mov_b32_e32 v4, s35
	v_add_co_u32_e32 v6, vcc, s34, v13
	v_addc_co_u32_e32 v7, vcc, v14, v4, vcc
	v_fma_f32 v4, -v9, v19, 1.0
	v_fmac_f32_e32 v19, v4, v19
	v_div_scale_f32 v4, vcc, v8, s45, v8
	global_store_byte v[6:7], v18, off offset:-1
	v_mul_f32_e32 v18, v4, v19
	v_fma_f32 v20, -v9, v18, v4
	v_fmac_f32_e32 v18, v20, v19
	v_fma_f32 v4, -v9, v18, v4
	v_div_fmas_f32 v4, v4, v19, v18
	v_div_fixup_f32 v8, v4, s45, v8
	v_and_b32_sdwa v18, v8, s49 dst_sel:DWORD dst_unused:UNUSED_PAD src0_sel:BYTE_3 src1_sel:DWORD
	v_and_b32_e32 v20, 0x7f800000, v8
	v_mov_b32_e32 v21, v5
	v_and_b32_e32 v4, 0x7fffff, v8
	v_or_b32_e32 v9, 0x7e, v18
	v_cmp_ne_u64_e32 vcc, s[16:17], v[20:21]
	s_and_saveexec_b64 s[0:1], vcc
	s_xor_b64 s[36:37], exec, s[0:1]
	s_cbranch_execz .LBB101_40
; %bb.27:                               ;   in Loop: Header=BB101_10 Depth=1
	v_and_b32_e32 v20, 0x7fffffff, v8
	v_mov_b32_e32 v21, v5
	v_cmp_gt_u64_e32 vcc, s[28:29], v[20:21]
	s_and_saveexec_b64 s[0:1], vcc
	s_xor_b64 s[38:39], exec, s[0:1]
	s_cbranch_execz .LBB101_39
; %bb.28:                               ;   in Loop: Header=BB101_10 Depth=1
	v_cmp_ne_u32_e32 vcc, 0, v8
	v_mov_b32_e32 v9, 0
	s_and_saveexec_b64 s[40:41], vcc
	s_cbranch_execz .LBB101_38
; %bb.29:                               ;   in Loop: Header=BB101_10 Depth=1
	v_bfe_u32 v8, v8, 23, 8
	v_sub_u32_e32 v19, 0x79, v8
	v_cmp_gt_u32_e32 vcc, s50, v8
	v_cndmask_b32_e32 v19, 0, v19, vcc
	v_cmp_eq_u32_e32 vcc, 0, v8
	v_cndmask_b32_e32 v19, v19, v16, vcc
	v_add_u32_e32 v9, 0xffffff81, v8
	v_or_b32_e32 v20, 0x800000, v4
	v_add_u32_e32 v8, 20, v19
	v_cndmask_b32_e32 v21, v9, v15, vcc
	v_cndmask_b32_e32 v4, v20, v4, vcc
	v_lshlrev_b64 v[8:9], v8, -1
	v_not_b32_e32 v8, v8
	v_lshrrev_b64 v[24:25], v19, v[4:5]
	v_not_b32_e32 v9, v9
	v_and_b32_e32 v8, v4, v8
	v_add_u32_e32 v20, 19, v19
	v_lshrrev_b32_e32 v4, 23, v24
	v_and_b32_e32 v9, 0, v9
	v_lshlrev_b64 v[22:23], v20, 1
	v_add3_u32 v20, v19, v21, v4
	v_bfe_u32 v4, v24, 20, 1
	v_add_u32_e32 v4, -1, v4
	v_cmp_eq_u64_e32 vcc, v[8:9], v[22:23]
	v_cndmask_b32_e32 v4, 0, v4, vcc
	v_add_u32_e32 v4, v4, v24
	v_and_b32_e32 v4, 0xfffff, v4
	v_add_co_u32_e32 v8, vcc, v4, v24
	v_add_u32_e32 v19, 6, v20
	v_addc_co_u32_e32 v9, vcc, 0, v25, vcc
	v_cmp_ne_u32_e32 vcc, 0, v19
                                        ; implicit-def: $vgpr4
	s_and_saveexec_b64 s[0:1], vcc
	s_xor_b64 s[0:1], exec, s[0:1]
; %bb.30:                               ;   in Loop: Header=BB101_10 Depth=1
	v_add_u32_e32 v4, 7, v20
	v_cmp_lt_u64_e32 vcc, s[30:31], v[8:9]
	v_cndmask_b32_e32 v4, v19, v4, vcc
	v_cndmask_b32_e64 v19, 0, 1, vcc
	v_lshrrev_b64 v[8:9], v19, v[8:9]
; %bb.31:                               ;   in Loop: Header=BB101_10 Depth=1
	s_andn2_saveexec_b64 s[0:1], s[0:1]
; %bb.32:                               ;   in Loop: Header=BB101_10 Depth=1
	v_bfe_u32 v4, v8, 23, 1
; %bb.33:                               ;   in Loop: Header=BB101_10 Depth=1
	s_or_b64 exec, exec, s[0:1]
	v_lshrrev_b64 v[8:9], 20, v[8:9]
	v_cmp_gt_i32_e32 vcc, 16, v4
	v_cndmask_b32_e32 v9, 0, v9, vcc
	v_cndmask_b32_e32 v8, 7, v8, vcc
	v_cmp_ne_u32_e32 vcc, 0, v4
	v_cmp_ne_u64_e64 s[0:1], 0, v[8:9]
	s_or_b64 s[0:1], vcc, s[0:1]
                                        ; implicit-def: $vgpr9
	s_and_saveexec_b64 s[52:53], s[0:1]
	s_xor_b64 s[0:1], exec, s[52:53]
; %bb.34:                               ;   in Loop: Header=BB101_10 Depth=1
	v_min_i32_e32 v4, 15, v4
	v_lshl_or_b32 v4, v4, 3, v18
	v_and_or_b32 v9, v8, 7, v4
                                        ; implicit-def: $vgpr18
; %bb.35:                               ;   in Loop: Header=BB101_10 Depth=1
	s_andn2_saveexec_b64 s[0:1], s[0:1]
; %bb.36:                               ;   in Loop: Header=BB101_10 Depth=1
	v_mov_b32_e32 v9, v18
; %bb.37:                               ;   in Loop: Header=BB101_10 Depth=1
	s_or_b64 exec, exec, s[0:1]
.LBB101_38:                             ;   in Loop: Header=BB101_10 Depth=1
	s_or_b64 exec, exec, s[40:41]
.LBB101_39:                             ;   in Loop: Header=BB101_10 Depth=1
	s_andn2_saveexec_b64 s[0:1], s[38:39]
	s_or_b64 exec, exec, s[0:1]
                                        ; implicit-def: $vgpr8
.LBB101_40:                             ;   in Loop: Header=BB101_10 Depth=1
	s_andn2_saveexec_b64 s[0:1], s[36:37]
	s_cbranch_execz .LBB101_9
; %bb.41:                               ;   in Loop: Header=BB101_10 Depth=1
	v_or_b32_sdwa v8, v8, s51 dst_sel:DWORD dst_unused:UNUSED_PAD src0_sel:BYTE_3 src1_sel:DWORD
	v_cmp_eq_u64_e32 vcc, 0, v[4:5]
	v_cndmask_b32_e32 v9, v8, v9, vcc
	s_branch .LBB101_9
.LBB101_42:
	s_or_b64 exec, exec, s[26:27]
	v_cmp_gt_i32_e32 vcc, s10, v0
	s_and_saveexec_b64 s[0:1], vcc
	s_cbranch_execz .LBB101_61
; %bb.43:
	s_mul_i32 s0, s6, s15
	s_mul_hi_u32 s1, s6, s14
	s_add_i32 s1, s1, s0
	s_mul_i32 s0, s6, s14
	s_lshl_b64 s[0:1], s[0:1], 1
	s_add_u32 s18, s18, s0
	s_addc_u32 s0, s19, s1
	s_ashr_i32 s1, s8, 31
	s_mul_i32 s1, s22, s1
	s_add_i32 s1, s42, s1
	s_add_i32 s1, s1, s43
	s_add_u32 s2, s2, s44
	s_addc_u32 s1, s3, s1
	s_ashr_i32 s3, s9, 31
	s_load_dword s4, s[4:5], 0x8c
	s_mul_i32 s7, s7, s3
	s_waitcnt lgkmcnt(0)
	s_load_dword s20, s[24:25], 0x0
	s_add_i32 s3, s33, s7
	s_add_i32 s3, s3, s11
	s_add_u32 s11, s2, s23
	s_addc_u32 s19, s1, s3
	s_and_b32 s21, s4, 0xffff
	s_mov_b64 s[2:3], 0
	v_mov_b32_e32 v6, s0
	v_mov_b32_e32 v3, 0
	s_movk_i32 s22, 0x80
	s_mov_b64 s[4:5], 0x7f800000
	s_mov_b64 s[6:7], 0x43e00001
	s_movk_i32 s23, 0x7a
	s_mov_b64 s[8:9], 0xffffff
	s_movk_i32 s24, 0x7f
	v_mov_b32_e32 v7, 0xffffff82
	v_mov_b32_e32 v8, 0x78
	s_branch .LBB101_45
.LBB101_44:                             ;   in Loop: Header=BB101_45 Depth=1
	s_or_b64 exec, exec, s[0:1]
	v_mov_b32_e32 v2, s19
	v_add_co_u32_e32 v10, vcc, s11, v0
	v_addc_co_u32_e32 v11, vcc, v2, v1, vcc
	v_add_u32_e32 v0, s21, v0
	v_cmp_le_i32_e32 vcc, s10, v0
	s_or_b64 s[2:3], vcc, s[2:3]
	global_store_byte v[10:11], v5, off
	s_andn2_b64 exec, exec, s[2:3]
	s_cbranch_execz .LBB101_61
.LBB101_45:                             ; =>This Inner Loop Header: Depth=1
	v_ashrrev_i32_e32 v1, 31, v0
	v_lshlrev_b64 v[4:5], 1, v[0:1]
	v_add_co_u32_e32 v4, vcc, s18, v4
	v_addc_co_u32_e32 v5, vcc, v6, v5, vcc
	global_load_ushort v2, v[4:5], off
	v_mov_b32_e32 v11, v3
	s_waitcnt vmcnt(0)
	v_lshlrev_b32_e32 v2, 16, v2
	s_waitcnt lgkmcnt(0)
	v_div_scale_f32 v4, s[0:1], s20, s20, v2
	v_rcp_f32_e32 v5, v4
	v_div_scale_f32 v9, vcc, v2, s20, v2
	v_fma_f32 v10, -v4, v5, 1.0
	v_fmac_f32_e32 v5, v10, v5
	v_mul_f32_e32 v10, v9, v5
	v_fma_f32 v12, -v4, v10, v9
	v_fmac_f32_e32 v10, v12, v5
	v_fma_f32 v4, -v4, v10, v9
	v_div_fmas_f32 v4, v4, v5, v10
	v_div_fixup_f32 v4, v4, s20, v2
	v_and_b32_sdwa v9, v4, s22 dst_sel:DWORD dst_unused:UNUSED_PAD src0_sel:BYTE_3 src1_sel:DWORD
	v_and_b32_e32 v10, 0x7f800000, v4
	v_and_b32_e32 v2, 0x7fffff, v4
	v_or_b32_e32 v5, 0x7e, v9
	v_cmp_ne_u64_e32 vcc, s[4:5], v[10:11]
	s_and_saveexec_b64 s[0:1], vcc
	s_xor_b64 s[12:13], exec, s[0:1]
	s_cbranch_execz .LBB101_59
; %bb.46:                               ;   in Loop: Header=BB101_45 Depth=1
	v_and_b32_e32 v10, 0x7fffffff, v4
	v_mov_b32_e32 v11, v3
	v_cmp_gt_u64_e32 vcc, s[6:7], v[10:11]
	s_and_saveexec_b64 s[0:1], vcc
	s_xor_b64 s[14:15], exec, s[0:1]
	s_cbranch_execz .LBB101_58
; %bb.47:                               ;   in Loop: Header=BB101_45 Depth=1
	v_cmp_ne_u32_e32 vcc, 0, v4
	v_mov_b32_e32 v5, 0
	s_and_saveexec_b64 s[16:17], vcc
	s_cbranch_execz .LBB101_57
; %bb.48:                               ;   in Loop: Header=BB101_45 Depth=1
	v_bfe_u32 v4, v4, 23, 8
	v_sub_u32_e32 v10, 0x79, v4
	v_cmp_gt_u32_e32 vcc, s23, v4
	v_cndmask_b32_e32 v10, 0, v10, vcc
	v_cmp_eq_u32_e32 vcc, 0, v4
	v_cndmask_b32_e32 v10, v10, v8, vcc
	v_add_u32_e32 v5, 0xffffff81, v4
	v_or_b32_e32 v11, 0x800000, v2
	v_add_u32_e32 v4, 20, v10
	v_cndmask_b32_e32 v16, v5, v7, vcc
	v_cndmask_b32_e32 v2, v11, v2, vcc
	v_lshlrev_b64 v[4:5], v4, -1
	v_not_b32_e32 v4, v4
	v_lshrrev_b64 v[14:15], v10, v[2:3]
	v_not_b32_e32 v5, v5
	v_and_b32_e32 v4, v2, v4
	v_add_u32_e32 v11, 19, v10
	v_lshrrev_b32_e32 v2, 23, v14
	v_and_b32_e32 v5, 0, v5
	v_lshlrev_b64 v[12:13], v11, 1
	v_add3_u32 v11, v10, v16, v2
	v_bfe_u32 v2, v14, 20, 1
	v_add_u32_e32 v2, -1, v2
	v_cmp_eq_u64_e32 vcc, v[4:5], v[12:13]
	v_cndmask_b32_e32 v2, 0, v2, vcc
	v_add_u32_e32 v2, v2, v14
	v_and_b32_e32 v2, 0xfffff, v2
	v_add_co_u32_e32 v4, vcc, v2, v14
	v_add_u32_e32 v10, 6, v11
	v_addc_co_u32_e32 v5, vcc, 0, v15, vcc
	v_cmp_ne_u32_e32 vcc, 0, v10
                                        ; implicit-def: $vgpr2
	s_and_saveexec_b64 s[0:1], vcc
	s_xor_b64 s[0:1], exec, s[0:1]
; %bb.49:                               ;   in Loop: Header=BB101_45 Depth=1
	v_add_u32_e32 v2, 7, v11
	v_cmp_lt_u64_e32 vcc, s[8:9], v[4:5]
	v_cndmask_b32_e32 v2, v10, v2, vcc
	v_cndmask_b32_e64 v10, 0, 1, vcc
	v_lshrrev_b64 v[4:5], v10, v[4:5]
; %bb.50:                               ;   in Loop: Header=BB101_45 Depth=1
	s_andn2_saveexec_b64 s[0:1], s[0:1]
; %bb.51:                               ;   in Loop: Header=BB101_45 Depth=1
	v_bfe_u32 v2, v4, 23, 1
; %bb.52:                               ;   in Loop: Header=BB101_45 Depth=1
	s_or_b64 exec, exec, s[0:1]
	v_lshrrev_b64 v[4:5], 20, v[4:5]
	v_cmp_gt_i32_e32 vcc, 16, v2
	v_cndmask_b32_e32 v5, 0, v5, vcc
	v_cndmask_b32_e32 v4, 7, v4, vcc
	v_cmp_ne_u32_e32 vcc, 0, v2
	v_cmp_ne_u64_e64 s[0:1], 0, v[4:5]
	s_or_b64 s[0:1], vcc, s[0:1]
                                        ; implicit-def: $vgpr5
	s_and_saveexec_b64 s[26:27], s[0:1]
	s_xor_b64 s[0:1], exec, s[26:27]
; %bb.53:                               ;   in Loop: Header=BB101_45 Depth=1
	v_min_i32_e32 v2, 15, v2
	v_lshl_or_b32 v2, v2, 3, v9
	v_and_or_b32 v5, v4, 7, v2
                                        ; implicit-def: $vgpr9
; %bb.54:                               ;   in Loop: Header=BB101_45 Depth=1
	s_andn2_saveexec_b64 s[0:1], s[0:1]
; %bb.55:                               ;   in Loop: Header=BB101_45 Depth=1
	v_mov_b32_e32 v5, v9
; %bb.56:                               ;   in Loop: Header=BB101_45 Depth=1
	s_or_b64 exec, exec, s[0:1]
.LBB101_57:                             ;   in Loop: Header=BB101_45 Depth=1
	s_or_b64 exec, exec, s[16:17]
.LBB101_58:                             ;   in Loop: Header=BB101_45 Depth=1
	s_andn2_saveexec_b64 s[0:1], s[14:15]
	s_or_b64 exec, exec, s[0:1]
                                        ; implicit-def: $vgpr4
.LBB101_59:                             ;   in Loop: Header=BB101_45 Depth=1
	s_andn2_saveexec_b64 s[0:1], s[12:13]
	s_cbranch_execz .LBB101_44
; %bb.60:                               ;   in Loop: Header=BB101_45 Depth=1
	v_or_b32_sdwa v4, v4, s24 dst_sel:DWORD dst_unused:UNUSED_PAD src0_sel:BYTE_3 src1_sel:DWORD
	v_cmp_eq_u64_e32 vcc, 0, v[2:3]
	v_cndmask_b32_e32 v5, v4, v5, vcc
	s_branch .LBB101_44
.LBB101_61:
	s_endpgm
.LBB101_62:
                                        ; implicit-def: $sgpr22_sgpr23
	s_branch .LBB101_6
	.section	.rodata,"a",@progbits
	.p2align	6, 0x0
	.amdhsa_kernel _ZN4vllm38concat_and_cache_mla_rope_fused_kernelIN3c104HalfENS1_8BFloat16ELb0E14__hip_bfloat16hLNS_18Fp8KVCacheDataTypeE1EEEvPKlPT_S9_PKS8_PKT0_illlliPT3_S7_iiiiPKf
		.amdhsa_group_segment_fixed_size 0
		.amdhsa_private_segment_fixed_size 0
		.amdhsa_kernarg_size 384
		.amdhsa_user_sgpr_count 6
		.amdhsa_user_sgpr_private_segment_buffer 1
		.amdhsa_user_sgpr_dispatch_ptr 0
		.amdhsa_user_sgpr_queue_ptr 0
		.amdhsa_user_sgpr_kernarg_segment_ptr 1
		.amdhsa_user_sgpr_dispatch_id 0
		.amdhsa_user_sgpr_flat_scratch_init 0
		.amdhsa_user_sgpr_kernarg_preload_length 0
		.amdhsa_user_sgpr_kernarg_preload_offset 0
		.amdhsa_user_sgpr_private_segment_size 0
		.amdhsa_uses_dynamic_stack 0
		.amdhsa_system_sgpr_private_segment_wavefront_offset 0
		.amdhsa_system_sgpr_workgroup_id_x 1
		.amdhsa_system_sgpr_workgroup_id_y 0
		.amdhsa_system_sgpr_workgroup_id_z 0
		.amdhsa_system_sgpr_workgroup_info 0
		.amdhsa_system_vgpr_workitem_id 0
		.amdhsa_next_free_vgpr 26
		.amdhsa_next_free_sgpr 54
		.amdhsa_accum_offset 28
		.amdhsa_reserve_vcc 1
		.amdhsa_reserve_flat_scratch 0
		.amdhsa_float_round_mode_32 0
		.amdhsa_float_round_mode_16_64 0
		.amdhsa_float_denorm_mode_32 3
		.amdhsa_float_denorm_mode_16_64 3
		.amdhsa_dx10_clamp 1
		.amdhsa_ieee_mode 1
		.amdhsa_fp16_overflow 0
		.amdhsa_tg_split 0
		.amdhsa_exception_fp_ieee_invalid_op 0
		.amdhsa_exception_fp_denorm_src 0
		.amdhsa_exception_fp_ieee_div_zero 0
		.amdhsa_exception_fp_ieee_overflow 0
		.amdhsa_exception_fp_ieee_underflow 0
		.amdhsa_exception_fp_ieee_inexact 0
		.amdhsa_exception_int_div_zero 0
	.end_amdhsa_kernel
	.section	.text._ZN4vllm38concat_and_cache_mla_rope_fused_kernelIN3c104HalfENS1_8BFloat16ELb0E14__hip_bfloat16hLNS_18Fp8KVCacheDataTypeE1EEEvPKlPT_S9_PKS8_PKT0_illlliPT3_S7_iiiiPKf,"axG",@progbits,_ZN4vllm38concat_and_cache_mla_rope_fused_kernelIN3c104HalfENS1_8BFloat16ELb0E14__hip_bfloat16hLNS_18Fp8KVCacheDataTypeE1EEEvPKlPT_S9_PKS8_PKT0_illlliPT3_S7_iiiiPKf,comdat
.Lfunc_end101:
	.size	_ZN4vllm38concat_and_cache_mla_rope_fused_kernelIN3c104HalfENS1_8BFloat16ELb0E14__hip_bfloat16hLNS_18Fp8KVCacheDataTypeE1EEEvPKlPT_S9_PKS8_PKT0_illlliPT3_S7_iiiiPKf, .Lfunc_end101-_ZN4vllm38concat_and_cache_mla_rope_fused_kernelIN3c104HalfENS1_8BFloat16ELb0E14__hip_bfloat16hLNS_18Fp8KVCacheDataTypeE1EEEvPKlPT_S9_PKS8_PKT0_illlliPT3_S7_iiiiPKf
                                        ; -- End function
	.section	.AMDGPU.csdata,"",@progbits
; Kernel info:
; codeLenInByte = 3692
; NumSgprs: 58
; NumVgprs: 26
; NumAgprs: 0
; TotalNumVgprs: 26
; ScratchSize: 0
; MemoryBound: 0
; FloatMode: 240
; IeeeMode: 1
; LDSByteSize: 0 bytes/workgroup (compile time only)
; SGPRBlocks: 7
; VGPRBlocks: 3
; NumSGPRsForWavesPerEU: 58
; NumVGPRsForWavesPerEU: 26
; AccumOffset: 28
; Occupancy: 8
; WaveLimiterHint : 1
; COMPUTE_PGM_RSRC2:SCRATCH_EN: 0
; COMPUTE_PGM_RSRC2:USER_SGPR: 6
; COMPUTE_PGM_RSRC2:TRAP_HANDLER: 0
; COMPUTE_PGM_RSRC2:TGID_X_EN: 1
; COMPUTE_PGM_RSRC2:TGID_Y_EN: 0
; COMPUTE_PGM_RSRC2:TGID_Z_EN: 0
; COMPUTE_PGM_RSRC2:TIDIG_COMP_CNT: 0
; COMPUTE_PGM_RSRC3_GFX90A:ACCUM_OFFSET: 6
; COMPUTE_PGM_RSRC3_GFX90A:TG_SPLIT: 0
	.section	.text._ZN4vllm38concat_and_cache_mla_rope_fused_kernelIN3c108BFloat16EfLb1E14__hip_bfloat16hLNS_18Fp8KVCacheDataTypeE1EEEvPKlPT_S8_PKS7_PKT0_illlliPT3_S6_iiiiPKf,"axG",@progbits,_ZN4vllm38concat_and_cache_mla_rope_fused_kernelIN3c108BFloat16EfLb1E14__hip_bfloat16hLNS_18Fp8KVCacheDataTypeE1EEEvPKlPT_S8_PKS7_PKT0_illlliPT3_S6_iiiiPKf,comdat
	.protected	_ZN4vllm38concat_and_cache_mla_rope_fused_kernelIN3c108BFloat16EfLb1E14__hip_bfloat16hLNS_18Fp8KVCacheDataTypeE1EEEvPKlPT_S8_PKS7_PKT0_illlliPT3_S6_iiiiPKf ; -- Begin function _ZN4vllm38concat_and_cache_mla_rope_fused_kernelIN3c108BFloat16EfLb1E14__hip_bfloat16hLNS_18Fp8KVCacheDataTypeE1EEEvPKlPT_S8_PKS7_PKT0_illlliPT3_S6_iiiiPKf
	.globl	_ZN4vllm38concat_and_cache_mla_rope_fused_kernelIN3c108BFloat16EfLb1E14__hip_bfloat16hLNS_18Fp8KVCacheDataTypeE1EEEvPKlPT_S8_PKS7_PKT0_illlliPT3_S6_iiiiPKf
	.p2align	8
	.type	_ZN4vllm38concat_and_cache_mla_rope_fused_kernelIN3c108BFloat16EfLb1E14__hip_bfloat16hLNS_18Fp8KVCacheDataTypeE1EEEvPKlPT_S8_PKS7_PKT0_illlliPT3_S6_iiiiPKf,@function
_ZN4vllm38concat_and_cache_mla_rope_fused_kernelIN3c108BFloat16EfLb1E14__hip_bfloat16hLNS_18Fp8KVCacheDataTypeE1EEEvPKlPT_S8_PKS7_PKT0_illlliPT3_S6_iiiiPKf: ; @_ZN4vllm38concat_and_cache_mla_rope_fused_kernelIN3c108BFloat16EfLb1E14__hip_bfloat16hLNS_18Fp8KVCacheDataTypeE1EEEvPKlPT_S8_PKS7_PKT0_illlliPT3_S6_iiiiPKf
; %bb.0:
	s_load_dwordx2 s[2:3], s[4:5], 0x60
	s_mov_b32 s7, 0
	s_lshl_b64 s[0:1], s[6:7], 3
	s_waitcnt lgkmcnt(0)
	s_add_u32 s2, s2, s0
	s_addc_u32 s3, s3, s1
	s_load_dwordx2 s[26:27], s[2:3], 0x0
	s_waitcnt lgkmcnt(0)
	v_cmp_lt_i64_e64 s[2:3], s[26:27], 0
	s_and_b64 vcc, exec, s[2:3]
	s_cbranch_vccnz .LBB102_61
; %bb.1:
	s_load_dword s7, s[4:5], 0x28
	s_load_dwordx2 s[2:3], s[4:5], 0x0
	s_load_dwordx4 s[16:19], s[4:5], 0x10
	s_waitcnt lgkmcnt(0)
	s_ashr_i32 s22, s7, 31
	s_add_u32 s0, s2, s0
	s_addc_u32 s1, s3, s1
	s_load_dwordx2 s[2:3], s[0:1], 0x0
	s_load_dwordx2 s[28:29], s[4:5], 0x20
	s_load_dwordx8 s[8:15], s[4:5], 0x30
	s_load_dwordx2 s[20:21], s[4:5], 0x58
	s_load_dword s23, s[4:5], 0x50
	s_waitcnt lgkmcnt(0)
	s_mul_i32 s0, s2, s22
	s_mul_hi_u32 s1, s2, s7
	s_mul_i32 s3, s3, s7
	s_add_i32 s0, s1, s0
	s_add_i32 s31, s0, s3
	s_lshr_b32 s0, s7, 31
	s_mul_i32 s30, s2, s7
	s_add_i32 s7, s7, s0
	s_ashr_i32 s22, s7, 1
	s_mul_i32 s7, s22, s23
	v_cmp_gt_i32_e32 vcc, s7, v0
	s_and_saveexec_b64 s[24:25], vcc
	s_cbranch_execz .LBB102_4
; %bb.2:
	s_lshl_b64 s[0:1], s[30:31], 2
	s_add_u32 s33, s28, s0
	s_addc_u32 s36, s29, s1
	s_load_dwordx2 s[0:1], s[4:5], 0x8
	s_mul_i32 s2, s6, s9
	s_mul_hi_u32 s3, s6, s8
	s_add_i32 s3, s3, s2
	s_mul_i32 s2, s6, s8
	s_load_dword s8, s[4:5], 0x8c
	s_ashr_i32 s23, s22, 31
	s_lshl_b64 s[2:3], s[2:3], 1
	s_waitcnt lgkmcnt(0)
	s_add_u32 s40, s0, s2
	s_addc_u32 s0, s1, s3
	s_abs_i32 s41, s22
	v_cvt_f32_u32_e32 v1, s41
	s_sub_i32 s1, 0, s41
	v_mov_b32_e32 v3, s36
	s_lshl_b64 s[36:37], s[22:23], 2
	v_rcp_iflag_f32_e32 v1, v1
	s_lshl_b64 s[38:39], s[22:23], 1
	s_and_b32 s42, s8, 0xffff
	s_sub_i32 s43, 0, s22
	v_mul_f32_e32 v1, 0x4f7ffffe, v1
	v_cvt_u32_f32_e32 v1, v1
	s_mov_b64 s[34:35], 0
	v_mov_b32_e32 v4, s37
	v_mov_b32_e32 v5, s0
	v_mul_lo_u32 v2, s1, v1
	v_mul_hi_u32 v2, v1, v2
	v_add_u32_e32 v1, v1, v2
	v_mov_b32_e32 v6, s39
	s_movk_i32 s37, 0x7fff
	v_mov_b32_e32 v7, 0x7fc00000
	v_mov_b32_e32 v8, 0x7fc0
	;; [unrolled: 1-line block ×3, first 2 shown]
.LBB102_3:                              ; =>This Inner Loop Header: Depth=1
	v_sub_u32_e32 v10, 0, v2
	v_max_i32_e32 v10, v2, v10
	v_mul_hi_u32 v11, v10, v1
	v_mul_lo_u32 v12, v11, s41
	v_sub_u32_e32 v10, v10, v12
	v_add_u32_e32 v13, 1, v11
	v_cmp_le_u32_e32 vcc, s41, v10
	v_subrev_u32_e32 v12, s41, v10
	v_cndmask_b32_e32 v11, v11, v13, vcc
	v_cndmask_b32_e32 v10, v10, v12, vcc
	v_ashrrev_i32_e32 v9, 31, v2
	v_add_u32_e32 v12, 1, v11
	v_cmp_le_u32_e32 vcc, s41, v10
	v_xor_b32_e32 v9, s23, v9
	v_cndmask_b32_e32 v10, v11, v12, vcc
	v_xor_b32_e32 v10, v10, v9
	v_sub_u32_e32 v9, v10, v9
	v_mad_u64_u32 v[10:11], s[0:1], s43, v9, v[2:3]
	v_ashrrev_i32_e32 v14, 31, v9
	v_ashrrev_i32_e32 v11, 31, v10
	v_mul_lo_u32 v16, v9, s11
	v_mad_u64_u32 v[12:13], s[0:1], v9, s10, 0
	v_mul_lo_u32 v9, v14, s10
	v_lshlrev_b64 v[14:15], 2, v[10:11]
	v_add_co_u32_e32 v14, vcc, s33, v14
	v_addc_co_u32_e32 v15, vcc, v3, v15, vcc
	v_add3_u32 v13, v13, v16, v9
	v_add_co_u32_e32 v16, vcc, s36, v14
	v_lshlrev_b64 v[12:13], 1, v[12:13]
	v_addc_co_u32_e32 v17, vcc, v15, v4, vcc
	v_add_co_u32_e32 v9, vcc, s40, v12
	v_lshlrev_b64 v[10:11], 1, v[10:11]
	v_addc_co_u32_e32 v12, vcc, v5, v13, vcc
	v_add_co_u32_e32 v10, vcc, v9, v10
	global_load_dword v18, v[14:15], off
	global_load_dword v19, v[16:17], off
	v_addc_co_u32_e32 v11, vcc, v12, v11, vcc
	v_add_co_u32_e32 v12, vcc, s38, v10
	v_addc_co_u32_e32 v13, vcc, v11, v6, vcc
	global_load_ushort v9, v[10:11], off
	global_load_ushort v14, v[12:13], off
	v_add_u32_e32 v2, s42, v2
	v_cmp_le_i32_e32 vcc, s7, v2
	s_or_b64 s[34:35], vcc, s[34:35]
	s_waitcnt vmcnt(3)
	v_bfe_u32 v15, v18, 16, 1
	s_waitcnt vmcnt(2)
	v_bfe_u32 v16, v19, 16, 1
	v_add3_u32 v15, v18, v15, s37
	v_add3_u32 v16, v19, v16, s37
	v_and_b32_e32 v17, 0xffff0000, v15
	v_cmp_o_f32_e32 vcc, v18, v18
	v_and_b32_e32 v18, 0xffff0000, v16
	s_waitcnt vmcnt(1)
	v_lshlrev_b32_e32 v15, 16, v9
	s_waitcnt vmcnt(0)
	v_lshlrev_b32_e32 v14, 16, v14
	v_cndmask_b32_e32 v16, v7, v17, vcc
	v_cmp_o_f32_e32 vcc, v19, v19
	v_cndmask_b32_e32 v17, v7, v18, vcc
	v_mov_b32_e32 v18, v15
	v_mov_b32_e32 v19, v14
	v_pk_mul_f32 v[18:19], v[16:17], v[18:19]
	v_pk_mul_f32 v[14:15], v[16:17], v[14:15]
	v_bfe_u32 v9, v18, 16, 1
	v_bfe_u32 v16, v19, 16, 1
	;; [unrolled: 1-line block ×4, first 2 shown]
	v_add3_u32 v16, v19, v16, s37
	v_add3_u32 v9, v18, v9, s37
	;; [unrolled: 1-line block ×4, first 2 shown]
	v_and_b32_e32 v9, 0xffff0000, v9
	v_and_b32_e32 v16, 0xffff0000, v16
	v_cmp_o_f32_e32 vcc, v18, v18
	v_cmp_o_f32_e64 s[8:9], v19, v19
	v_and_b32_e32 v17, 0xffff0000, v17
	v_and_b32_e32 v18, 0xffff0000, v20
	v_cmp_o_f32_e64 s[0:1], v15, v15
	v_cmp_o_f32_e64 s[2:3], v14, v14
	v_cndmask_b32_e64 v14, v7, v16, s[8:9]
	v_cndmask_b32_e32 v9, v7, v9, vcc
	v_cndmask_b32_e64 v15, v7, v18, s[0:1]
	v_cndmask_b32_e64 v16, v7, v17, s[2:3]
	v_sub_f32_e32 v9, v9, v14
	v_add_f32_e32 v14, v16, v15
	v_bfe_u32 v15, v9, 16, 1
	v_bfe_u32 v16, v14, 16, 1
	v_add3_u32 v15, v9, v15, s37
	v_add3_u32 v16, v14, v16, s37
	v_lshrrev_b32_e32 v15, 16, v15
	v_cmp_o_f32_e64 s[0:1], v9, v9
	v_lshrrev_b32_e32 v16, 16, v16
	v_cmp_o_f32_e32 vcc, v14, v14
	v_cndmask_b32_e64 v9, v8, v15, s[0:1]
	v_cndmask_b32_e32 v14, v8, v16, vcc
	global_store_short v[10:11], v9, off
	global_store_short v[12:13], v14, off
	s_andn2_b64 exec, exec, s[34:35]
	s_cbranch_execnz .LBB102_3
.LBB102_4:
	s_or_b64 exec, exec, s[24:25]
	s_load_dwordx4 s[8:11], s[4:5], 0x68
	s_waitcnt lgkmcnt(0)
	s_ashr_i32 s35, s11, 31
	s_mov_b32 s34, s11
	s_or_b64 s[0:1], s[26:27], s[34:35]
	s_mov_b32 s0, 0
	s_cmp_lg_u64 s[0:1], 0
	s_cbranch_scc0 .LBB102_62
; %bb.5:
	s_add_u32 s0, s34, s35
	s_mov_b32 s2, s35
	s_mov_b32 s3, s35
	s_addc_u32 s1, s35, s35
	s_xor_b64 s[36:37], s[0:1], s[2:3]
	v_cvt_f32_u32_e32 v1, s36
	v_cvt_f32_u32_e32 v2, s37
	s_sub_u32 s0, 0, s36
	s_subb_u32 s1, 0, s37
	v_madmk_f32 v1, v2, 0x4f800000, v1
	v_rcp_f32_e32 v1, v1
	v_mul_f32_e32 v1, 0x5f7ffffc, v1
	v_mul_f32_e32 v2, 0x2f800000, v1
	v_trunc_f32_e32 v2, v2
	v_madmk_f32 v1, v2, 0xcf800000, v1
	v_cvt_u32_f32_e32 v2, v2
	v_cvt_u32_f32_e32 v1, v1
	v_readfirstlane_b32 s7, v2
	v_readfirstlane_b32 s11, v1
	s_mul_i32 s23, s0, s7
	s_mul_hi_u32 s38, s0, s11
	s_mul_i32 s33, s1, s11
	s_add_i32 s23, s38, s23
	s_add_i32 s23, s23, s33
	s_mul_i32 s39, s0, s11
	s_mul_hi_u32 s33, s11, s23
	s_mul_i32 s38, s11, s23
	s_mul_hi_u32 s11, s11, s39
	s_add_u32 s11, s11, s38
	s_addc_u32 s33, 0, s33
	s_mul_hi_u32 s40, s7, s39
	s_mul_i32 s39, s7, s39
	s_add_u32 s11, s11, s39
	s_mul_hi_u32 s38, s7, s23
	s_addc_u32 s11, s33, s40
	s_addc_u32 s33, s38, 0
	s_mul_i32 s23, s7, s23
	s_add_u32 s11, s11, s23
	s_addc_u32 s23, 0, s33
	v_add_co_u32_e32 v1, vcc, s11, v1
	s_cmp_lg_u64 vcc, 0
	s_addc_u32 s7, s7, s23
	v_readfirstlane_b32 s23, v1
	s_mul_i32 s11, s0, s7
	s_mul_hi_u32 s33, s0, s23
	s_add_i32 s11, s33, s11
	s_mul_i32 s1, s1, s23
	s_add_i32 s11, s11, s1
	s_mul_i32 s0, s0, s23
	s_mul_hi_u32 s33, s7, s0
	s_mul_i32 s38, s7, s0
	s_mul_i32 s40, s23, s11
	s_mul_hi_u32 s0, s23, s0
	s_mul_hi_u32 s39, s23, s11
	s_add_u32 s0, s0, s40
	s_addc_u32 s23, 0, s39
	s_add_u32 s0, s0, s38
	s_mul_hi_u32 s1, s7, s11
	s_addc_u32 s0, s23, s33
	s_addc_u32 s1, s1, 0
	s_mul_i32 s11, s7, s11
	s_add_u32 s0, s0, s11
	s_addc_u32 s1, 0, s1
	v_add_co_u32_e32 v1, vcc, s0, v1
	s_cmp_lg_u64 vcc, 0
	s_addc_u32 s7, s7, s1
	s_ashr_i32 s38, s27, 31
	s_add_u32 s0, s26, s38
	s_mov_b32 s39, s38
	s_addc_u32 s1, s27, s38
	s_xor_b64 s[40:41], s[0:1], s[38:39]
	v_readfirstlane_b32 s11, v1
	s_mul_i32 s1, s40, s7
	s_mul_hi_u32 s23, s40, s11
	s_mul_hi_u32 s0, s40, s7
	s_add_u32 s1, s23, s1
	s_addc_u32 s0, 0, s0
	s_mul_hi_u32 s33, s41, s11
	s_mul_i32 s11, s41, s11
	s_add_u32 s1, s1, s11
	s_mul_hi_u32 s23, s41, s7
	s_addc_u32 s0, s0, s33
	s_addc_u32 s1, s23, 0
	s_mul_i32 s7, s41, s7
	s_add_u32 s7, s0, s7
	s_addc_u32 s11, 0, s1
	s_mul_i32 s0, s36, s11
	s_mul_hi_u32 s1, s36, s7
	s_add_i32 s0, s1, s0
	s_mul_i32 s1, s37, s7
	s_add_i32 s23, s0, s1
	s_mul_i32 s1, s36, s7
	v_mov_b32_e32 v1, s1
	s_sub_i32 s0, s41, s23
	v_sub_co_u32_e32 v1, vcc, s40, v1
	s_cmp_lg_u64 vcc, 0
	s_subb_u32 s33, s0, s37
	v_subrev_co_u32_e64 v2, s[0:1], s36, v1
	s_cmp_lg_u64 s[0:1], 0
	s_subb_u32 s0, s33, 0
	s_cmp_ge_u32 s0, s37
	v_readfirstlane_b32 s33, v2
	s_cselect_b32 s1, -1, 0
	s_cmp_ge_u32 s33, s36
	s_cselect_b32 s33, -1, 0
	s_cmp_eq_u32 s0, s37
	s_cselect_b32 s0, s33, s1
	s_add_u32 s1, s7, 1
	s_addc_u32 s33, s11, 0
	s_add_u32 s40, s7, 2
	s_addc_u32 s42, s11, 0
	s_cmp_lg_u32 s0, 0
	s_cselect_b32 s0, s40, s1
	s_cselect_b32 s1, s42, s33
	s_cmp_lg_u64 vcc, 0
	s_subb_u32 s23, s41, s23
	s_cmp_ge_u32 s23, s37
	v_readfirstlane_b32 s40, v1
	s_cselect_b32 s33, -1, 0
	s_cmp_ge_u32 s40, s36
	s_cselect_b32 s36, -1, 0
	s_cmp_eq_u32 s23, s37
	s_cselect_b32 s23, s36, s33
	s_cmp_lg_u32 s23, 0
	s_cselect_b32 s1, s1, s11
	s_cselect_b32 s0, s0, s7
	s_xor_b64 s[2:3], s[38:39], s[2:3]
	s_xor_b64 s[0:1], s[0:1], s[2:3]
	s_sub_u32 s2, s0, s2
	s_subb_u32 s3, s1, s3
	s_cbranch_execnz .LBB102_7
.LBB102_6:
	v_cvt_f32_u32_e32 v1, s34
	s_sub_i32 s0, 0, s34
	s_mov_b32 s3, 0
	v_rcp_iflag_f32_e32 v1, v1
	v_mul_f32_e32 v1, 0x4f7ffffe, v1
	v_cvt_u32_f32_e32 v1, v1
	v_readfirstlane_b32 s1, v1
	s_mul_i32 s0, s0, s1
	s_mul_hi_u32 s0, s1, s0
	s_add_i32 s1, s1, s0
	s_mul_hi_u32 s0, s26, s1
	s_mul_i32 s2, s0, s34
	s_sub_i32 s2, s26, s2
	s_add_i32 s1, s0, 1
	s_sub_i32 s7, s2, s34
	s_cmp_ge_u32 s2, s34
	s_cselect_b32 s0, s1, s0
	s_cselect_b32 s2, s7, s2
	s_add_i32 s1, s0, 1
	s_cmp_ge_u32 s2, s34
	s_cselect_b32 s2, s1, s0
.LBB102_7:
	s_mul_i32 s0, s2, s35
	s_mul_hi_u32 s1, s2, s34
	s_load_dwordx2 s[24:25], s[4:5], 0x78
	s_add_i32 s0, s1, s0
	s_mul_i32 s1, s3, s34
	s_add_i32 s0, s0, s1
	s_mul_i32 s1, s2, s34
	s_sub_u32 s7, s26, s1
	s_subb_u32 s0, s27, s0
	v_cmp_gt_i32_e32 vcc, s22, v0
	s_mul_hi_u32 s46, s2, s8
	s_mul_i32 s47, s3, s8
	s_mul_i32 s48, s2, s8
	s_mul_hi_u32 s33, s7, s9
	s_mul_i32 s3, s0, s9
	s_mul_i32 s11, s7, s9
	s_and_saveexec_b64 s[26:27], vcc
	s_cbranch_execz .LBB102_42
; %bb.8:
	s_ashr_i32 s0, s8, 31
	s_ashr_i32 s1, s9, 31
	s_mul_i32 s0, s2, s0
	s_mul_i32 s1, s7, s1
	s_add_i32 s0, s46, s0
	s_add_i32 s1, s33, s1
	s_ashr_i32 s23, s22, 31
	s_add_i32 s0, s0, s47
	s_add_i32 s1, s1, s3
	s_add_u32 s34, s48, s11
	s_load_dword s36, s[4:5], 0x8c
	s_addc_u32 s35, s0, s1
	s_add_u32 s0, s34, s20
	s_addc_u32 s1, s35, s21
	s_ashr_i32 s37, s10, 31
	s_add_u32 s49, s0, s10
	s_addc_u32 s50, s1, s37
	s_waitcnt lgkmcnt(0)
	s_and_b32 s52, s36, 0xffff
	s_lshl_b64 s[0:1], s[30:31], 2
	s_add_u32 s0, s28, s0
	v_lshlrev_b32_e32 v1, 2, v0
	s_addc_u32 s1, s29, s1
	v_mov_b32_e32 v2, s1
	v_add_co_u32_e32 v4, vcc, s0, v1
	s_mul_i32 s0, s13, s6
	s_mul_hi_u32 s1, s12, s6
	s_add_i32 s1, s1, s0
	s_mul_i32 s0, s12, s6
	s_lshl_b32 s54, s52, 2
	s_lshl_b64 s[28:29], s[22:23], 2
	s_lshl_b64 s[30:31], s[22:23], 1
	;; [unrolled: 1-line block ×3, first 2 shown]
	s_add_u32 s0, s16, s0
	v_addc_co_u32_e32 v5, vcc, 0, v2, vcc
	v_lshlrev_b32_e32 v1, 1, v0
	s_addc_u32 s1, s17, s1
	s_lshl_b32 s55, s52, 1
	v_add_co_u32_e32 v6, vcc, s0, v1
	s_add_u32 s0, s34, s22
	s_load_dword s51, s[24:25], 0x0
	v_mov_b32_e32 v2, s1
	s_addc_u32 s1, s35, s23
	s_add_u32 s0, s0, s10
	s_addc_u32 s1, s1, s37
	s_mov_b32 s53, 0
	s_add_u32 s23, s20, s0
	v_mov_b32_e32 v3, 0
	v_addc_co_u32_e32 v7, vcc, 0, v2, vcc
	s_mov_b32 s56, s53
	s_addc_u32 s57, s21, s1
	s_mov_b64 s[12:13], 0
	v_mov_b32_e32 v1, s29
	v_mov_b32_e32 v10, s31
	s_movk_i32 s29, 0x7fff
	v_mov_b32_e32 v11, 0x7fc00000
	v_mov_b32_e32 v12, 0x7fc0
	s_movk_i32 s31, 0x80
	s_mov_b64 s[16:17], 0x7f800000
	s_mov_b64 s[34:35], 0x43e00001
	s_movk_i32 s58, 0x7a
	s_mov_b64 s[36:37], 0xffffff
	s_movk_i32 s59, 0x7f
	v_mov_b32_e32 v13, 0xffffff82
	v_mov_b32_e32 v14, 0x78
	s_mov_b64 s[38:39], 0
	s_branch .LBB102_10
.LBB102_9:                              ;   in Loop: Header=BB102_10 Depth=1
	s_or_b64 exec, exec, s[0:1]
	s_add_u32 s38, s38, s52
	v_mov_b32_e32 v2, s57
	v_add_co_u32_e32 v16, vcc, s23, v0
	s_addc_u32 s39, s39, 0
	v_addc_co_u32_e32 v17, vcc, 0, v2, vcc
	s_add_u32 s23, s23, s52
	v_mov_b32_e32 v8, s53
	v_add_co_u32_e32 v4, vcc, s54, v4
	s_addc_u32 s57, s57, 0
	v_add_u32_e32 v2, s38, v0
	v_addc_co_u32_e32 v5, vcc, v5, v8, vcc
	s_add_u32 s49, s49, s52
	s_addc_u32 s50, s50, 0
	v_cmp_le_i32_e32 vcc, s22, v2
	v_mov_b32_e32 v8, s56
	s_or_b64 s[12:13], vcc, s[12:13]
	v_add_co_u32_e32 v6, vcc, s55, v6
	v_addc_co_u32_e32 v7, vcc, v7, v8, vcc
	global_store_byte v[16:17], v9, off
	s_andn2_b64 exec, exec, s[12:13]
	s_cbranch_execz .LBB102_42
.LBB102_10:                             ; =>This Inner Loop Header: Depth=1
	v_add_co_u32_e32 v8, vcc, s28, v4
	global_load_dword v2, v[4:5], off
	v_addc_co_u32_e32 v9, vcc, v5, v1, vcc
	global_load_dword v15, v[8:9], off
	v_add_co_u32_e32 v8, vcc, s30, v6
	v_addc_co_u32_e32 v9, vcc, v7, v10, vcc
	global_load_ushort v16, v[6:7], off
	global_load_ushort v18, v[8:9], off
	v_mov_b32_e32 v19, v3
	s_waitcnt vmcnt(3)
	v_bfe_u32 v17, v2, 16, 1
	v_add3_u32 v21, v2, v17, s29
	v_and_b32_e32 v22, 0xffff0000, v21
	s_waitcnt vmcnt(2)
	v_bfe_u32 v20, v15, 16, 1
	v_cmp_o_f32_e32 vcc, v2, v2
	v_cndmask_b32_e32 v22, v11, v22, vcc
	v_cmp_o_f32_e32 vcc, v15, v15
	s_waitcnt vmcnt(1)
	v_lshlrev_b32_e32 v17, 16, v16
	s_waitcnt vmcnt(0)
	v_lshlrev_b32_e32 v16, 16, v18
	v_add3_u32 v18, v15, v20, s29
	v_and_b32_e32 v18, 0xffff0000, v18
	v_mov_b32_e32 v20, v17
	v_mov_b32_e32 v21, v16
	v_cndmask_b32_e32 v23, v11, v18, vcc
	v_pk_mul_f32 v[20:21], v[22:23], v[20:21]
	v_bfe_u32 v15, v21, 16, 1
	v_pk_mul_f32 v[16:17], v[22:23], v[16:17]
	v_bfe_u32 v2, v20, 16, 1
	v_add3_u32 v15, v21, v15, s29
	v_bfe_u32 v22, v17, 16, 1
	v_add3_u32 v2, v20, v2, s29
	v_and_b32_e32 v15, 0xffff0000, v15
	v_cmp_o_f32_e32 vcc, v21, v21
	v_bfe_u32 v18, v16, 16, 1
	v_add3_u32 v22, v17, v22, s29
	v_and_b32_e32 v2, 0xffff0000, v2
	v_cndmask_b32_e32 v15, v11, v15, vcc
	v_cmp_o_f32_e32 vcc, v20, v20
	v_add3_u32 v18, v16, v18, s29
	v_and_b32_e32 v22, 0xffff0000, v22
	v_cndmask_b32_e32 v2, v11, v2, vcc
	v_cmp_o_f32_e32 vcc, v17, v17
	v_and_b32_e32 v18, 0xffff0000, v18
	v_cndmask_b32_e32 v17, v11, v22, vcc
	v_cmp_o_f32_e32 vcc, v16, v16
	v_cndmask_b32_e32 v16, v11, v18, vcc
	v_sub_f32_e32 v2, v2, v15
	v_add_f32_e32 v15, v16, v17
	v_bfe_u32 v16, v2, 16, 1
	v_add3_u32 v16, v2, v16, s29
	v_lshrrev_b32_e32 v16, 16, v16
	v_cmp_o_f32_e32 vcc, v2, v2
	v_bfe_u32 v17, v15, 16, 1
	v_cndmask_b32_e32 v2, v12, v16, vcc
	v_add3_u32 v17, v15, v17, s29
	global_store_short v[6:7], v2, off
	v_lshlrev_b32_e32 v2, 16, v2
	v_lshrrev_b32_e32 v17, 16, v17
	v_cmp_o_f32_e32 vcc, v15, v15
	s_waitcnt lgkmcnt(0)
	v_div_scale_f32 v16, s[0:1], s51, s51, v2
	v_cndmask_b32_e32 v15, v12, v17, vcc
	v_rcp_f32_e32 v17, v16
	global_store_short v[8:9], v15, off
	v_div_scale_f32 v8, vcc, v2, s51, v2
	v_fma_f32 v9, -v16, v17, 1.0
	v_fmac_f32_e32 v17, v9, v17
	v_mul_f32_e32 v9, v8, v17
	v_fma_f32 v18, -v16, v9, v8
	v_fmac_f32_e32 v9, v18, v17
	v_fma_f32 v8, -v16, v9, v8
	v_div_fmas_f32 v8, v8, v17, v9
	v_div_fixup_f32 v8, v8, s51, v2
	v_and_b32_sdwa v16, v8, s31 dst_sel:DWORD dst_unused:UNUSED_PAD src0_sel:BYTE_3 src1_sel:DWORD
	v_and_b32_e32 v18, 0x7f800000, v8
	v_and_b32_e32 v2, 0x7fffff, v8
	v_or_b32_e32 v9, 0x7e, v16
	v_cmp_ne_u64_e32 vcc, s[16:17], v[18:19]
	s_and_saveexec_b64 s[0:1], vcc
	s_xor_b64 s[40:41], exec, s[0:1]
	s_cbranch_execz .LBB102_24
; %bb.11:                               ;   in Loop: Header=BB102_10 Depth=1
	v_and_b32_e32 v18, 0x7fffffff, v8
	v_mov_b32_e32 v19, v3
	v_cmp_gt_u64_e32 vcc, s[34:35], v[18:19]
	s_and_saveexec_b64 s[0:1], vcc
	s_xor_b64 s[42:43], exec, s[0:1]
	s_cbranch_execz .LBB102_23
; %bb.12:                               ;   in Loop: Header=BB102_10 Depth=1
	v_cmp_ne_u32_e32 vcc, 0, v8
	v_mov_b32_e32 v9, 0
	s_and_saveexec_b64 s[44:45], vcc
	s_cbranch_execz .LBB102_22
; %bb.13:                               ;   in Loop: Header=BB102_10 Depth=1
	v_bfe_u32 v8, v8, 23, 8
	v_sub_u32_e32 v17, 0x79, v8
	v_cmp_gt_u32_e32 vcc, s58, v8
	v_cndmask_b32_e32 v17, 0, v17, vcc
	v_cmp_eq_u32_e32 vcc, 0, v8
	v_cndmask_b32_e32 v17, v17, v14, vcc
	v_add_u32_e32 v9, 0xffffff81, v8
	v_or_b32_e32 v18, 0x800000, v2
	v_add_u32_e32 v8, 20, v17
	v_cndmask_b32_e32 v19, v9, v13, vcc
	v_cndmask_b32_e32 v2, v18, v2, vcc
	v_lshlrev_b64 v[8:9], v8, -1
	v_not_b32_e32 v8, v8
	v_lshrrev_b64 v[22:23], v17, v[2:3]
	v_not_b32_e32 v9, v9
	v_and_b32_e32 v8, v2, v8
	v_add_u32_e32 v18, 19, v17
	v_lshrrev_b32_e32 v2, 23, v22
	v_and_b32_e32 v9, 0, v9
	v_lshlrev_b64 v[20:21], v18, 1
	v_add3_u32 v18, v17, v19, v2
	v_bfe_u32 v2, v22, 20, 1
	v_add_u32_e32 v2, -1, v2
	v_cmp_eq_u64_e32 vcc, v[8:9], v[20:21]
	v_cndmask_b32_e32 v2, 0, v2, vcc
	v_add_u32_e32 v2, v2, v22
	v_and_b32_e32 v2, 0xfffff, v2
	v_add_co_u32_e32 v8, vcc, v2, v22
	v_add_u32_e32 v17, 6, v18
	v_addc_co_u32_e32 v9, vcc, 0, v23, vcc
	v_cmp_ne_u32_e32 vcc, 0, v17
                                        ; implicit-def: $vgpr2
	s_and_saveexec_b64 s[0:1], vcc
	s_xor_b64 s[0:1], exec, s[0:1]
; %bb.14:                               ;   in Loop: Header=BB102_10 Depth=1
	v_add_u32_e32 v2, 7, v18
	v_cmp_lt_u64_e32 vcc, s[36:37], v[8:9]
	v_cndmask_b32_e32 v2, v17, v2, vcc
	v_cndmask_b32_e64 v17, 0, 1, vcc
	v_lshrrev_b64 v[8:9], v17, v[8:9]
; %bb.15:                               ;   in Loop: Header=BB102_10 Depth=1
	s_andn2_saveexec_b64 s[0:1], s[0:1]
; %bb.16:                               ;   in Loop: Header=BB102_10 Depth=1
	v_bfe_u32 v2, v8, 23, 1
; %bb.17:                               ;   in Loop: Header=BB102_10 Depth=1
	s_or_b64 exec, exec, s[0:1]
	v_lshrrev_b64 v[8:9], 20, v[8:9]
	v_cmp_gt_i32_e32 vcc, 16, v2
	v_cndmask_b32_e32 v9, 0, v9, vcc
	v_cndmask_b32_e32 v8, 7, v8, vcc
	v_cmp_ne_u32_e32 vcc, 0, v2
	v_cmp_ne_u64_e64 s[0:1], 0, v[8:9]
	s_or_b64 s[0:1], vcc, s[0:1]
                                        ; implicit-def: $vgpr9
	s_and_saveexec_b64 s[60:61], s[0:1]
	s_xor_b64 s[0:1], exec, s[60:61]
; %bb.18:                               ;   in Loop: Header=BB102_10 Depth=1
	v_min_i32_e32 v2, 15, v2
	v_lshl_or_b32 v2, v2, 3, v16
	v_and_or_b32 v9, v8, 7, v2
                                        ; implicit-def: $vgpr16
; %bb.19:                               ;   in Loop: Header=BB102_10 Depth=1
	s_andn2_saveexec_b64 s[0:1], s[0:1]
; %bb.20:                               ;   in Loop: Header=BB102_10 Depth=1
	v_mov_b32_e32 v9, v16
; %bb.21:                               ;   in Loop: Header=BB102_10 Depth=1
	s_or_b64 exec, exec, s[0:1]
.LBB102_22:                             ;   in Loop: Header=BB102_10 Depth=1
	s_or_b64 exec, exec, s[44:45]
.LBB102_23:                             ;   in Loop: Header=BB102_10 Depth=1
	s_andn2_saveexec_b64 s[0:1], s[42:43]
	s_or_b64 exec, exec, s[0:1]
                                        ; implicit-def: $vgpr8
.LBB102_24:                             ;   in Loop: Header=BB102_10 Depth=1
	s_andn2_saveexec_b64 s[0:1], s[40:41]
; %bb.25:                               ;   in Loop: Header=BB102_10 Depth=1
	v_or_b32_sdwa v8, v8, s59 dst_sel:DWORD dst_unused:UNUSED_PAD src0_sel:BYTE_3 src1_sel:DWORD
	v_cmp_eq_u64_e32 vcc, 0, v[2:3]
	v_cndmask_b32_e32 v9, v8, v9, vcc
; %bb.26:                               ;   in Loop: Header=BB102_10 Depth=1
	s_or_b64 exec, exec, s[0:1]
	v_lshlrev_b32_e32 v8, 16, v15
	v_div_scale_f32 v15, s[0:1], s51, s51, v8
	v_rcp_f32_e32 v18, v15
	v_mov_b32_e32 v2, s50
	v_add_co_u32_e32 v16, vcc, s49, v0
	v_addc_co_u32_e32 v17, vcc, 0, v2, vcc
	v_fma_f32 v2, -v15, v18, 1.0
	v_fmac_f32_e32 v18, v2, v18
	v_div_scale_f32 v2, vcc, v8, s51, v8
	global_store_byte v[16:17], v9, off
	v_mul_f32_e32 v9, v2, v18
	v_fma_f32 v16, -v15, v9, v2
	v_fmac_f32_e32 v9, v16, v18
	v_fma_f32 v2, -v15, v9, v2
	v_div_fmas_f32 v2, v2, v18, v9
	v_div_fixup_f32 v8, v2, s51, v8
	v_and_b32_sdwa v15, v8, s31 dst_sel:DWORD dst_unused:UNUSED_PAD src0_sel:BYTE_3 src1_sel:DWORD
	v_and_b32_e32 v16, 0x7f800000, v8
	v_mov_b32_e32 v17, v3
	v_and_b32_e32 v2, 0x7fffff, v8
	v_or_b32_e32 v9, 0x7e, v15
	v_cmp_ne_u64_e32 vcc, s[16:17], v[16:17]
	s_and_saveexec_b64 s[0:1], vcc
	s_xor_b64 s[40:41], exec, s[0:1]
	s_cbranch_execz .LBB102_40
; %bb.27:                               ;   in Loop: Header=BB102_10 Depth=1
	v_and_b32_e32 v16, 0x7fffffff, v8
	v_mov_b32_e32 v17, v3
	v_cmp_gt_u64_e32 vcc, s[34:35], v[16:17]
	s_and_saveexec_b64 s[0:1], vcc
	s_xor_b64 s[42:43], exec, s[0:1]
	s_cbranch_execz .LBB102_39
; %bb.28:                               ;   in Loop: Header=BB102_10 Depth=1
	v_cmp_ne_u32_e32 vcc, 0, v8
	v_mov_b32_e32 v9, 0
	s_and_saveexec_b64 s[44:45], vcc
	s_cbranch_execz .LBB102_38
; %bb.29:                               ;   in Loop: Header=BB102_10 Depth=1
	v_bfe_u32 v8, v8, 23, 8
	v_sub_u32_e32 v16, 0x79, v8
	v_cmp_gt_u32_e32 vcc, s58, v8
	v_cndmask_b32_e32 v16, 0, v16, vcc
	v_cmp_eq_u32_e32 vcc, 0, v8
	v_cndmask_b32_e32 v16, v16, v14, vcc
	v_add_u32_e32 v9, 0xffffff81, v8
	v_or_b32_e32 v17, 0x800000, v2
	v_add_u32_e32 v8, 20, v16
	v_cndmask_b32_e32 v22, v9, v13, vcc
	v_cndmask_b32_e32 v2, v17, v2, vcc
	v_lshlrev_b64 v[8:9], v8, -1
	v_not_b32_e32 v8, v8
	v_lshrrev_b64 v[20:21], v16, v[2:3]
	v_not_b32_e32 v9, v9
	v_and_b32_e32 v8, v2, v8
	v_add_u32_e32 v17, 19, v16
	v_lshrrev_b32_e32 v2, 23, v20
	v_and_b32_e32 v9, 0, v9
	v_lshlrev_b64 v[18:19], v17, 1
	v_add3_u32 v17, v16, v22, v2
	v_bfe_u32 v2, v20, 20, 1
	v_add_u32_e32 v2, -1, v2
	v_cmp_eq_u64_e32 vcc, v[8:9], v[18:19]
	v_cndmask_b32_e32 v2, 0, v2, vcc
	v_add_u32_e32 v2, v2, v20
	v_and_b32_e32 v2, 0xfffff, v2
	v_add_co_u32_e32 v8, vcc, v2, v20
	v_add_u32_e32 v16, 6, v17
	v_addc_co_u32_e32 v9, vcc, 0, v21, vcc
	v_cmp_ne_u32_e32 vcc, 0, v16
                                        ; implicit-def: $vgpr2
	s_and_saveexec_b64 s[0:1], vcc
	s_xor_b64 s[0:1], exec, s[0:1]
; %bb.30:                               ;   in Loop: Header=BB102_10 Depth=1
	v_add_u32_e32 v2, 7, v17
	v_cmp_lt_u64_e32 vcc, s[36:37], v[8:9]
	v_cndmask_b32_e32 v2, v16, v2, vcc
	v_cndmask_b32_e64 v16, 0, 1, vcc
	v_lshrrev_b64 v[8:9], v16, v[8:9]
; %bb.31:                               ;   in Loop: Header=BB102_10 Depth=1
	s_andn2_saveexec_b64 s[0:1], s[0:1]
; %bb.32:                               ;   in Loop: Header=BB102_10 Depth=1
	v_bfe_u32 v2, v8, 23, 1
; %bb.33:                               ;   in Loop: Header=BB102_10 Depth=1
	s_or_b64 exec, exec, s[0:1]
	v_lshrrev_b64 v[8:9], 20, v[8:9]
	v_cmp_gt_i32_e32 vcc, 16, v2
	v_cndmask_b32_e32 v9, 0, v9, vcc
	v_cndmask_b32_e32 v8, 7, v8, vcc
	v_cmp_ne_u32_e32 vcc, 0, v2
	v_cmp_ne_u64_e64 s[0:1], 0, v[8:9]
	s_or_b64 s[0:1], vcc, s[0:1]
                                        ; implicit-def: $vgpr9
	s_and_saveexec_b64 s[60:61], s[0:1]
	s_xor_b64 s[0:1], exec, s[60:61]
; %bb.34:                               ;   in Loop: Header=BB102_10 Depth=1
	v_min_i32_e32 v2, 15, v2
	v_lshl_or_b32 v2, v2, 3, v15
	v_and_or_b32 v9, v8, 7, v2
                                        ; implicit-def: $vgpr15
; %bb.35:                               ;   in Loop: Header=BB102_10 Depth=1
	s_andn2_saveexec_b64 s[0:1], s[0:1]
; %bb.36:                               ;   in Loop: Header=BB102_10 Depth=1
	v_mov_b32_e32 v9, v15
; %bb.37:                               ;   in Loop: Header=BB102_10 Depth=1
	s_or_b64 exec, exec, s[0:1]
.LBB102_38:                             ;   in Loop: Header=BB102_10 Depth=1
	s_or_b64 exec, exec, s[44:45]
.LBB102_39:                             ;   in Loop: Header=BB102_10 Depth=1
	s_andn2_saveexec_b64 s[0:1], s[42:43]
	s_or_b64 exec, exec, s[0:1]
                                        ; implicit-def: $vgpr8
.LBB102_40:                             ;   in Loop: Header=BB102_10 Depth=1
	s_andn2_saveexec_b64 s[0:1], s[40:41]
	s_cbranch_execz .LBB102_9
; %bb.41:                               ;   in Loop: Header=BB102_10 Depth=1
	v_or_b32_sdwa v8, v8, s59 dst_sel:DWORD dst_unused:UNUSED_PAD src0_sel:BYTE_3 src1_sel:DWORD
	v_cmp_eq_u64_e32 vcc, 0, v[2:3]
	v_cndmask_b32_e32 v9, v8, v9, vcc
	s_branch .LBB102_9
.LBB102_42:
	s_or_b64 exec, exec, s[26:27]
	v_cmp_gt_i32_e32 vcc, s10, v0
	s_and_saveexec_b64 s[0:1], vcc
	s_cbranch_execz .LBB102_61
; %bb.43:
	s_mul_i32 s0, s6, s15
	s_mul_hi_u32 s1, s6, s14
	s_add_i32 s1, s1, s0
	s_mul_i32 s0, s6, s14
	s_lshl_b64 s[0:1], s[0:1], 1
	s_add_u32 s18, s18, s0
	s_addc_u32 s0, s19, s1
	s_ashr_i32 s1, s8, 31
	s_mul_i32 s1, s2, s1
	s_add_i32 s1, s46, s1
	s_add_i32 s1, s1, s47
	s_add_u32 s2, s20, s48
	s_addc_u32 s1, s21, s1
	s_ashr_i32 s6, s9, 31
	s_load_dword s4, s[4:5], 0x8c
	s_mul_i32 s7, s7, s6
	s_waitcnt lgkmcnt(0)
	s_load_dword s20, s[24:25], 0x0
	s_add_i32 s6, s33, s7
	s_add_i32 s6, s6, s3
	s_add_u32 s11, s2, s11
	s_addc_u32 s19, s1, s6
	s_and_b32 s21, s4, 0xffff
	s_mov_b64 s[2:3], 0
	v_mov_b32_e32 v6, s0
	v_mov_b32_e32 v3, 0
	s_movk_i32 s22, 0x80
	s_mov_b64 s[4:5], 0x7f800000
	s_mov_b64 s[6:7], 0x43e00001
	s_movk_i32 s23, 0x7a
	s_mov_b64 s[8:9], 0xffffff
	s_movk_i32 s24, 0x7f
	v_mov_b32_e32 v7, 0xffffff82
	v_mov_b32_e32 v8, 0x78
	s_branch .LBB102_45
.LBB102_44:                             ;   in Loop: Header=BB102_45 Depth=1
	s_or_b64 exec, exec, s[0:1]
	v_mov_b32_e32 v2, s19
	v_add_co_u32_e32 v10, vcc, s11, v0
	v_addc_co_u32_e32 v11, vcc, v2, v1, vcc
	v_add_u32_e32 v0, s21, v0
	v_cmp_le_i32_e32 vcc, s10, v0
	s_or_b64 s[2:3], vcc, s[2:3]
	global_store_byte v[10:11], v5, off
	s_andn2_b64 exec, exec, s[2:3]
	s_cbranch_execz .LBB102_61
.LBB102_45:                             ; =>This Inner Loop Header: Depth=1
	v_ashrrev_i32_e32 v1, 31, v0
	v_lshlrev_b64 v[4:5], 1, v[0:1]
	v_add_co_u32_e32 v4, vcc, s18, v4
	v_addc_co_u32_e32 v5, vcc, v6, v5, vcc
	global_load_ushort v2, v[4:5], off
	v_mov_b32_e32 v11, v3
	s_waitcnt vmcnt(0)
	v_lshlrev_b32_e32 v2, 16, v2
	s_waitcnt lgkmcnt(0)
	v_div_scale_f32 v4, s[0:1], s20, s20, v2
	v_rcp_f32_e32 v5, v4
	v_div_scale_f32 v9, vcc, v2, s20, v2
	v_fma_f32 v10, -v4, v5, 1.0
	v_fmac_f32_e32 v5, v10, v5
	v_mul_f32_e32 v10, v9, v5
	v_fma_f32 v12, -v4, v10, v9
	v_fmac_f32_e32 v10, v12, v5
	v_fma_f32 v4, -v4, v10, v9
	v_div_fmas_f32 v4, v4, v5, v10
	v_div_fixup_f32 v4, v4, s20, v2
	v_and_b32_sdwa v9, v4, s22 dst_sel:DWORD dst_unused:UNUSED_PAD src0_sel:BYTE_3 src1_sel:DWORD
	v_and_b32_e32 v10, 0x7f800000, v4
	v_and_b32_e32 v2, 0x7fffff, v4
	v_or_b32_e32 v5, 0x7e, v9
	v_cmp_ne_u64_e32 vcc, s[4:5], v[10:11]
	s_and_saveexec_b64 s[0:1], vcc
	s_xor_b64 s[12:13], exec, s[0:1]
	s_cbranch_execz .LBB102_59
; %bb.46:                               ;   in Loop: Header=BB102_45 Depth=1
	v_and_b32_e32 v10, 0x7fffffff, v4
	v_mov_b32_e32 v11, v3
	v_cmp_gt_u64_e32 vcc, s[6:7], v[10:11]
	s_and_saveexec_b64 s[0:1], vcc
	s_xor_b64 s[14:15], exec, s[0:1]
	s_cbranch_execz .LBB102_58
; %bb.47:                               ;   in Loop: Header=BB102_45 Depth=1
	v_cmp_ne_u32_e32 vcc, 0, v4
	v_mov_b32_e32 v5, 0
	s_and_saveexec_b64 s[16:17], vcc
	s_cbranch_execz .LBB102_57
; %bb.48:                               ;   in Loop: Header=BB102_45 Depth=1
	v_bfe_u32 v4, v4, 23, 8
	v_sub_u32_e32 v10, 0x79, v4
	v_cmp_gt_u32_e32 vcc, s23, v4
	v_cndmask_b32_e32 v10, 0, v10, vcc
	v_cmp_eq_u32_e32 vcc, 0, v4
	v_cndmask_b32_e32 v10, v10, v8, vcc
	v_add_u32_e32 v5, 0xffffff81, v4
	v_or_b32_e32 v11, 0x800000, v2
	v_add_u32_e32 v4, 20, v10
	v_cndmask_b32_e32 v16, v5, v7, vcc
	v_cndmask_b32_e32 v2, v11, v2, vcc
	v_lshlrev_b64 v[4:5], v4, -1
	v_not_b32_e32 v4, v4
	v_lshrrev_b64 v[14:15], v10, v[2:3]
	v_not_b32_e32 v5, v5
	v_and_b32_e32 v4, v2, v4
	v_add_u32_e32 v11, 19, v10
	v_lshrrev_b32_e32 v2, 23, v14
	v_and_b32_e32 v5, 0, v5
	v_lshlrev_b64 v[12:13], v11, 1
	v_add3_u32 v11, v10, v16, v2
	v_bfe_u32 v2, v14, 20, 1
	v_add_u32_e32 v2, -1, v2
	v_cmp_eq_u64_e32 vcc, v[4:5], v[12:13]
	v_cndmask_b32_e32 v2, 0, v2, vcc
	v_add_u32_e32 v2, v2, v14
	v_and_b32_e32 v2, 0xfffff, v2
	v_add_co_u32_e32 v4, vcc, v2, v14
	v_add_u32_e32 v10, 6, v11
	v_addc_co_u32_e32 v5, vcc, 0, v15, vcc
	v_cmp_ne_u32_e32 vcc, 0, v10
                                        ; implicit-def: $vgpr2
	s_and_saveexec_b64 s[0:1], vcc
	s_xor_b64 s[0:1], exec, s[0:1]
; %bb.49:                               ;   in Loop: Header=BB102_45 Depth=1
	v_add_u32_e32 v2, 7, v11
	v_cmp_lt_u64_e32 vcc, s[8:9], v[4:5]
	v_cndmask_b32_e32 v2, v10, v2, vcc
	v_cndmask_b32_e64 v10, 0, 1, vcc
	v_lshrrev_b64 v[4:5], v10, v[4:5]
; %bb.50:                               ;   in Loop: Header=BB102_45 Depth=1
	s_andn2_saveexec_b64 s[0:1], s[0:1]
; %bb.51:                               ;   in Loop: Header=BB102_45 Depth=1
	v_bfe_u32 v2, v4, 23, 1
; %bb.52:                               ;   in Loop: Header=BB102_45 Depth=1
	s_or_b64 exec, exec, s[0:1]
	v_lshrrev_b64 v[4:5], 20, v[4:5]
	v_cmp_gt_i32_e32 vcc, 16, v2
	v_cndmask_b32_e32 v5, 0, v5, vcc
	v_cndmask_b32_e32 v4, 7, v4, vcc
	v_cmp_ne_u32_e32 vcc, 0, v2
	v_cmp_ne_u64_e64 s[0:1], 0, v[4:5]
	s_or_b64 s[0:1], vcc, s[0:1]
                                        ; implicit-def: $vgpr5
	s_and_saveexec_b64 s[26:27], s[0:1]
	s_xor_b64 s[0:1], exec, s[26:27]
; %bb.53:                               ;   in Loop: Header=BB102_45 Depth=1
	v_min_i32_e32 v2, 15, v2
	v_lshl_or_b32 v2, v2, 3, v9
	v_and_or_b32 v5, v4, 7, v2
                                        ; implicit-def: $vgpr9
; %bb.54:                               ;   in Loop: Header=BB102_45 Depth=1
	s_andn2_saveexec_b64 s[0:1], s[0:1]
; %bb.55:                               ;   in Loop: Header=BB102_45 Depth=1
	v_mov_b32_e32 v5, v9
; %bb.56:                               ;   in Loop: Header=BB102_45 Depth=1
	s_or_b64 exec, exec, s[0:1]
.LBB102_57:                             ;   in Loop: Header=BB102_45 Depth=1
	s_or_b64 exec, exec, s[16:17]
.LBB102_58:                             ;   in Loop: Header=BB102_45 Depth=1
	s_andn2_saveexec_b64 s[0:1], s[14:15]
	s_or_b64 exec, exec, s[0:1]
                                        ; implicit-def: $vgpr4
.LBB102_59:                             ;   in Loop: Header=BB102_45 Depth=1
	s_andn2_saveexec_b64 s[0:1], s[12:13]
	s_cbranch_execz .LBB102_44
; %bb.60:                               ;   in Loop: Header=BB102_45 Depth=1
	v_or_b32_sdwa v4, v4, s24 dst_sel:DWORD dst_unused:UNUSED_PAD src0_sel:BYTE_3 src1_sel:DWORD
	v_cmp_eq_u64_e32 vcc, 0, v[2:3]
	v_cndmask_b32_e32 v5, v4, v5, vcc
	s_branch .LBB102_44
.LBB102_61:
	s_endpgm
.LBB102_62:
                                        ; implicit-def: $sgpr2_sgpr3
	s_branch .LBB102_6
	.section	.rodata,"a",@progbits
	.p2align	6, 0x0
	.amdhsa_kernel _ZN4vllm38concat_and_cache_mla_rope_fused_kernelIN3c108BFloat16EfLb1E14__hip_bfloat16hLNS_18Fp8KVCacheDataTypeE1EEEvPKlPT_S8_PKS7_PKT0_illlliPT3_S6_iiiiPKf
		.amdhsa_group_segment_fixed_size 0
		.amdhsa_private_segment_fixed_size 0
		.amdhsa_kernarg_size 384
		.amdhsa_user_sgpr_count 6
		.amdhsa_user_sgpr_private_segment_buffer 1
		.amdhsa_user_sgpr_dispatch_ptr 0
		.amdhsa_user_sgpr_queue_ptr 0
		.amdhsa_user_sgpr_kernarg_segment_ptr 1
		.amdhsa_user_sgpr_dispatch_id 0
		.amdhsa_user_sgpr_flat_scratch_init 0
		.amdhsa_user_sgpr_kernarg_preload_length 0
		.amdhsa_user_sgpr_kernarg_preload_offset 0
		.amdhsa_user_sgpr_private_segment_size 0
		.amdhsa_uses_dynamic_stack 0
		.amdhsa_system_sgpr_private_segment_wavefront_offset 0
		.amdhsa_system_sgpr_workgroup_id_x 1
		.amdhsa_system_sgpr_workgroup_id_y 0
		.amdhsa_system_sgpr_workgroup_id_z 0
		.amdhsa_system_sgpr_workgroup_info 0
		.amdhsa_system_vgpr_workitem_id 0
		.amdhsa_next_free_vgpr 24
		.amdhsa_next_free_sgpr 62
		.amdhsa_accum_offset 24
		.amdhsa_reserve_vcc 1
		.amdhsa_reserve_flat_scratch 0
		.amdhsa_float_round_mode_32 0
		.amdhsa_float_round_mode_16_64 0
		.amdhsa_float_denorm_mode_32 3
		.amdhsa_float_denorm_mode_16_64 3
		.amdhsa_dx10_clamp 1
		.amdhsa_ieee_mode 1
		.amdhsa_fp16_overflow 0
		.amdhsa_tg_split 0
		.amdhsa_exception_fp_ieee_invalid_op 0
		.amdhsa_exception_fp_denorm_src 0
		.amdhsa_exception_fp_ieee_div_zero 0
		.amdhsa_exception_fp_ieee_overflow 0
		.amdhsa_exception_fp_ieee_underflow 0
		.amdhsa_exception_fp_ieee_inexact 0
		.amdhsa_exception_int_div_zero 0
	.end_amdhsa_kernel
	.section	.text._ZN4vllm38concat_and_cache_mla_rope_fused_kernelIN3c108BFloat16EfLb1E14__hip_bfloat16hLNS_18Fp8KVCacheDataTypeE1EEEvPKlPT_S8_PKS7_PKT0_illlliPT3_S6_iiiiPKf,"axG",@progbits,_ZN4vllm38concat_and_cache_mla_rope_fused_kernelIN3c108BFloat16EfLb1E14__hip_bfloat16hLNS_18Fp8KVCacheDataTypeE1EEEvPKlPT_S8_PKS7_PKT0_illlliPT3_S6_iiiiPKf,comdat
.Lfunc_end102:
	.size	_ZN4vllm38concat_and_cache_mla_rope_fused_kernelIN3c108BFloat16EfLb1E14__hip_bfloat16hLNS_18Fp8KVCacheDataTypeE1EEEvPKlPT_S8_PKS7_PKT0_illlliPT3_S6_iiiiPKf, .Lfunc_end102-_ZN4vllm38concat_and_cache_mla_rope_fused_kernelIN3c108BFloat16EfLb1E14__hip_bfloat16hLNS_18Fp8KVCacheDataTypeE1EEEvPKlPT_S8_PKS7_PKT0_illlliPT3_S6_iiiiPKf
                                        ; -- End function
	.section	.AMDGPU.csdata,"",@progbits
; Kernel info:
; codeLenInByte = 4292
; NumSgprs: 66
; NumVgprs: 24
; NumAgprs: 0
; TotalNumVgprs: 24
; ScratchSize: 0
; MemoryBound: 0
; FloatMode: 240
; IeeeMode: 1
; LDSByteSize: 0 bytes/workgroup (compile time only)
; SGPRBlocks: 8
; VGPRBlocks: 2
; NumSGPRsForWavesPerEU: 66
; NumVGPRsForWavesPerEU: 24
; AccumOffset: 24
; Occupancy: 8
; WaveLimiterHint : 1
; COMPUTE_PGM_RSRC2:SCRATCH_EN: 0
; COMPUTE_PGM_RSRC2:USER_SGPR: 6
; COMPUTE_PGM_RSRC2:TRAP_HANDLER: 0
; COMPUTE_PGM_RSRC2:TGID_X_EN: 1
; COMPUTE_PGM_RSRC2:TGID_Y_EN: 0
; COMPUTE_PGM_RSRC2:TGID_Z_EN: 0
; COMPUTE_PGM_RSRC2:TIDIG_COMP_CNT: 0
; COMPUTE_PGM_RSRC3_GFX90A:ACCUM_OFFSET: 5
; COMPUTE_PGM_RSRC3_GFX90A:TG_SPLIT: 0
	.section	.text._ZN4vllm38concat_and_cache_mla_rope_fused_kernelIN3c108BFloat16EfLb0E14__hip_bfloat16hLNS_18Fp8KVCacheDataTypeE1EEEvPKlPT_S8_PKS7_PKT0_illlliPT3_S6_iiiiPKf,"axG",@progbits,_ZN4vllm38concat_and_cache_mla_rope_fused_kernelIN3c108BFloat16EfLb0E14__hip_bfloat16hLNS_18Fp8KVCacheDataTypeE1EEEvPKlPT_S8_PKS7_PKT0_illlliPT3_S6_iiiiPKf,comdat
	.protected	_ZN4vllm38concat_and_cache_mla_rope_fused_kernelIN3c108BFloat16EfLb0E14__hip_bfloat16hLNS_18Fp8KVCacheDataTypeE1EEEvPKlPT_S8_PKS7_PKT0_illlliPT3_S6_iiiiPKf ; -- Begin function _ZN4vllm38concat_and_cache_mla_rope_fused_kernelIN3c108BFloat16EfLb0E14__hip_bfloat16hLNS_18Fp8KVCacheDataTypeE1EEEvPKlPT_S8_PKS7_PKT0_illlliPT3_S6_iiiiPKf
	.globl	_ZN4vllm38concat_and_cache_mla_rope_fused_kernelIN3c108BFloat16EfLb0E14__hip_bfloat16hLNS_18Fp8KVCacheDataTypeE1EEEvPKlPT_S8_PKS7_PKT0_illlliPT3_S6_iiiiPKf
	.p2align	8
	.type	_ZN4vllm38concat_and_cache_mla_rope_fused_kernelIN3c108BFloat16EfLb0E14__hip_bfloat16hLNS_18Fp8KVCacheDataTypeE1EEEvPKlPT_S8_PKS7_PKT0_illlliPT3_S6_iiiiPKf,@function
_ZN4vllm38concat_and_cache_mla_rope_fused_kernelIN3c108BFloat16EfLb0E14__hip_bfloat16hLNS_18Fp8KVCacheDataTypeE1EEEvPKlPT_S8_PKS7_PKT0_illlliPT3_S6_iiiiPKf: ; @_ZN4vllm38concat_and_cache_mla_rope_fused_kernelIN3c108BFloat16EfLb0E14__hip_bfloat16hLNS_18Fp8KVCacheDataTypeE1EEEvPKlPT_S8_PKS7_PKT0_illlliPT3_S6_iiiiPKf
; %bb.0:
	s_load_dwordx2 s[2:3], s[4:5], 0x60
	s_mov_b32 s7, 0
	s_lshl_b64 s[0:1], s[6:7], 3
	s_waitcnt lgkmcnt(0)
	s_add_u32 s2, s2, s0
	s_addc_u32 s3, s3, s1
	s_load_dwordx2 s[26:27], s[2:3], 0x0
	s_waitcnt lgkmcnt(0)
	v_cmp_lt_i64_e64 s[2:3], s[26:27], 0
	s_and_b64 vcc, exec, s[2:3]
	s_cbranch_vccnz .LBB103_61
; %bb.1:
	s_load_dword s7, s[4:5], 0x28
	s_load_dwordx2 s[2:3], s[4:5], 0x0
	s_load_dwordx4 s[16:19], s[4:5], 0x10
	v_lshlrev_b32_e32 v3, 1, v0
	s_waitcnt lgkmcnt(0)
	s_ashr_i32 s22, s7, 31
	s_add_u32 s0, s2, s0
	s_addc_u32 s1, s3, s1
	s_load_dwordx2 s[20:21], s[0:1], 0x0
	s_load_dwordx2 s[28:29], s[4:5], 0x20
	s_load_dwordx8 s[8:15], s[4:5], 0x30
	s_load_dwordx2 s[2:3], s[4:5], 0x58
	s_load_dword s23, s[4:5], 0x50
	s_waitcnt lgkmcnt(0)
	s_mul_i32 s0, s20, s22
	s_mul_hi_u32 s1, s20, s7
	s_mul_i32 s21, s21, s7
	s_add_i32 s0, s1, s0
	s_add_i32 s31, s0, s21
	s_lshr_b32 s0, s7, 31
	s_mul_i32 s30, s20, s7
	s_add_i32 s7, s7, s0
	s_ashr_i32 s20, s7, 1
	s_mul_i32 s7, s20, s23
	v_cmp_gt_i32_e32 vcc, s7, v0
	s_and_saveexec_b64 s[22:23], vcc
	s_cbranch_execz .LBB103_4
; %bb.2:
	s_lshl_b64 s[0:1], s[30:31], 2
	s_add_u32 s33, s28, s0
	s_addc_u32 s24, s29, s1
	s_load_dwordx2 s[0:1], s[4:5], 0x8
	s_mul_i32 s9, s6, s9
	s_mul_hi_u32 s25, s6, s8
	s_add_i32 s9, s25, s9
	s_load_dword s25, s[4:5], 0x8c
	s_mul_i32 s8, s6, s8
	s_ashr_i32 s21, s20, 31
	s_lshl_b64 s[8:9], s[8:9], 1
	s_waitcnt lgkmcnt(0)
	s_add_u32 s34, s0, s8
	s_addc_u32 s0, s1, s9
	s_abs_i32 s35, s20
	v_cvt_f32_u32_e32 v1, s35
	s_sub_i32 s1, 0, s35
	s_and_b32 s36, s25, 0xffff
	v_mov_b32_e32 v5, s24
	v_rcp_iflag_f32_e32 v1, v1
	s_lshl_b64 s[24:25], s[20:21], 2
	s_sub_i32 s37, 0, s20
	s_lshl_b32 s39, s36, 1
	v_mul_f32_e32 v1, 0x4f7ffffe, v1
	v_cvt_u32_f32_e32 v1, v1
	s_mov_b64 s[8:9], 0
	s_movk_i32 s40, 0x7fff
	v_mov_b32_e32 v6, s25
	v_mul_lo_u32 v2, s1, v1
	v_mul_hi_u32 v2, v1, v2
	s_lshl_b32 s1, s20, 1
	v_add_u32_e32 v1, v1, v2
	s_sub_i32 s38, 0, s1
	v_mov_b32_e32 v7, s0
	v_mov_b32_e32 v8, 0x7fc00000
	;; [unrolled: 1-line block ×3, first 2 shown]
	s_mov_b32 s25, 0x5040100
	v_mov_b32_e32 v2, v3
	v_mov_b32_e32 v4, v0
.LBB103_3:                              ; =>This Inner Loop Header: Depth=1
	v_sub_u32_e32 v11, 0, v4
	v_max_i32_e32 v11, v4, v11
	v_mul_hi_u32 v12, v11, v1
	v_mul_lo_u32 v13, v12, s35
	v_sub_u32_e32 v11, v11, v13
	v_add_u32_e32 v14, 1, v12
	v_cmp_le_u32_e32 vcc, s35, v11
	v_subrev_u32_e32 v13, s35, v11
	v_cndmask_b32_e32 v12, v12, v14, vcc
	v_cndmask_b32_e32 v11, v11, v13, vcc
	v_ashrrev_i32_e32 v10, 31, v4
	v_add_u32_e32 v13, 1, v12
	v_cmp_le_u32_e32 vcc, s35, v11
	v_xor_b32_e32 v10, s21, v10
	v_cndmask_b32_e32 v11, v12, v13, vcc
	v_xor_b32_e32 v11, v11, v10
	v_sub_u32_e32 v14, v11, v10
	v_mad_u64_u32 v[10:11], s[0:1], s37, v14, v[4:5]
	v_ashrrev_i32_e32 v11, 31, v10
	v_lshlrev_b64 v[10:11], 2, v[10:11]
	v_ashrrev_i32_e32 v16, 31, v14
	v_add_co_u32_e32 v10, vcc, s33, v10
	v_mul_lo_u32 v17, v14, s11
	v_mad_u64_u32 v[12:13], s[0:1], v14, s10, 0
	v_mul_lo_u32 v16, v16, s10
	v_addc_co_u32_e32 v11, vcc, v5, v11, vcc
	v_add3_u32 v13, v13, v17, v16
	v_add_co_u32_e32 v16, vcc, s24, v10
	v_mad_u64_u32 v[14:15], s[0:1], s38, v14, v[2:3]
	v_lshlrev_b64 v[12:13], 1, v[12:13]
	v_addc_co_u32_e32 v17, vcc, v11, v6, vcc
	v_ashrrev_i32_e32 v15, 31, v14
	v_add_co_u32_e32 v12, vcc, s34, v12
	v_lshlrev_b64 v[14:15], 1, v[14:15]
	v_addc_co_u32_e32 v13, vcc, v7, v13, vcc
	global_load_dword v18, v[10:11], off
	global_load_dword v19, v[16:17], off
	v_add_co_u32_e32 v10, vcc, v12, v14
	v_addc_co_u32_e32 v11, vcc, v13, v15, vcc
	global_load_dword v12, v[10:11], off
	v_add_u32_e32 v4, s36, v4
	v_cmp_le_i32_e32 vcc, s7, v4
	s_or_b64 s[8:9], vcc, s[8:9]
	v_add_u32_e32 v2, s39, v2
	s_waitcnt vmcnt(2)
	v_bfe_u32 v13, v18, 16, 1
	v_add3_u32 v13, v18, v13, s40
	s_waitcnt vmcnt(1)
	v_bfe_u32 v14, v19, 16, 1
	v_and_b32_e32 v15, 0xffff0000, v13
	v_add3_u32 v14, v19, v14, s40
	v_cmp_o_f32_e32 vcc, v18, v18
	s_waitcnt vmcnt(0)
	v_and_b32_e32 v13, 0xffff0000, v12
	v_lshlrev_b32_e32 v12, 16, v12
	v_and_b32_e32 v16, 0xffff0000, v14
	v_cndmask_b32_e32 v14, v8, v15, vcc
	v_cmp_o_f32_e32 vcc, v19, v19
	v_pk_mul_f32 v[14:15], v[14:15], v[12:13] op_sel_hi:[0,1]
	v_cndmask_b32_e32 v16, v8, v16, vcc
	v_bfe_u32 v17, v14, 16, 1
	v_bfe_u32 v18, v15, 16, 1
	v_pk_mul_f32 v[12:13], v[16:17], v[12:13] op_sel_hi:[0,1]
	v_add3_u32 v16, v15, v18, s40
	v_add3_u32 v17, v14, v17, s40
	v_bfe_u32 v18, v13, 16, 1
	v_bfe_u32 v19, v12, 16, 1
	v_and_b32_e32 v17, 0xffff0000, v17
	v_and_b32_e32 v16, 0xffff0000, v16
	v_add3_u32 v19, v12, v19, s40
	v_add3_u32 v18, v13, v18, s40
	v_cmp_o_f32_e32 vcc, v14, v14
	v_cmp_o_f32_e64 s[0:1], v15, v15
	v_and_b32_e32 v18, 0xffff0000, v18
	v_and_b32_e32 v19, 0xffff0000, v19
	v_cndmask_b32_e64 v15, v8, v16, s[0:1]
	v_cndmask_b32_e32 v14, v8, v17, vcc
	v_cmp_o_f32_e32 vcc, v13, v13
	v_cmp_o_f32_e64 s[0:1], v12, v12
	v_cndmask_b32_e64 v13, v8, v19, s[0:1]
	v_cndmask_b32_e32 v12, v8, v18, vcc
	v_pk_add_f32 v[16:17], v[14:15], v[12:13] neg_lo:[0,1] neg_hi:[0,1]
	v_pk_add_f32 v[12:13], v[14:15], v[12:13]
	v_bfe_u32 v12, v16, 16, 1
	v_bfe_u32 v14, v13, 16, 1
	v_add3_u32 v14, v13, v14, s40
	v_add3_u32 v12, v16, v12, s40
	v_lshrrev_b32_e32 v12, 16, v12
	v_lshrrev_b32_e32 v14, 16, v14
	v_cmp_o_f32_e32 vcc, v13, v13
	v_cmp_o_f32_e64 s[0:1], v16, v16
	v_cndmask_b32_e64 v12, v9, v12, s[0:1]
	v_cndmask_b32_e32 v13, v9, v14, vcc
	v_perm_b32 v12, v13, v12, s25
	global_store_dword v[10:11], v12, off
	s_andn2_b64 exec, exec, s[8:9]
	s_cbranch_execnz .LBB103_3
.LBB103_4:
	s_or_b64 exec, exec, s[22:23]
	s_load_dwordx4 s[8:11], s[4:5], 0x68
	s_waitcnt lgkmcnt(0)
	s_ashr_i32 s35, s11, 31
	s_mov_b32 s34, s11
	s_or_b64 s[0:1], s[26:27], s[34:35]
	s_mov_b32 s0, 0
	s_cmp_lg_u64 s[0:1], 0
	s_cbranch_scc0 .LBB103_62
; %bb.5:
	s_add_u32 s0, s34, s35
	s_mov_b32 s22, s35
	s_mov_b32 s23, s35
	s_addc_u32 s1, s35, s35
	s_xor_b64 s[36:37], s[0:1], s[22:23]
	v_cvt_f32_u32_e32 v1, s36
	v_cvt_f32_u32_e32 v2, s37
	s_sub_u32 s0, 0, s36
	s_subb_u32 s1, 0, s37
	v_madmk_f32 v1, v2, 0x4f800000, v1
	v_rcp_f32_e32 v1, v1
	v_mul_f32_e32 v1, 0x5f7ffffc, v1
	v_mul_f32_e32 v2, 0x2f800000, v1
	v_trunc_f32_e32 v2, v2
	v_madmk_f32 v1, v2, 0xcf800000, v1
	v_cvt_u32_f32_e32 v2, v2
	v_cvt_u32_f32_e32 v1, v1
	v_readfirstlane_b32 s7, v2
	v_readfirstlane_b32 s11, v1
	s_mul_i32 s21, s0, s7
	s_mul_hi_u32 s38, s0, s11
	s_mul_i32 s33, s1, s11
	s_add_i32 s21, s38, s21
	s_add_i32 s21, s21, s33
	s_mul_i32 s39, s0, s11
	s_mul_hi_u32 s33, s11, s21
	s_mul_i32 s38, s11, s21
	s_mul_hi_u32 s11, s11, s39
	s_add_u32 s11, s11, s38
	s_addc_u32 s33, 0, s33
	s_mul_hi_u32 s40, s7, s39
	s_mul_i32 s39, s7, s39
	s_add_u32 s11, s11, s39
	s_mul_hi_u32 s38, s7, s21
	s_addc_u32 s11, s33, s40
	s_addc_u32 s33, s38, 0
	s_mul_i32 s21, s7, s21
	s_add_u32 s11, s11, s21
	s_addc_u32 s21, 0, s33
	v_add_co_u32_e32 v1, vcc, s11, v1
	s_cmp_lg_u64 vcc, 0
	s_addc_u32 s7, s7, s21
	v_readfirstlane_b32 s21, v1
	s_mul_i32 s11, s0, s7
	s_mul_hi_u32 s33, s0, s21
	s_add_i32 s11, s33, s11
	s_mul_i32 s1, s1, s21
	s_add_i32 s11, s11, s1
	s_mul_i32 s0, s0, s21
	s_mul_hi_u32 s33, s7, s0
	s_mul_i32 s38, s7, s0
	s_mul_i32 s40, s21, s11
	s_mul_hi_u32 s0, s21, s0
	s_mul_hi_u32 s39, s21, s11
	s_add_u32 s0, s0, s40
	s_addc_u32 s21, 0, s39
	s_add_u32 s0, s0, s38
	s_mul_hi_u32 s1, s7, s11
	s_addc_u32 s0, s21, s33
	s_addc_u32 s1, s1, 0
	s_mul_i32 s11, s7, s11
	s_add_u32 s0, s0, s11
	s_addc_u32 s1, 0, s1
	v_add_co_u32_e32 v1, vcc, s0, v1
	s_cmp_lg_u64 vcc, 0
	s_addc_u32 s7, s7, s1
	s_ashr_i32 s38, s27, 31
	s_add_u32 s0, s26, s38
	s_mov_b32 s39, s38
	s_addc_u32 s1, s27, s38
	s_xor_b64 s[40:41], s[0:1], s[38:39]
	v_readfirstlane_b32 s11, v1
	s_mul_i32 s1, s40, s7
	s_mul_hi_u32 s21, s40, s11
	s_mul_hi_u32 s0, s40, s7
	s_add_u32 s1, s21, s1
	s_addc_u32 s0, 0, s0
	s_mul_hi_u32 s33, s41, s11
	s_mul_i32 s11, s41, s11
	s_add_u32 s1, s1, s11
	s_mul_hi_u32 s21, s41, s7
	s_addc_u32 s0, s0, s33
	s_addc_u32 s1, s21, 0
	s_mul_i32 s7, s41, s7
	s_add_u32 s7, s0, s7
	s_addc_u32 s11, 0, s1
	s_mul_i32 s0, s36, s11
	s_mul_hi_u32 s1, s36, s7
	s_add_i32 s0, s1, s0
	s_mul_i32 s1, s37, s7
	s_add_i32 s21, s0, s1
	s_mul_i32 s1, s36, s7
	v_mov_b32_e32 v1, s1
	s_sub_i32 s0, s41, s21
	v_sub_co_u32_e32 v1, vcc, s40, v1
	s_cmp_lg_u64 vcc, 0
	s_subb_u32 s33, s0, s37
	v_subrev_co_u32_e64 v2, s[0:1], s36, v1
	s_cmp_lg_u64 s[0:1], 0
	s_subb_u32 s0, s33, 0
	s_cmp_ge_u32 s0, s37
	v_readfirstlane_b32 s33, v2
	s_cselect_b32 s1, -1, 0
	s_cmp_ge_u32 s33, s36
	s_cselect_b32 s33, -1, 0
	s_cmp_eq_u32 s0, s37
	s_cselect_b32 s0, s33, s1
	s_add_u32 s1, s7, 1
	s_addc_u32 s33, s11, 0
	s_add_u32 s40, s7, 2
	s_addc_u32 s42, s11, 0
	s_cmp_lg_u32 s0, 0
	s_cselect_b32 s0, s40, s1
	s_cselect_b32 s1, s42, s33
	s_cmp_lg_u64 vcc, 0
	s_subb_u32 s21, s41, s21
	s_cmp_ge_u32 s21, s37
	v_readfirstlane_b32 s40, v1
	s_cselect_b32 s33, -1, 0
	s_cmp_ge_u32 s40, s36
	s_cselect_b32 s36, -1, 0
	s_cmp_eq_u32 s21, s37
	s_cselect_b32 s21, s36, s33
	s_cmp_lg_u32 s21, 0
	s_cselect_b32 s1, s1, s11
	s_cselect_b32 s0, s0, s7
	s_xor_b64 s[22:23], s[38:39], s[22:23]
	s_xor_b64 s[0:1], s[0:1], s[22:23]
	s_sub_u32 s22, s0, s22
	s_subb_u32 s23, s1, s23
	s_cbranch_execnz .LBB103_7
.LBB103_6:
	v_cvt_f32_u32_e32 v1, s34
	s_sub_i32 s0, 0, s34
	s_mov_b32 s23, 0
	v_rcp_iflag_f32_e32 v1, v1
	v_mul_f32_e32 v1, 0x4f7ffffe, v1
	v_cvt_u32_f32_e32 v1, v1
	v_readfirstlane_b32 s1, v1
	s_mul_i32 s0, s0, s1
	s_mul_hi_u32 s0, s1, s0
	s_add_i32 s1, s1, s0
	s_mul_hi_u32 s0, s26, s1
	s_mul_i32 s7, s0, s34
	s_sub_i32 s7, s26, s7
	s_add_i32 s1, s0, 1
	s_sub_i32 s11, s7, s34
	s_cmp_ge_u32 s7, s34
	s_cselect_b32 s0, s1, s0
	s_cselect_b32 s7, s11, s7
	s_add_i32 s1, s0, 1
	s_cmp_ge_u32 s7, s34
	s_cselect_b32 s22, s1, s0
.LBB103_7:
	s_mul_i32 s0, s22, s35
	s_mul_hi_u32 s1, s22, s34
	s_load_dwordx2 s[24:25], s[4:5], 0x78
	s_add_i32 s0, s1, s0
	s_mul_i32 s1, s23, s34
	s_add_i32 s0, s0, s1
	s_mul_i32 s1, s22, s34
	s_sub_u32 s7, s26, s1
	s_subb_u32 s11, s27, s0
	v_cmp_gt_i32_e32 vcc, s20, v0
	s_mul_hi_u32 s42, s22, s8
	s_mul_i32 s43, s23, s8
	s_mul_i32 s44, s22, s8
	s_mul_hi_u32 s33, s7, s9
	s_mul_i32 s11, s11, s9
	s_mul_i32 s23, s7, s9
	s_and_saveexec_b64 s[26:27], vcc
	s_cbranch_execz .LBB103_42
; %bb.8:
	s_ashr_i32 s0, s8, 31
	s_mul_i32 s0, s22, s0
	s_load_dword s1, s[4:5], 0x8c
	s_add_i32 s0, s42, s0
	s_add_i32 s34, s0, s43
	s_ashr_i32 s0, s9, 31
	s_mul_i32 s0, s7, s0
	s_add_i32 s0, s33, s0
	s_ashr_i32 s21, s20, 31
	s_add_i32 s35, s0, s11
	s_ashr_i32 s36, s10, 31
	s_waitcnt lgkmcnt(0)
	s_and_b32 s46, s1, 0xffff
	s_lshl_b64 s[0:1], s[30:31], 2
	s_add_u32 s0, s28, s0
	v_lshlrev_b32_e32 v2, 2, v0
	s_addc_u32 s1, s29, s1
	v_mov_b32_e32 v4, s1
	v_add_co_u32_e32 v1, vcc, s0, v2
	v_addc_co_u32_e32 v8, vcc, 0, v4, vcc
	s_lshl_b64 s[0:1], s[20:21], 2
	v_mov_b32_e32 v4, s1
	v_add_co_u32_e32 v9, vcc, s0, v1
	s_mul_i32 s0, s13, s6
	s_mul_hi_u32 s1, s12, s6
	s_add_i32 s1, s1, s0
	s_mul_i32 s0, s12, s6
	s_lshl_b32 s48, s46, 2
	s_lshl_b64 s[0:1], s[0:1], 1
	s_add_u32 s0, s16, s0
	v_addc_co_u32_e32 v10, vcc, v8, v4, vcc
	s_addc_u32 s1, s17, s1
	v_add_co_u32_e32 v11, vcc, s0, v2
	s_add_u32 s0, s44, s23
	v_mov_b32_e32 v4, s1
	s_addc_u32 s1, s34, s35
	s_add_u32 s12, s2, s10
	s_addc_u32 s13, s3, s36
	s_add_u32 s0, s12, s0
	s_load_dword s45, s[24:25], 0x0
	v_addc_co_u32_e32 v12, vcc, 0, v4, vcc
	s_addc_u32 s1, s13, s1
	v_mov_b32_e32 v2, s1
	v_add_co_u32_e32 v3, vcc, s0, v3
	v_addc_co_u32_e32 v4, vcc, 0, v2, vcc
	v_add_co_u32_e32 v2, vcc, 1, v3
	s_mov_b32 s47, 0
	v_addc_co_u32_e32 v3, vcc, 0, v4, vcc
	s_lshl_b32 s21, s46, 1
	s_mov_b64 s[12:13], 0
	s_movk_i32 s49, 0x7fff
	v_mov_b32_e32 v13, 0x7fc00000
	v_mov_b32_e32 v14, 0x7fc0
	s_mov_b32 s50, 0x5040100
	v_mov_b32_e32 v5, 0
	s_movk_i32 s51, 0x80
	s_mov_b64 s[16:17], 0x7f800000
	s_mov_b64 s[28:29], 0x43e00001
	s_movk_i32 s52, 0x7a
	s_mov_b64 s[30:31], 0xffffff
	s_movk_i32 s53, 0x7f
	v_mov_b32_e32 v15, 0xffffff82
	v_mov_b32_e32 v16, 0x78
	s_mov_b64 s[34:35], 0
	v_mov_b32_e32 v17, v0
	s_branch .LBB103_10
.LBB103_9:                              ;   in Loop: Header=BB103_10 Depth=1
	s_or_b64 exec, exec, s[0:1]
	v_add_u32_e32 v17, s46, v17
	s_add_u32 s34, s34, s48
	s_addc_u32 s35, s35, 0
	v_cmp_le_i32_e32 vcc, s20, v17
	global_store_byte v[2:3], v7, off
	v_mov_b32_e32 v4, s47
	s_or_b64 s[12:13], vcc, s[12:13]
	v_add_co_u32_e32 v2, vcc, s21, v2
	v_addc_co_u32_e32 v3, vcc, v3, v4, vcc
	s_andn2_b64 exec, exec, s[12:13]
	s_cbranch_execz .LBB103_42
.LBB103_10:                             ; =>This Inner Loop Header: Depth=1
	v_mov_b32_e32 v4, s35
	v_add_co_u32_e32 v6, vcc, s34, v1
	v_addc_co_u32_e32 v7, vcc, v8, v4, vcc
	v_add_co_u32_e32 v18, vcc, s34, v9
	v_addc_co_u32_e32 v19, vcc, v10, v4, vcc
	global_load_dword v20, v[6:7], off
	global_load_dword v22, v[18:19], off
	v_add_co_u32_e32 v6, vcc, s34, v11
	v_addc_co_u32_e32 v7, vcc, v12, v4, vcc
	global_load_dword v4, v[6:7], off
	v_mov_b32_e32 v21, v5
	s_waitcnt vmcnt(2)
	v_bfe_u32 v23, v20, 16, 1
	s_waitcnt vmcnt(1)
	v_bfe_u32 v24, v22, 16, 1
	v_cmp_o_f32_e32 vcc, v20, v20
	s_waitcnt vmcnt(0)
	v_and_b32_e32 v19, 0xffff0000, v4
	v_lshlrev_b32_e32 v18, 16, v4
	v_add3_u32 v4, v20, v23, s49
	v_add3_u32 v23, v22, v24, s49
	v_and_b32_e32 v4, 0xffff0000, v4
	v_and_b32_e32 v23, 0xffff0000, v23
	v_cndmask_b32_e32 v4, v13, v4, vcc
	v_cmp_o_f32_e32 vcc, v22, v22
	v_cndmask_b32_e32 v20, v13, v23, vcc
	v_pk_mul_f32 v[22:23], v[4:5], v[18:19] op_sel_hi:[0,1]
	v_pk_mul_f32 v[18:19], v[20:21], v[18:19] op_sel_hi:[0,1]
	v_bfe_u32 v20, v23, 16, 1
	v_bfe_u32 v4, v22, 16, 1
	v_add3_u32 v20, v23, v20, s49
	v_bfe_u32 v25, v18, 16, 1
	v_add3_u32 v4, v22, v4, s49
	v_and_b32_e32 v20, 0xffff0000, v20
	v_cmp_o_f32_e32 vcc, v23, v23
	v_bfe_u32 v24, v19, 16, 1
	v_add3_u32 v25, v18, v25, s49
	v_and_b32_e32 v4, 0xffff0000, v4
	v_cndmask_b32_e32 v23, v13, v20, vcc
	v_cmp_o_f32_e32 vcc, v22, v22
	v_add3_u32 v24, v19, v24, s49
	v_and_b32_e32 v25, 0xffff0000, v25
	v_cndmask_b32_e32 v22, v13, v4, vcc
	v_cmp_o_f32_e32 vcc, v18, v18
	v_and_b32_e32 v24, 0xffff0000, v24
	v_cndmask_b32_e32 v25, v13, v25, vcc
	v_cmp_o_f32_e32 vcc, v19, v19
	v_cndmask_b32_e32 v24, v13, v24, vcc
	v_pk_add_f32 v[18:19], v[22:23], v[24:25] neg_lo:[0,1] neg_hi:[0,1]
	v_pk_add_f32 v[22:23], v[22:23], v[24:25]
	v_bfe_u32 v4, v18, 16, 1
	v_bfe_u32 v19, v23, 16, 1
	v_add3_u32 v4, v18, v4, s49
	v_add3_u32 v19, v23, v19, s49
	v_lshrrev_b32_e32 v4, 16, v4
	v_cmp_o_f32_e32 vcc, v18, v18
	v_lshrrev_b32_e32 v19, 16, v19
	v_cndmask_b32_e32 v4, v14, v4, vcc
	v_cmp_o_f32_e32 vcc, v23, v23
	v_cndmask_b32_e32 v18, v14, v19, vcc
	v_perm_b32 v18, v18, v4, s50
	v_lshlrev_b32_e32 v4, 16, v4
	s_waitcnt lgkmcnt(0)
	v_div_scale_f32 v19, s[0:1], s45, s45, v4
	v_rcp_f32_e32 v20, v19
	global_store_dword v[6:7], v18, off
	v_div_scale_f32 v6, vcc, v4, s45, v4
	v_fma_f32 v7, -v19, v20, 1.0
	v_fmac_f32_e32 v20, v7, v20
	v_mul_f32_e32 v7, v6, v20
	v_fma_f32 v22, -v19, v7, v6
	v_fmac_f32_e32 v7, v22, v20
	v_fma_f32 v6, -v19, v7, v6
	v_div_fmas_f32 v6, v6, v20, v7
	v_div_fixup_f32 v6, v6, s45, v4
	v_and_b32_sdwa v19, v6, s51 dst_sel:DWORD dst_unused:UNUSED_PAD src0_sel:BYTE_3 src1_sel:DWORD
	v_and_b32_e32 v20, 0x7f800000, v6
	v_and_b32_e32 v4, 0x7fffff, v6
	v_or_b32_e32 v7, 0x7e, v19
	v_cmp_ne_u64_e32 vcc, s[16:17], v[20:21]
	s_and_saveexec_b64 s[0:1], vcc
	s_xor_b64 s[36:37], exec, s[0:1]
	s_cbranch_execz .LBB103_24
; %bb.11:                               ;   in Loop: Header=BB103_10 Depth=1
	v_and_b32_e32 v20, 0x7fffffff, v6
	v_mov_b32_e32 v21, v5
	v_cmp_gt_u64_e32 vcc, s[28:29], v[20:21]
	s_and_saveexec_b64 s[0:1], vcc
	s_xor_b64 s[38:39], exec, s[0:1]
	s_cbranch_execz .LBB103_23
; %bb.12:                               ;   in Loop: Header=BB103_10 Depth=1
	v_cmp_ne_u32_e32 vcc, 0, v6
	v_mov_b32_e32 v7, 0
	s_and_saveexec_b64 s[40:41], vcc
	s_cbranch_execz .LBB103_22
; %bb.13:                               ;   in Loop: Header=BB103_10 Depth=1
	v_bfe_u32 v6, v6, 23, 8
	v_sub_u32_e32 v20, 0x79, v6
	v_cmp_gt_u32_e32 vcc, s52, v6
	v_cndmask_b32_e32 v20, 0, v20, vcc
	v_cmp_eq_u32_e32 vcc, 0, v6
	v_cndmask_b32_e32 v20, v20, v16, vcc
	v_add_u32_e32 v7, 0xffffff81, v6
	v_or_b32_e32 v21, 0x800000, v4
	v_add_u32_e32 v6, 20, v20
	v_cndmask_b32_e32 v26, v7, v15, vcc
	v_cndmask_b32_e32 v4, v21, v4, vcc
	v_lshlrev_b64 v[6:7], v6, -1
	v_not_b32_e32 v6, v6
	v_lshrrev_b64 v[24:25], v20, v[4:5]
	v_not_b32_e32 v7, v7
	v_and_b32_e32 v6, v4, v6
	v_add_u32_e32 v21, 19, v20
	v_lshrrev_b32_e32 v4, 23, v24
	v_and_b32_e32 v7, 0, v7
	v_lshlrev_b64 v[22:23], v21, 1
	v_add3_u32 v21, v20, v26, v4
	v_bfe_u32 v4, v24, 20, 1
	v_add_u32_e32 v4, -1, v4
	v_cmp_eq_u64_e32 vcc, v[6:7], v[22:23]
	v_cndmask_b32_e32 v4, 0, v4, vcc
	v_add_u32_e32 v4, v4, v24
	v_and_b32_e32 v4, 0xfffff, v4
	v_add_co_u32_e32 v6, vcc, v4, v24
	v_add_u32_e32 v20, 6, v21
	v_addc_co_u32_e32 v7, vcc, 0, v25, vcc
	v_cmp_ne_u32_e32 vcc, 0, v20
                                        ; implicit-def: $vgpr4
	s_and_saveexec_b64 s[0:1], vcc
	s_xor_b64 s[0:1], exec, s[0:1]
; %bb.14:                               ;   in Loop: Header=BB103_10 Depth=1
	v_add_u32_e32 v4, 7, v21
	v_cmp_lt_u64_e32 vcc, s[30:31], v[6:7]
	v_cndmask_b32_e32 v4, v20, v4, vcc
	v_cndmask_b32_e64 v20, 0, 1, vcc
	v_lshrrev_b64 v[6:7], v20, v[6:7]
; %bb.15:                               ;   in Loop: Header=BB103_10 Depth=1
	s_andn2_saveexec_b64 s[0:1], s[0:1]
; %bb.16:                               ;   in Loop: Header=BB103_10 Depth=1
	v_bfe_u32 v4, v6, 23, 1
; %bb.17:                               ;   in Loop: Header=BB103_10 Depth=1
	s_or_b64 exec, exec, s[0:1]
	v_lshrrev_b64 v[6:7], 20, v[6:7]
	v_cmp_gt_i32_e32 vcc, 16, v4
	v_cndmask_b32_e32 v7, 0, v7, vcc
	v_cndmask_b32_e32 v6, 7, v6, vcc
	v_cmp_ne_u32_e32 vcc, 0, v4
	v_cmp_ne_u64_e64 s[0:1], 0, v[6:7]
	s_or_b64 s[0:1], vcc, s[0:1]
                                        ; implicit-def: $vgpr7
	s_and_saveexec_b64 s[54:55], s[0:1]
	s_xor_b64 s[0:1], exec, s[54:55]
; %bb.18:                               ;   in Loop: Header=BB103_10 Depth=1
	v_min_i32_e32 v4, 15, v4
	v_lshl_or_b32 v4, v4, 3, v19
	v_and_or_b32 v7, v6, 7, v4
                                        ; implicit-def: $vgpr19
; %bb.19:                               ;   in Loop: Header=BB103_10 Depth=1
	s_andn2_saveexec_b64 s[0:1], s[0:1]
; %bb.20:                               ;   in Loop: Header=BB103_10 Depth=1
	v_mov_b32_e32 v7, v19
; %bb.21:                               ;   in Loop: Header=BB103_10 Depth=1
	s_or_b64 exec, exec, s[0:1]
.LBB103_22:                             ;   in Loop: Header=BB103_10 Depth=1
	s_or_b64 exec, exec, s[40:41]
.LBB103_23:                             ;   in Loop: Header=BB103_10 Depth=1
	s_andn2_saveexec_b64 s[0:1], s[38:39]
	s_or_b64 exec, exec, s[0:1]
                                        ; implicit-def: $vgpr6
.LBB103_24:                             ;   in Loop: Header=BB103_10 Depth=1
	s_andn2_saveexec_b64 s[0:1], s[36:37]
; %bb.25:                               ;   in Loop: Header=BB103_10 Depth=1
	v_or_b32_sdwa v6, v6, s53 dst_sel:DWORD dst_unused:UNUSED_PAD src0_sel:BYTE_3 src1_sel:DWORD
	v_cmp_eq_u64_e32 vcc, 0, v[4:5]
	v_cndmask_b32_e32 v7, v6, v7, vcc
; %bb.26:                               ;   in Loop: Header=BB103_10 Depth=1
	s_or_b64 exec, exec, s[0:1]
	v_and_b32_e32 v4, 0xffff0000, v18
	v_div_scale_f32 v6, s[0:1], s45, s45, v4
	v_rcp_f32_e32 v18, v6
	global_store_byte v[2:3], v7, off offset:-1
	v_mov_b32_e32 v21, v5
	v_fma_f32 v7, -v6, v18, 1.0
	v_fmac_f32_e32 v18, v7, v18
	v_div_scale_f32 v7, vcc, v4, s45, v4
	v_mul_f32_e32 v19, v7, v18
	v_fma_f32 v20, -v6, v19, v7
	v_fmac_f32_e32 v19, v20, v18
	v_fma_f32 v6, -v6, v19, v7
	v_div_fmas_f32 v6, v6, v18, v19
	v_div_fixup_f32 v6, v6, s45, v4
	v_and_b32_sdwa v18, v6, s51 dst_sel:DWORD dst_unused:UNUSED_PAD src0_sel:BYTE_3 src1_sel:DWORD
	v_and_b32_e32 v20, 0x7f800000, v6
	v_and_b32_e32 v4, 0x7fffff, v6
	v_or_b32_e32 v7, 0x7e, v18
	v_cmp_ne_u64_e32 vcc, s[16:17], v[20:21]
	s_and_saveexec_b64 s[0:1], vcc
	s_xor_b64 s[36:37], exec, s[0:1]
	s_cbranch_execz .LBB103_40
; %bb.27:                               ;   in Loop: Header=BB103_10 Depth=1
	v_and_b32_e32 v20, 0x7fffffff, v6
	v_mov_b32_e32 v21, v5
	v_cmp_gt_u64_e32 vcc, s[28:29], v[20:21]
	s_and_saveexec_b64 s[0:1], vcc
	s_xor_b64 s[38:39], exec, s[0:1]
	s_cbranch_execz .LBB103_39
; %bb.28:                               ;   in Loop: Header=BB103_10 Depth=1
	v_cmp_ne_u32_e32 vcc, 0, v6
	v_mov_b32_e32 v7, 0
	s_and_saveexec_b64 s[40:41], vcc
	s_cbranch_execz .LBB103_38
; %bb.29:                               ;   in Loop: Header=BB103_10 Depth=1
	v_bfe_u32 v6, v6, 23, 8
	v_sub_u32_e32 v19, 0x79, v6
	v_cmp_gt_u32_e32 vcc, s52, v6
	v_cndmask_b32_e32 v19, 0, v19, vcc
	v_cmp_eq_u32_e32 vcc, 0, v6
	v_cndmask_b32_e32 v19, v19, v16, vcc
	v_add_u32_e32 v7, 0xffffff81, v6
	v_or_b32_e32 v20, 0x800000, v4
	v_add_u32_e32 v6, 20, v19
	v_cndmask_b32_e32 v21, v7, v15, vcc
	v_cndmask_b32_e32 v4, v20, v4, vcc
	v_lshlrev_b64 v[6:7], v6, -1
	v_not_b32_e32 v6, v6
	v_lshrrev_b64 v[24:25], v19, v[4:5]
	v_not_b32_e32 v7, v7
	v_and_b32_e32 v6, v4, v6
	v_add_u32_e32 v20, 19, v19
	v_lshrrev_b32_e32 v4, 23, v24
	v_and_b32_e32 v7, 0, v7
	v_lshlrev_b64 v[22:23], v20, 1
	v_add3_u32 v20, v19, v21, v4
	v_bfe_u32 v4, v24, 20, 1
	v_add_u32_e32 v4, -1, v4
	v_cmp_eq_u64_e32 vcc, v[6:7], v[22:23]
	v_cndmask_b32_e32 v4, 0, v4, vcc
	v_add_u32_e32 v4, v4, v24
	v_and_b32_e32 v4, 0xfffff, v4
	v_add_co_u32_e32 v6, vcc, v4, v24
	v_add_u32_e32 v19, 6, v20
	v_addc_co_u32_e32 v7, vcc, 0, v25, vcc
	v_cmp_ne_u32_e32 vcc, 0, v19
                                        ; implicit-def: $vgpr4
	s_and_saveexec_b64 s[0:1], vcc
	s_xor_b64 s[0:1], exec, s[0:1]
; %bb.30:                               ;   in Loop: Header=BB103_10 Depth=1
	v_add_u32_e32 v4, 7, v20
	v_cmp_lt_u64_e32 vcc, s[30:31], v[6:7]
	v_cndmask_b32_e32 v4, v19, v4, vcc
	v_cndmask_b32_e64 v19, 0, 1, vcc
	v_lshrrev_b64 v[6:7], v19, v[6:7]
; %bb.31:                               ;   in Loop: Header=BB103_10 Depth=1
	s_andn2_saveexec_b64 s[0:1], s[0:1]
; %bb.32:                               ;   in Loop: Header=BB103_10 Depth=1
	v_bfe_u32 v4, v6, 23, 1
; %bb.33:                               ;   in Loop: Header=BB103_10 Depth=1
	s_or_b64 exec, exec, s[0:1]
	v_lshrrev_b64 v[6:7], 20, v[6:7]
	v_cmp_gt_i32_e32 vcc, 16, v4
	v_cndmask_b32_e32 v7, 0, v7, vcc
	v_cndmask_b32_e32 v6, 7, v6, vcc
	v_cmp_ne_u32_e32 vcc, 0, v4
	v_cmp_ne_u64_e64 s[0:1], 0, v[6:7]
	s_or_b64 s[0:1], vcc, s[0:1]
                                        ; implicit-def: $vgpr7
	s_and_saveexec_b64 s[54:55], s[0:1]
	s_xor_b64 s[0:1], exec, s[54:55]
; %bb.34:                               ;   in Loop: Header=BB103_10 Depth=1
	v_min_i32_e32 v4, 15, v4
	v_lshl_or_b32 v4, v4, 3, v18
	v_and_or_b32 v7, v6, 7, v4
                                        ; implicit-def: $vgpr18
; %bb.35:                               ;   in Loop: Header=BB103_10 Depth=1
	s_andn2_saveexec_b64 s[0:1], s[0:1]
; %bb.36:                               ;   in Loop: Header=BB103_10 Depth=1
	v_mov_b32_e32 v7, v18
; %bb.37:                               ;   in Loop: Header=BB103_10 Depth=1
	s_or_b64 exec, exec, s[0:1]
.LBB103_38:                             ;   in Loop: Header=BB103_10 Depth=1
	s_or_b64 exec, exec, s[40:41]
.LBB103_39:                             ;   in Loop: Header=BB103_10 Depth=1
	s_andn2_saveexec_b64 s[0:1], s[38:39]
	s_or_b64 exec, exec, s[0:1]
                                        ; implicit-def: $vgpr6
.LBB103_40:                             ;   in Loop: Header=BB103_10 Depth=1
	s_andn2_saveexec_b64 s[0:1], s[36:37]
	s_cbranch_execz .LBB103_9
; %bb.41:                               ;   in Loop: Header=BB103_10 Depth=1
	v_or_b32_sdwa v6, v6, s53 dst_sel:DWORD dst_unused:UNUSED_PAD src0_sel:BYTE_3 src1_sel:DWORD
	v_cmp_eq_u64_e32 vcc, 0, v[4:5]
	v_cndmask_b32_e32 v7, v6, v7, vcc
	s_branch .LBB103_9
.LBB103_42:
	s_or_b64 exec, exec, s[26:27]
	v_cmp_gt_i32_e32 vcc, s10, v0
	s_and_saveexec_b64 s[0:1], vcc
	s_cbranch_execz .LBB103_61
; %bb.43:
	s_mul_i32 s0, s6, s15
	s_mul_hi_u32 s1, s6, s14
	s_add_i32 s1, s1, s0
	s_mul_i32 s0, s6, s14
	s_lshl_b64 s[0:1], s[0:1], 1
	s_add_u32 s18, s18, s0
	s_addc_u32 s0, s19, s1
	s_ashr_i32 s1, s8, 31
	s_mul_i32 s1, s22, s1
	s_add_i32 s1, s42, s1
	s_add_i32 s1, s1, s43
	s_add_u32 s2, s2, s44
	s_addc_u32 s1, s3, s1
	s_ashr_i32 s3, s9, 31
	s_load_dword s4, s[4:5], 0x8c
	s_mul_i32 s7, s7, s3
	s_waitcnt lgkmcnt(0)
	s_load_dword s20, s[24:25], 0x0
	s_add_i32 s3, s33, s7
	s_add_i32 s3, s3, s11
	s_add_u32 s11, s2, s23
	s_addc_u32 s19, s1, s3
	s_and_b32 s21, s4, 0xffff
	s_mov_b64 s[2:3], 0
	v_mov_b32_e32 v6, s0
	v_mov_b32_e32 v3, 0
	s_movk_i32 s22, 0x80
	s_mov_b64 s[4:5], 0x7f800000
	s_mov_b64 s[6:7], 0x43e00001
	s_movk_i32 s23, 0x7a
	s_mov_b64 s[8:9], 0xffffff
	s_movk_i32 s24, 0x7f
	v_mov_b32_e32 v7, 0xffffff82
	v_mov_b32_e32 v8, 0x78
	s_branch .LBB103_45
.LBB103_44:                             ;   in Loop: Header=BB103_45 Depth=1
	s_or_b64 exec, exec, s[0:1]
	v_mov_b32_e32 v2, s19
	v_add_co_u32_e32 v10, vcc, s11, v0
	v_addc_co_u32_e32 v11, vcc, v2, v1, vcc
	v_add_u32_e32 v0, s21, v0
	v_cmp_le_i32_e32 vcc, s10, v0
	s_or_b64 s[2:3], vcc, s[2:3]
	global_store_byte v[10:11], v5, off
	s_andn2_b64 exec, exec, s[2:3]
	s_cbranch_execz .LBB103_61
.LBB103_45:                             ; =>This Inner Loop Header: Depth=1
	v_ashrrev_i32_e32 v1, 31, v0
	v_lshlrev_b64 v[4:5], 1, v[0:1]
	v_add_co_u32_e32 v4, vcc, s18, v4
	v_addc_co_u32_e32 v5, vcc, v6, v5, vcc
	global_load_ushort v2, v[4:5], off
	v_mov_b32_e32 v11, v3
	s_waitcnt vmcnt(0)
	v_lshlrev_b32_e32 v2, 16, v2
	s_waitcnt lgkmcnt(0)
	v_div_scale_f32 v4, s[0:1], s20, s20, v2
	v_rcp_f32_e32 v5, v4
	v_div_scale_f32 v9, vcc, v2, s20, v2
	v_fma_f32 v10, -v4, v5, 1.0
	v_fmac_f32_e32 v5, v10, v5
	v_mul_f32_e32 v10, v9, v5
	v_fma_f32 v12, -v4, v10, v9
	v_fmac_f32_e32 v10, v12, v5
	v_fma_f32 v4, -v4, v10, v9
	v_div_fmas_f32 v4, v4, v5, v10
	v_div_fixup_f32 v4, v4, s20, v2
	v_and_b32_sdwa v9, v4, s22 dst_sel:DWORD dst_unused:UNUSED_PAD src0_sel:BYTE_3 src1_sel:DWORD
	v_and_b32_e32 v10, 0x7f800000, v4
	v_and_b32_e32 v2, 0x7fffff, v4
	v_or_b32_e32 v5, 0x7e, v9
	v_cmp_ne_u64_e32 vcc, s[4:5], v[10:11]
	s_and_saveexec_b64 s[0:1], vcc
	s_xor_b64 s[12:13], exec, s[0:1]
	s_cbranch_execz .LBB103_59
; %bb.46:                               ;   in Loop: Header=BB103_45 Depth=1
	v_and_b32_e32 v10, 0x7fffffff, v4
	v_mov_b32_e32 v11, v3
	v_cmp_gt_u64_e32 vcc, s[6:7], v[10:11]
	s_and_saveexec_b64 s[0:1], vcc
	s_xor_b64 s[14:15], exec, s[0:1]
	s_cbranch_execz .LBB103_58
; %bb.47:                               ;   in Loop: Header=BB103_45 Depth=1
	v_cmp_ne_u32_e32 vcc, 0, v4
	v_mov_b32_e32 v5, 0
	s_and_saveexec_b64 s[16:17], vcc
	s_cbranch_execz .LBB103_57
; %bb.48:                               ;   in Loop: Header=BB103_45 Depth=1
	v_bfe_u32 v4, v4, 23, 8
	v_sub_u32_e32 v10, 0x79, v4
	v_cmp_gt_u32_e32 vcc, s23, v4
	v_cndmask_b32_e32 v10, 0, v10, vcc
	v_cmp_eq_u32_e32 vcc, 0, v4
	v_cndmask_b32_e32 v10, v10, v8, vcc
	v_add_u32_e32 v5, 0xffffff81, v4
	v_or_b32_e32 v11, 0x800000, v2
	v_add_u32_e32 v4, 20, v10
	v_cndmask_b32_e32 v16, v5, v7, vcc
	v_cndmask_b32_e32 v2, v11, v2, vcc
	v_lshlrev_b64 v[4:5], v4, -1
	v_not_b32_e32 v4, v4
	v_lshrrev_b64 v[14:15], v10, v[2:3]
	v_not_b32_e32 v5, v5
	v_and_b32_e32 v4, v2, v4
	v_add_u32_e32 v11, 19, v10
	v_lshrrev_b32_e32 v2, 23, v14
	v_and_b32_e32 v5, 0, v5
	v_lshlrev_b64 v[12:13], v11, 1
	v_add3_u32 v11, v10, v16, v2
	v_bfe_u32 v2, v14, 20, 1
	v_add_u32_e32 v2, -1, v2
	v_cmp_eq_u64_e32 vcc, v[4:5], v[12:13]
	v_cndmask_b32_e32 v2, 0, v2, vcc
	v_add_u32_e32 v2, v2, v14
	v_and_b32_e32 v2, 0xfffff, v2
	v_add_co_u32_e32 v4, vcc, v2, v14
	v_add_u32_e32 v10, 6, v11
	v_addc_co_u32_e32 v5, vcc, 0, v15, vcc
	v_cmp_ne_u32_e32 vcc, 0, v10
                                        ; implicit-def: $vgpr2
	s_and_saveexec_b64 s[0:1], vcc
	s_xor_b64 s[0:1], exec, s[0:1]
; %bb.49:                               ;   in Loop: Header=BB103_45 Depth=1
	v_add_u32_e32 v2, 7, v11
	v_cmp_lt_u64_e32 vcc, s[8:9], v[4:5]
	v_cndmask_b32_e32 v2, v10, v2, vcc
	v_cndmask_b32_e64 v10, 0, 1, vcc
	v_lshrrev_b64 v[4:5], v10, v[4:5]
; %bb.50:                               ;   in Loop: Header=BB103_45 Depth=1
	s_andn2_saveexec_b64 s[0:1], s[0:1]
; %bb.51:                               ;   in Loop: Header=BB103_45 Depth=1
	v_bfe_u32 v2, v4, 23, 1
; %bb.52:                               ;   in Loop: Header=BB103_45 Depth=1
	s_or_b64 exec, exec, s[0:1]
	v_lshrrev_b64 v[4:5], 20, v[4:5]
	v_cmp_gt_i32_e32 vcc, 16, v2
	v_cndmask_b32_e32 v5, 0, v5, vcc
	v_cndmask_b32_e32 v4, 7, v4, vcc
	v_cmp_ne_u32_e32 vcc, 0, v2
	v_cmp_ne_u64_e64 s[0:1], 0, v[4:5]
	s_or_b64 s[0:1], vcc, s[0:1]
                                        ; implicit-def: $vgpr5
	s_and_saveexec_b64 s[26:27], s[0:1]
	s_xor_b64 s[0:1], exec, s[26:27]
; %bb.53:                               ;   in Loop: Header=BB103_45 Depth=1
	v_min_i32_e32 v2, 15, v2
	v_lshl_or_b32 v2, v2, 3, v9
	v_and_or_b32 v5, v4, 7, v2
                                        ; implicit-def: $vgpr9
; %bb.54:                               ;   in Loop: Header=BB103_45 Depth=1
	s_andn2_saveexec_b64 s[0:1], s[0:1]
; %bb.55:                               ;   in Loop: Header=BB103_45 Depth=1
	v_mov_b32_e32 v5, v9
; %bb.56:                               ;   in Loop: Header=BB103_45 Depth=1
	s_or_b64 exec, exec, s[0:1]
.LBB103_57:                             ;   in Loop: Header=BB103_45 Depth=1
	s_or_b64 exec, exec, s[16:17]
.LBB103_58:                             ;   in Loop: Header=BB103_45 Depth=1
	s_andn2_saveexec_b64 s[0:1], s[14:15]
	s_or_b64 exec, exec, s[0:1]
                                        ; implicit-def: $vgpr4
.LBB103_59:                             ;   in Loop: Header=BB103_45 Depth=1
	s_andn2_saveexec_b64 s[0:1], s[12:13]
	s_cbranch_execz .LBB103_44
; %bb.60:                               ;   in Loop: Header=BB103_45 Depth=1
	v_or_b32_sdwa v4, v4, s24 dst_sel:DWORD dst_unused:UNUSED_PAD src0_sel:BYTE_3 src1_sel:DWORD
	v_cmp_eq_u64_e32 vcc, 0, v[2:3]
	v_cndmask_b32_e32 v5, v4, v5, vcc
	s_branch .LBB103_44
.LBB103_61:
	s_endpgm
.LBB103_62:
                                        ; implicit-def: $sgpr22_sgpr23
	s_branch .LBB103_6
	.section	.rodata,"a",@progbits
	.p2align	6, 0x0
	.amdhsa_kernel _ZN4vllm38concat_and_cache_mla_rope_fused_kernelIN3c108BFloat16EfLb0E14__hip_bfloat16hLNS_18Fp8KVCacheDataTypeE1EEEvPKlPT_S8_PKS7_PKT0_illlliPT3_S6_iiiiPKf
		.amdhsa_group_segment_fixed_size 0
		.amdhsa_private_segment_fixed_size 0
		.amdhsa_kernarg_size 384
		.amdhsa_user_sgpr_count 6
		.amdhsa_user_sgpr_private_segment_buffer 1
		.amdhsa_user_sgpr_dispatch_ptr 0
		.amdhsa_user_sgpr_queue_ptr 0
		.amdhsa_user_sgpr_kernarg_segment_ptr 1
		.amdhsa_user_sgpr_dispatch_id 0
		.amdhsa_user_sgpr_flat_scratch_init 0
		.amdhsa_user_sgpr_kernarg_preload_length 0
		.amdhsa_user_sgpr_kernarg_preload_offset 0
		.amdhsa_user_sgpr_private_segment_size 0
		.amdhsa_uses_dynamic_stack 0
		.amdhsa_system_sgpr_private_segment_wavefront_offset 0
		.amdhsa_system_sgpr_workgroup_id_x 1
		.amdhsa_system_sgpr_workgroup_id_y 0
		.amdhsa_system_sgpr_workgroup_id_z 0
		.amdhsa_system_sgpr_workgroup_info 0
		.amdhsa_system_vgpr_workitem_id 0
		.amdhsa_next_free_vgpr 27
		.amdhsa_next_free_sgpr 56
		.amdhsa_accum_offset 28
		.amdhsa_reserve_vcc 1
		.amdhsa_reserve_flat_scratch 0
		.amdhsa_float_round_mode_32 0
		.amdhsa_float_round_mode_16_64 0
		.amdhsa_float_denorm_mode_32 3
		.amdhsa_float_denorm_mode_16_64 3
		.amdhsa_dx10_clamp 1
		.amdhsa_ieee_mode 1
		.amdhsa_fp16_overflow 0
		.amdhsa_tg_split 0
		.amdhsa_exception_fp_ieee_invalid_op 0
		.amdhsa_exception_fp_denorm_src 0
		.amdhsa_exception_fp_ieee_div_zero 0
		.amdhsa_exception_fp_ieee_overflow 0
		.amdhsa_exception_fp_ieee_underflow 0
		.amdhsa_exception_fp_ieee_inexact 0
		.amdhsa_exception_int_div_zero 0
	.end_amdhsa_kernel
	.section	.text._ZN4vllm38concat_and_cache_mla_rope_fused_kernelIN3c108BFloat16EfLb0E14__hip_bfloat16hLNS_18Fp8KVCacheDataTypeE1EEEvPKlPT_S8_PKS7_PKT0_illlliPT3_S6_iiiiPKf,"axG",@progbits,_ZN4vllm38concat_and_cache_mla_rope_fused_kernelIN3c108BFloat16EfLb0E14__hip_bfloat16hLNS_18Fp8KVCacheDataTypeE1EEEvPKlPT_S8_PKS7_PKT0_illlliPT3_S6_iiiiPKf,comdat
.Lfunc_end103:
	.size	_ZN4vllm38concat_and_cache_mla_rope_fused_kernelIN3c108BFloat16EfLb0E14__hip_bfloat16hLNS_18Fp8KVCacheDataTypeE1EEEvPKlPT_S8_PKS7_PKT0_illlliPT3_S6_iiiiPKf, .Lfunc_end103-_ZN4vllm38concat_and_cache_mla_rope_fused_kernelIN3c108BFloat16EfLb0E14__hip_bfloat16hLNS_18Fp8KVCacheDataTypeE1EEEvPKlPT_S8_PKS7_PKT0_illlliPT3_S6_iiiiPKf
                                        ; -- End function
	.section	.AMDGPU.csdata,"",@progbits
; Kernel info:
; codeLenInByte = 4260
; NumSgprs: 60
; NumVgprs: 27
; NumAgprs: 0
; TotalNumVgprs: 27
; ScratchSize: 0
; MemoryBound: 0
; FloatMode: 240
; IeeeMode: 1
; LDSByteSize: 0 bytes/workgroup (compile time only)
; SGPRBlocks: 7
; VGPRBlocks: 3
; NumSGPRsForWavesPerEU: 60
; NumVGPRsForWavesPerEU: 27
; AccumOffset: 28
; Occupancy: 8
; WaveLimiterHint : 1
; COMPUTE_PGM_RSRC2:SCRATCH_EN: 0
; COMPUTE_PGM_RSRC2:USER_SGPR: 6
; COMPUTE_PGM_RSRC2:TRAP_HANDLER: 0
; COMPUTE_PGM_RSRC2:TGID_X_EN: 1
; COMPUTE_PGM_RSRC2:TGID_Y_EN: 0
; COMPUTE_PGM_RSRC2:TGID_Z_EN: 0
; COMPUTE_PGM_RSRC2:TIDIG_COMP_CNT: 0
; COMPUTE_PGM_RSRC3_GFX90A:ACCUM_OFFSET: 6
; COMPUTE_PGM_RSRC3_GFX90A:TG_SPLIT: 0
	.section	.text._ZN4vllm38concat_and_cache_mla_rope_fused_kernelIN3c108BFloat16ENS1_4HalfELb1E14__hip_bfloat16hLNS_18Fp8KVCacheDataTypeE1EEEvPKlPT_S9_PKS8_PKT0_illlliPT3_S7_iiiiPKf,"axG",@progbits,_ZN4vllm38concat_and_cache_mla_rope_fused_kernelIN3c108BFloat16ENS1_4HalfELb1E14__hip_bfloat16hLNS_18Fp8KVCacheDataTypeE1EEEvPKlPT_S9_PKS8_PKT0_illlliPT3_S7_iiiiPKf,comdat
	.protected	_ZN4vllm38concat_and_cache_mla_rope_fused_kernelIN3c108BFloat16ENS1_4HalfELb1E14__hip_bfloat16hLNS_18Fp8KVCacheDataTypeE1EEEvPKlPT_S9_PKS8_PKT0_illlliPT3_S7_iiiiPKf ; -- Begin function _ZN4vllm38concat_and_cache_mla_rope_fused_kernelIN3c108BFloat16ENS1_4HalfELb1E14__hip_bfloat16hLNS_18Fp8KVCacheDataTypeE1EEEvPKlPT_S9_PKS8_PKT0_illlliPT3_S7_iiiiPKf
	.globl	_ZN4vllm38concat_and_cache_mla_rope_fused_kernelIN3c108BFloat16ENS1_4HalfELb1E14__hip_bfloat16hLNS_18Fp8KVCacheDataTypeE1EEEvPKlPT_S9_PKS8_PKT0_illlliPT3_S7_iiiiPKf
	.p2align	8
	.type	_ZN4vllm38concat_and_cache_mla_rope_fused_kernelIN3c108BFloat16ENS1_4HalfELb1E14__hip_bfloat16hLNS_18Fp8KVCacheDataTypeE1EEEvPKlPT_S9_PKS8_PKT0_illlliPT3_S7_iiiiPKf,@function
_ZN4vllm38concat_and_cache_mla_rope_fused_kernelIN3c108BFloat16ENS1_4HalfELb1E14__hip_bfloat16hLNS_18Fp8KVCacheDataTypeE1EEEvPKlPT_S9_PKS8_PKT0_illlliPT3_S7_iiiiPKf: ; @_ZN4vllm38concat_and_cache_mla_rope_fused_kernelIN3c108BFloat16ENS1_4HalfELb1E14__hip_bfloat16hLNS_18Fp8KVCacheDataTypeE1EEEvPKlPT_S9_PKS8_PKT0_illlliPT3_S7_iiiiPKf
; %bb.0:
	s_load_dwordx2 s[2:3], s[4:5], 0x60
	s_mov_b32 s7, 0
	s_lshl_b64 s[0:1], s[6:7], 3
	s_waitcnt lgkmcnt(0)
	s_add_u32 s2, s2, s0
	s_addc_u32 s3, s3, s1
	s_load_dwordx2 s[26:27], s[2:3], 0x0
	s_waitcnt lgkmcnt(0)
	v_cmp_lt_i64_e64 s[2:3], s[26:27], 0
	s_and_b64 vcc, exec, s[2:3]
	s_cbranch_vccnz .LBB104_61
; %bb.1:
	s_load_dword s22, s[4:5], 0x28
	s_load_dwordx2 s[2:3], s[4:5], 0x0
	s_load_dwordx4 s[16:19], s[4:5], 0x10
	s_waitcnt lgkmcnt(0)
	s_ashr_i32 s7, s22, 31
	s_add_u32 s0, s2, s0
	s_addc_u32 s1, s3, s1
	s_load_dwordx2 s[2:3], s[0:1], 0x0
	s_load_dwordx2 s[28:29], s[4:5], 0x20
	s_load_dwordx8 s[8:15], s[4:5], 0x30
	s_load_dwordx2 s[20:21], s[4:5], 0x58
	s_load_dword s23, s[4:5], 0x50
	s_waitcnt lgkmcnt(0)
	s_mul_i32 s0, s2, s7
	s_mul_hi_u32 s1, s2, s22
	s_mul_i32 s3, s3, s22
	s_add_i32 s0, s1, s0
	s_add_i32 s1, s0, s3
	s_mul_i32 s0, s2, s22
	s_lshl_b64 s[30:31], s[0:1], 1
	s_add_u32 s7, s28, s30
	s_addc_u32 s33, s29, s31
	s_lshr_b32 s0, s22, 31
	s_add_i32 s22, s22, s0
	s_ashr_i32 s22, s22, 1
	s_mul_i32 s38, s22, s23
	v_cmp_gt_i32_e32 vcc, s38, v0
	s_and_saveexec_b64 s[24:25], vcc
	s_cbranch_execz .LBB104_4
; %bb.2:
	s_load_dwordx2 s[0:1], s[4:5], 0x8
	s_mul_i32 s2, s6, s9
	s_mul_hi_u32 s3, s6, s8
	s_add_i32 s3, s3, s2
	s_mul_i32 s2, s6, s8
	s_load_dword s8, s[4:5], 0x8c
	s_ashr_i32 s23, s22, 31
	s_lshl_b64 s[2:3], s[2:3], 1
	s_waitcnt lgkmcnt(0)
	s_add_u32 s39, s0, s2
	s_addc_u32 s0, s1, s3
	s_abs_i32 s40, s22
	v_cvt_f32_u32_e32 v1, s40
	s_sub_i32 s1, 0, s40
	s_lshl_b64 s[36:37], s[22:23], 1
	s_mov_b64 s[34:35], 0
	v_rcp_iflag_f32_e32 v2, v1
	v_mov_b32_e32 v1, s33
	s_and_b32 s41, s8, 0xffff
	s_sub_i32 s42, 0, s22
	v_mul_f32_e32 v2, 0x4f7ffffe, v2
	v_cvt_u32_f32_e32 v2, v2
	v_mov_b32_e32 v4, s37
	v_mov_b32_e32 v5, s0
	s_movk_i32 s37, 0x7fff
	v_mul_lo_u32 v3, s1, v2
	v_mul_hi_u32 v3, v2, v3
	v_add_u32_e32 v3, v2, v3
	v_mov_b32_e32 v6, 0x7fc00000
	v_mov_b32_e32 v7, 0x7fc0
	;; [unrolled: 1-line block ×3, first 2 shown]
.LBB104_3:                              ; =>This Inner Loop Header: Depth=1
	v_sub_u32_e32 v9, 0, v2
	v_max_i32_e32 v9, v2, v9
	v_mul_hi_u32 v10, v9, v3
	v_mul_lo_u32 v11, v10, s40
	v_sub_u32_e32 v9, v9, v11
	v_add_u32_e32 v12, 1, v10
	v_cmp_le_u32_e32 vcc, s40, v9
	v_subrev_u32_e32 v11, s40, v9
	v_cndmask_b32_e32 v10, v10, v12, vcc
	v_cndmask_b32_e32 v9, v9, v11, vcc
	v_ashrrev_i32_e32 v8, 31, v2
	v_add_u32_e32 v11, 1, v10
	v_cmp_le_u32_e32 vcc, s40, v9
	v_xor_b32_e32 v8, s23, v8
	v_cndmask_b32_e32 v9, v10, v11, vcc
	v_xor_b32_e32 v9, v9, v8
	v_sub_u32_e32 v10, v9, v8
	v_mad_u64_u32 v[8:9], s[0:1], s42, v10, v[2:3]
	v_ashrrev_i32_e32 v12, 31, v10
	v_ashrrev_i32_e32 v9, 31, v8
	v_mul_lo_u32 v13, v10, s11
	v_mad_u64_u32 v[10:11], s[0:1], v10, s10, 0
	v_mul_lo_u32 v12, v12, s10
	v_lshlrev_b64 v[8:9], 1, v[8:9]
	v_add3_u32 v11, v11, v13, v12
	v_add_co_u32_e32 v12, vcc, s7, v8
	v_addc_co_u32_e32 v13, vcc, v1, v9, vcc
	v_add_co_u32_e32 v14, vcc, s36, v12
	v_lshlrev_b64 v[10:11], 1, v[10:11]
	v_addc_co_u32_e32 v15, vcc, v13, v4, vcc
	global_load_ushort v16, v[12:13], off
	global_load_ushort v17, v[14:15], off
	v_add_co_u32_e32 v10, vcc, s39, v10
	v_addc_co_u32_e32 v11, vcc, v5, v11, vcc
	v_add_co_u32_e32 v8, vcc, v10, v8
	v_addc_co_u32_e32 v9, vcc, v11, v9, vcc
	;; [unrolled: 2-line block ×3, first 2 shown]
	global_load_ushort v12, v[8:9], off
	global_load_ushort v14, v[10:11], off
	v_add_u32_e32 v2, s41, v2
	v_cmp_le_i32_e32 vcc, s38, v2
	s_or_b64 s[34:35], vcc, s[34:35]
	s_waitcnt vmcnt(3)
	v_cvt_f32_f16_e32 v18, v16
	s_waitcnt vmcnt(2)
	v_cvt_f32_f16_e32 v19, v17
	v_cmp_o_f16_e32 vcc, v16, v16
	v_bfe_u32 v20, v18, 16, 1
	v_bfe_u32 v21, v19, 16, 1
	v_add3_u32 v18, v18, v20, s37
	v_add3_u32 v19, v19, v21, s37
	v_and_b32_e32 v18, 0xffff0000, v18
	v_and_b32_e32 v19, 0xffff0000, v19
	v_cndmask_b32_e32 v16, v6, v18, vcc
	v_cmp_o_f16_e32 vcc, v17, v17
	v_cndmask_b32_e32 v17, v6, v19, vcc
	s_waitcnt vmcnt(1)
	v_lshlrev_b32_e32 v13, 16, v12
	s_waitcnt vmcnt(0)
	v_lshlrev_b32_e32 v12, 16, v14
	v_mov_b32_e32 v14, v13
	v_mov_b32_e32 v15, v12
	v_pk_mul_f32 v[14:15], v[16:17], v[14:15]
	v_pk_mul_f32 v[12:13], v[16:17], v[12:13]
	v_bfe_u32 v16, v14, 16, 1
	v_bfe_u32 v17, v15, 16, 1
	;; [unrolled: 1-line block ×4, first 2 shown]
	v_add3_u32 v17, v15, v17, s37
	v_add3_u32 v16, v14, v16, s37
	;; [unrolled: 1-line block ×4, first 2 shown]
	v_and_b32_e32 v16, 0xffff0000, v16
	v_and_b32_e32 v17, 0xffff0000, v17
	v_cmp_o_f32_e32 vcc, v14, v14
	v_cmp_o_f32_e64 s[8:9], v15, v15
	v_and_b32_e32 v14, 0xffff0000, v18
	v_and_b32_e32 v18, 0xffff0000, v19
	v_cmp_o_f32_e64 s[0:1], v13, v13
	v_cmp_o_f32_e64 s[2:3], v12, v12
	v_cndmask_b32_e64 v12, v6, v17, s[8:9]
	v_cndmask_b32_e32 v13, v6, v16, vcc
	v_cndmask_b32_e64 v15, v6, v18, s[0:1]
	v_cndmask_b32_e64 v14, v6, v14, s[2:3]
	v_sub_f32_e32 v12, v13, v12
	v_add_f32_e32 v13, v14, v15
	v_bfe_u32 v14, v12, 16, 1
	v_bfe_u32 v15, v13, 16, 1
	v_add3_u32 v14, v12, v14, s37
	v_add3_u32 v15, v13, v15, s37
	v_lshrrev_b32_e32 v14, 16, v14
	v_cmp_o_f32_e64 s[0:1], v12, v12
	v_lshrrev_b32_e32 v15, 16, v15
	v_cmp_o_f32_e32 vcc, v13, v13
	v_cndmask_b32_e64 v12, v7, v14, s[0:1]
	v_cndmask_b32_e32 v13, v7, v15, vcc
	global_store_short v[8:9], v12, off
	global_store_short v[10:11], v13, off
	s_andn2_b64 exec, exec, s[34:35]
	s_cbranch_execnz .LBB104_3
.LBB104_4:
	s_or_b64 exec, exec, s[24:25]
	s_load_dwordx4 s[8:11], s[4:5], 0x68
	s_waitcnt lgkmcnt(0)
	s_ashr_i32 s35, s11, 31
	s_mov_b32 s34, s11
	s_or_b64 s[0:1], s[26:27], s[34:35]
	s_mov_b32 s0, 0
	s_cmp_lg_u64 s[0:1], 0
	s_cbranch_scc0 .LBB104_62
; %bb.5:
	s_add_u32 s0, s34, s35
	s_mov_b32 s2, s35
	s_mov_b32 s3, s35
	s_addc_u32 s1, s35, s35
	s_xor_b64 s[36:37], s[0:1], s[2:3]
	v_cvt_f32_u32_e32 v1, s36
	v_cvt_f32_u32_e32 v2, s37
	s_sub_u32 s0, 0, s36
	s_subb_u32 s1, 0, s37
	v_madmk_f32 v1, v2, 0x4f800000, v1
	v_rcp_f32_e32 v1, v1
	v_mul_f32_e32 v1, 0x5f7ffffc, v1
	v_mul_f32_e32 v2, 0x2f800000, v1
	v_trunc_f32_e32 v2, v2
	v_madmk_f32 v1, v2, 0xcf800000, v1
	v_cvt_u32_f32_e32 v2, v2
	v_cvt_u32_f32_e32 v1, v1
	v_readfirstlane_b32 s11, v2
	v_readfirstlane_b32 s23, v1
	s_mul_i32 s38, s0, s11
	s_mul_hi_u32 s40, s0, s23
	s_mul_i32 s39, s1, s23
	s_add_i32 s38, s40, s38
	s_add_i32 s38, s38, s39
	s_mul_i32 s41, s0, s23
	s_mul_hi_u32 s39, s23, s38
	s_mul_i32 s40, s23, s38
	s_mul_hi_u32 s23, s23, s41
	s_add_u32 s23, s23, s40
	s_addc_u32 s39, 0, s39
	s_mul_hi_u32 s42, s11, s41
	s_mul_i32 s41, s11, s41
	s_add_u32 s23, s23, s41
	s_mul_hi_u32 s40, s11, s38
	s_addc_u32 s23, s39, s42
	s_addc_u32 s39, s40, 0
	s_mul_i32 s38, s11, s38
	s_add_u32 s23, s23, s38
	s_addc_u32 s38, 0, s39
	v_add_co_u32_e32 v1, vcc, s23, v1
	s_cmp_lg_u64 vcc, 0
	s_addc_u32 s11, s11, s38
	v_readfirstlane_b32 s38, v1
	s_mul_i32 s23, s0, s11
	s_mul_hi_u32 s39, s0, s38
	s_add_i32 s23, s39, s23
	s_mul_i32 s1, s1, s38
	s_add_i32 s23, s23, s1
	s_mul_i32 s0, s0, s38
	s_mul_hi_u32 s39, s11, s0
	s_mul_i32 s40, s11, s0
	s_mul_i32 s42, s38, s23
	s_mul_hi_u32 s0, s38, s0
	s_mul_hi_u32 s41, s38, s23
	s_add_u32 s0, s0, s42
	s_addc_u32 s38, 0, s41
	s_add_u32 s0, s0, s40
	s_mul_hi_u32 s1, s11, s23
	s_addc_u32 s0, s38, s39
	s_addc_u32 s1, s1, 0
	s_mul_i32 s23, s11, s23
	s_add_u32 s0, s0, s23
	s_addc_u32 s1, 0, s1
	v_add_co_u32_e32 v1, vcc, s0, v1
	s_cmp_lg_u64 vcc, 0
	s_addc_u32 s11, s11, s1
	s_ashr_i32 s38, s27, 31
	s_add_u32 s0, s26, s38
	s_mov_b32 s39, s38
	s_addc_u32 s1, s27, s38
	s_xor_b64 s[40:41], s[0:1], s[38:39]
	v_readfirstlane_b32 s23, v1
	s_mul_i32 s1, s40, s11
	s_mul_hi_u32 s42, s40, s23
	s_mul_hi_u32 s0, s40, s11
	s_add_u32 s1, s42, s1
	s_addc_u32 s0, 0, s0
	s_mul_hi_u32 s43, s41, s23
	s_mul_i32 s23, s41, s23
	s_add_u32 s1, s1, s23
	s_mul_hi_u32 s42, s41, s11
	s_addc_u32 s0, s0, s43
	s_addc_u32 s1, s42, 0
	s_mul_i32 s11, s41, s11
	s_add_u32 s11, s0, s11
	s_addc_u32 s23, 0, s1
	s_mul_i32 s0, s36, s23
	s_mul_hi_u32 s1, s36, s11
	s_add_i32 s0, s1, s0
	s_mul_i32 s1, s37, s11
	s_add_i32 s42, s0, s1
	s_mul_i32 s1, s36, s11
	v_mov_b32_e32 v1, s1
	s_sub_i32 s0, s41, s42
	v_sub_co_u32_e32 v1, vcc, s40, v1
	s_cmp_lg_u64 vcc, 0
	s_subb_u32 s40, s0, s37
	v_subrev_co_u32_e64 v2, s[0:1], s36, v1
	s_cmp_lg_u64 s[0:1], 0
	s_subb_u32 s0, s40, 0
	s_cmp_ge_u32 s0, s37
	v_readfirstlane_b32 s40, v2
	s_cselect_b32 s1, -1, 0
	s_cmp_ge_u32 s40, s36
	s_cselect_b32 s40, -1, 0
	s_cmp_eq_u32 s0, s37
	s_cselect_b32 s0, s40, s1
	s_add_u32 s1, s11, 1
	s_addc_u32 s40, s23, 0
	s_add_u32 s43, s11, 2
	s_addc_u32 s44, s23, 0
	s_cmp_lg_u32 s0, 0
	s_cselect_b32 s0, s43, s1
	s_cselect_b32 s1, s44, s40
	s_cmp_lg_u64 vcc, 0
	s_subb_u32 s40, s41, s42
	s_cmp_ge_u32 s40, s37
	v_readfirstlane_b32 s42, v1
	s_cselect_b32 s41, -1, 0
	s_cmp_ge_u32 s42, s36
	s_cselect_b32 s36, -1, 0
	s_cmp_eq_u32 s40, s37
	s_cselect_b32 s36, s36, s41
	s_cmp_lg_u32 s36, 0
	s_cselect_b32 s1, s1, s23
	s_cselect_b32 s0, s0, s11
	s_xor_b64 s[2:3], s[38:39], s[2:3]
	s_xor_b64 s[0:1], s[0:1], s[2:3]
	s_sub_u32 s2, s0, s2
	s_subb_u32 s3, s1, s3
	s_cbranch_execnz .LBB104_7
.LBB104_6:
	v_cvt_f32_u32_e32 v1, s34
	s_sub_i32 s0, 0, s34
	s_mov_b32 s3, 0
	v_rcp_iflag_f32_e32 v1, v1
	v_mul_f32_e32 v1, 0x4f7ffffe, v1
	v_cvt_u32_f32_e32 v1, v1
	v_readfirstlane_b32 s1, v1
	s_mul_i32 s0, s0, s1
	s_mul_hi_u32 s0, s1, s0
	s_add_i32 s1, s1, s0
	s_mul_hi_u32 s0, s26, s1
	s_mul_i32 s2, s0, s34
	s_sub_i32 s2, s26, s2
	s_add_i32 s1, s0, 1
	s_sub_i32 s11, s2, s34
	s_cmp_ge_u32 s2, s34
	s_cselect_b32 s0, s1, s0
	s_cselect_b32 s2, s11, s2
	s_add_i32 s1, s0, 1
	s_cmp_ge_u32 s2, s34
	s_cselect_b32 s2, s1, s0
.LBB104_7:
	s_mul_i32 s0, s2, s35
	s_mul_hi_u32 s1, s2, s34
	s_load_dwordx2 s[24:25], s[4:5], 0x78
	s_add_i32 s0, s1, s0
	s_mul_i32 s1, s3, s34
	s_add_i32 s0, s0, s1
	s_mul_i32 s1, s2, s34
	s_sub_u32 s11, s26, s1
	s_subb_u32 s0, s27, s0
	v_cmp_gt_i32_e32 vcc, s22, v0
	s_mul_hi_u32 s42, s2, s8
	s_mul_i32 s43, s3, s8
	s_mul_i32 s44, s2, s8
	s_mul_hi_u32 s41, s11, s9
	s_mul_i32 s3, s0, s9
	s_mul_i32 s40, s11, s9
	s_and_saveexec_b64 s[26:27], vcc
	s_cbranch_execz .LBB104_42
; %bb.8:
	s_mul_i32 s0, s6, s13
	s_mul_hi_u32 s1, s6, s12
	s_add_i32 s1, s1, s0
	s_mul_i32 s0, s6, s12
	s_ashr_i32 s23, s22, 31
	s_lshl_b64 s[0:1], s[0:1], 1
	s_add_u32 s45, s16, s0
	s_addc_u32 s46, s17, s1
	s_ashr_i32 s12, s8, 31
	s_load_dword s13, s[4:5], 0x8c
	s_mul_i32 s12, s2, s12
	s_add_i32 s12, s42, s12
	s_add_i32 s34, s12, s43
	s_ashr_i32 s12, s9, 31
	s_mul_i32 s12, s11, s12
	s_add_i32 s12, s41, s12
	s_waitcnt lgkmcnt(0)
	s_and_b32 s48, s13, 0xffff
	s_add_i32 s35, s12, s3
	s_ashr_i32 s36, s10, 31
	s_lshl_b32 s50, s48, 1
	s_lshl_b64 s[12:13], s[22:23], 1
	s_add_u32 s30, s30, s12
	s_addc_u32 s31, s31, s13
	s_add_u32 s51, s28, s30
	s_addc_u32 s52, s29, s31
	;; [unrolled: 2-line block ×5, first 2 shown]
	s_add_u32 s0, s0, s10
	s_load_dword s47, s[24:25], 0x0
	s_addc_u32 s1, s1, s36
	s_add_u32 s0, s20, s0
	s_addc_u32 s1, s21, s1
	v_mov_b32_e32 v1, s1
	v_add_co_u32_e32 v6, vcc, s0, v0
	s_mov_b32 s49, 0
	v_mov_b32_e32 v3, 0
	v_lshlrev_b32_e32 v4, 1, v0
	v_addc_co_u32_e32 v7, vcc, 0, v1, vcc
	s_mov_b64 s[12:13], 0
	s_movk_i32 s55, 0x7fff
	v_mov_b32_e32 v1, 0x7fc00000
	v_mov_b32_e32 v5, 0x7fc0
	s_movk_i32 s56, 0x80
	s_mov_b64 s[16:17], 0x7f800000
	s_mov_b64 s[28:29], 0x43e00001
	s_movk_i32 s57, 0x7a
	s_mov_b64 s[30:31], 0xffffff
	s_movk_i32 s58, 0x7f
	v_mov_b32_e32 v12, 0xffffff82
	v_mov_b32_e32 v13, 0x78
	;; [unrolled: 1-line block ×3, first 2 shown]
	s_branch .LBB104_10
.LBB104_9:                              ;   in Loop: Header=BB104_10 Depth=1
	s_or_b64 exec, exec, s[0:1]
	s_add_u32 s7, s7, s50
	s_addc_u32 s33, s33, 0
	s_add_u32 s51, s51, s50
	s_addc_u32 s52, s52, 0
	s_add_u32 s53, s53, s50
	v_mov_b32_e32 v2, s23
	v_add_co_u32_e32 v10, vcc, s22, v6
	s_addc_u32 s54, s54, 0
	v_addc_co_u32_e32 v11, vcc, v7, v2, vcc
	v_add_u32_e32 v14, s48, v14
	s_add_u32 s45, s45, s50
	s_addc_u32 s46, s46, 0
	v_cmp_le_i32_e32 vcc, s22, v14
	v_mov_b32_e32 v2, s49
	s_or_b64 s[12:13], vcc, s[12:13]
	v_add_co_u32_e32 v6, vcc, s48, v6
	v_addc_co_u32_e32 v7, vcc, v7, v2, vcc
	global_store_byte v[10:11], v9, off
	s_andn2_b64 exec, exec, s[12:13]
	s_cbranch_execz .LBB104_42
.LBB104_10:                             ; =>This Inner Loop Header: Depth=1
	v_mov_b32_e32 v2, s33
	v_add_co_u32_e32 v8, vcc, s7, v4
	v_addc_co_u32_e32 v9, vcc, 0, v2, vcc
	global_load_ushort v2, v[8:9], off
	v_mov_b32_e32 v9, s52
	v_add_co_u32_e32 v8, vcc, s51, v4
	v_addc_co_u32_e32 v9, vcc, 0, v9, vcc
	global_load_ushort v15, v[8:9], off
	v_mov_b32_e32 v9, s46
	v_add_co_u32_e32 v8, vcc, s45, v4
	v_addc_co_u32_e32 v9, vcc, 0, v9, vcc
	v_mov_b32_e32 v11, s54
	v_add_co_u32_e32 v10, vcc, s53, v4
	v_addc_co_u32_e32 v11, vcc, 0, v11, vcc
	global_load_ushort v16, v[8:9], off
	global_load_ushort v18, v[10:11], off
	v_mov_b32_e32 v17, v3
	s_waitcnt vmcnt(3)
	v_cvt_f32_f16_e32 v23, v2
	s_waitcnt vmcnt(2)
	v_cvt_f32_f16_e32 v22, v15
	v_cmp_o_f16_e32 vcc, v15, v15
	v_bfe_u32 v24, v22, 16, 1
	v_add3_u32 v22, v22, v24, s55
	v_and_b32_e32 v22, 0xffff0000, v22
	s_waitcnt vmcnt(1)
	v_lshlrev_b32_e32 v19, 16, v16
	v_bfe_u32 v16, v23, 16, 1
	v_add3_u32 v16, v23, v16, s55
	s_waitcnt vmcnt(0)
	v_lshlrev_b32_e32 v18, 16, v18
	v_and_b32_e32 v16, 0xffff0000, v16
	v_cndmask_b32_e32 v23, v1, v22, vcc
	v_cmp_o_f16_e32 vcc, v2, v2
	v_mov_b32_e32 v20, v19
	v_mov_b32_e32 v21, v18
	v_cndmask_b32_e32 v22, v1, v16, vcc
	v_pk_mul_f32 v[20:21], v[22:23], v[20:21]
	v_bfe_u32 v15, v21, 16, 1
	v_pk_mul_f32 v[18:19], v[22:23], v[18:19]
	v_bfe_u32 v2, v20, 16, 1
	v_add3_u32 v15, v21, v15, s55
	v_bfe_u32 v22, v19, 16, 1
	v_add3_u32 v2, v20, v2, s55
	v_and_b32_e32 v15, 0xffff0000, v15
	v_cmp_o_f32_e32 vcc, v21, v21
	v_bfe_u32 v16, v18, 16, 1
	v_add3_u32 v22, v19, v22, s55
	v_and_b32_e32 v2, 0xffff0000, v2
	v_cndmask_b32_e32 v15, v1, v15, vcc
	v_cmp_o_f32_e32 vcc, v20, v20
	v_add3_u32 v16, v18, v16, s55
	v_and_b32_e32 v22, 0xffff0000, v22
	v_cndmask_b32_e32 v2, v1, v2, vcc
	v_cmp_o_f32_e32 vcc, v19, v19
	v_and_b32_e32 v16, 0xffff0000, v16
	v_cndmask_b32_e32 v19, v1, v22, vcc
	v_cmp_o_f32_e32 vcc, v18, v18
	v_cndmask_b32_e32 v16, v1, v16, vcc
	v_sub_f32_e32 v2, v2, v15
	v_add_f32_e32 v15, v16, v19
	v_bfe_u32 v16, v2, 16, 1
	v_add3_u32 v16, v2, v16, s55
	v_lshrrev_b32_e32 v16, 16, v16
	v_cmp_o_f32_e32 vcc, v2, v2
	v_cndmask_b32_e32 v2, v5, v16, vcc
	global_store_short v[8:9], v2, off
	v_lshlrev_b32_e32 v2, 16, v2
	s_waitcnt lgkmcnt(0)
	v_div_scale_f32 v8, s[0:1], s47, s47, v2
	v_bfe_u32 v18, v15, 16, 1
	v_rcp_f32_e32 v9, v8
	v_add3_u32 v18, v15, v18, s55
	v_lshrrev_b32_e32 v18, 16, v18
	v_cmp_o_f32_e32 vcc, v15, v15
	v_cndmask_b32_e32 v15, v5, v18, vcc
	global_store_short v[10:11], v15, off
	v_fma_f32 v11, -v8, v9, 1.0
	v_div_scale_f32 v10, vcc, v2, s47, v2
	v_fmac_f32_e32 v9, v11, v9
	v_mul_f32_e32 v11, v10, v9
	v_fma_f32 v16, -v8, v11, v10
	v_fmac_f32_e32 v11, v16, v9
	v_fma_f32 v8, -v8, v11, v10
	v_div_fmas_f32 v8, v8, v9, v11
	v_div_fixup_f32 v8, v8, s47, v2
	v_and_b32_sdwa v10, v8, s56 dst_sel:DWORD dst_unused:UNUSED_PAD src0_sel:BYTE_3 src1_sel:DWORD
	v_and_b32_e32 v16, 0x7f800000, v8
	v_and_b32_e32 v2, 0x7fffff, v8
	v_or_b32_e32 v9, 0x7e, v10
	v_cmp_ne_u64_e32 vcc, s[16:17], v[16:17]
	s_and_saveexec_b64 s[0:1], vcc
	s_xor_b64 s[34:35], exec, s[0:1]
	s_cbranch_execz .LBB104_24
; %bb.11:                               ;   in Loop: Header=BB104_10 Depth=1
	v_and_b32_e32 v16, 0x7fffffff, v8
	v_mov_b32_e32 v17, v3
	v_cmp_gt_u64_e32 vcc, s[28:29], v[16:17]
	s_and_saveexec_b64 s[0:1], vcc
	s_xor_b64 s[36:37], exec, s[0:1]
	s_cbranch_execz .LBB104_23
; %bb.12:                               ;   in Loop: Header=BB104_10 Depth=1
	v_cmp_ne_u32_e32 vcc, 0, v8
	v_mov_b32_e32 v9, 0
	s_and_saveexec_b64 s[38:39], vcc
	s_cbranch_execz .LBB104_22
; %bb.13:                               ;   in Loop: Header=BB104_10 Depth=1
	v_bfe_u32 v8, v8, 23, 8
	v_sub_u32_e32 v11, 0x79, v8
	v_cmp_gt_u32_e32 vcc, s57, v8
	v_cndmask_b32_e32 v11, 0, v11, vcc
	v_cmp_eq_u32_e32 vcc, 0, v8
	v_cndmask_b32_e32 v11, v11, v13, vcc
	v_add_u32_e32 v9, 0xffffff81, v8
	v_or_b32_e32 v16, 0x800000, v2
	v_add_u32_e32 v8, 20, v11
	v_cndmask_b32_e32 v17, v9, v12, vcc
	v_cndmask_b32_e32 v2, v16, v2, vcc
	v_lshlrev_b64 v[8:9], v8, -1
	v_not_b32_e32 v8, v8
	v_lshrrev_b64 v[20:21], v11, v[2:3]
	v_not_b32_e32 v9, v9
	v_and_b32_e32 v8, v2, v8
	v_add_u32_e32 v16, 19, v11
	v_lshrrev_b32_e32 v2, 23, v20
	v_and_b32_e32 v9, 0, v9
	v_lshlrev_b64 v[18:19], v16, 1
	v_add3_u32 v16, v11, v17, v2
	v_bfe_u32 v2, v20, 20, 1
	v_add_u32_e32 v2, -1, v2
	v_cmp_eq_u64_e32 vcc, v[8:9], v[18:19]
	v_cndmask_b32_e32 v2, 0, v2, vcc
	v_add_u32_e32 v2, v2, v20
	v_and_b32_e32 v2, 0xfffff, v2
	v_add_co_u32_e32 v8, vcc, v2, v20
	v_add_u32_e32 v11, 6, v16
	v_addc_co_u32_e32 v9, vcc, 0, v21, vcc
	v_cmp_ne_u32_e32 vcc, 0, v11
                                        ; implicit-def: $vgpr2
	s_and_saveexec_b64 s[0:1], vcc
	s_xor_b64 s[0:1], exec, s[0:1]
; %bb.14:                               ;   in Loop: Header=BB104_10 Depth=1
	v_add_u32_e32 v2, 7, v16
	v_cmp_lt_u64_e32 vcc, s[30:31], v[8:9]
	v_cndmask_b32_e32 v2, v11, v2, vcc
	v_cndmask_b32_e64 v11, 0, 1, vcc
	v_lshrrev_b64 v[8:9], v11, v[8:9]
; %bb.15:                               ;   in Loop: Header=BB104_10 Depth=1
	s_andn2_saveexec_b64 s[0:1], s[0:1]
; %bb.16:                               ;   in Loop: Header=BB104_10 Depth=1
	v_bfe_u32 v2, v8, 23, 1
; %bb.17:                               ;   in Loop: Header=BB104_10 Depth=1
	s_or_b64 exec, exec, s[0:1]
	v_lshrrev_b64 v[8:9], 20, v[8:9]
	v_cmp_gt_i32_e32 vcc, 16, v2
	v_cndmask_b32_e32 v9, 0, v9, vcc
	v_cndmask_b32_e32 v8, 7, v8, vcc
	v_cmp_ne_u32_e32 vcc, 0, v2
	v_cmp_ne_u64_e64 s[0:1], 0, v[8:9]
	s_or_b64 s[0:1], vcc, s[0:1]
                                        ; implicit-def: $vgpr9
	s_and_saveexec_b64 s[60:61], s[0:1]
	s_xor_b64 s[0:1], exec, s[60:61]
; %bb.18:                               ;   in Loop: Header=BB104_10 Depth=1
	v_min_i32_e32 v2, 15, v2
	v_lshl_or_b32 v2, v2, 3, v10
	v_and_or_b32 v9, v8, 7, v2
                                        ; implicit-def: $vgpr10
; %bb.19:                               ;   in Loop: Header=BB104_10 Depth=1
	s_andn2_saveexec_b64 s[0:1], s[0:1]
; %bb.20:                               ;   in Loop: Header=BB104_10 Depth=1
	v_mov_b32_e32 v9, v10
; %bb.21:                               ;   in Loop: Header=BB104_10 Depth=1
	s_or_b64 exec, exec, s[0:1]
.LBB104_22:                             ;   in Loop: Header=BB104_10 Depth=1
	s_or_b64 exec, exec, s[38:39]
.LBB104_23:                             ;   in Loop: Header=BB104_10 Depth=1
	s_andn2_saveexec_b64 s[0:1], s[36:37]
	s_or_b64 exec, exec, s[0:1]
                                        ; implicit-def: $vgpr8
.LBB104_24:                             ;   in Loop: Header=BB104_10 Depth=1
	s_andn2_saveexec_b64 s[0:1], s[34:35]
; %bb.25:                               ;   in Loop: Header=BB104_10 Depth=1
	v_or_b32_sdwa v8, v8, s58 dst_sel:DWORD dst_unused:UNUSED_PAD src0_sel:BYTE_3 src1_sel:DWORD
	v_cmp_eq_u64_e32 vcc, 0, v[2:3]
	v_cndmask_b32_e32 v9, v8, v9, vcc
; %bb.26:                               ;   in Loop: Header=BB104_10 Depth=1
	s_or_b64 exec, exec, s[0:1]
	v_lshlrev_b32_e32 v2, 16, v15
	v_div_scale_f32 v8, s[0:1], s47, s47, v2
	v_rcp_f32_e32 v10, v8
	global_store_byte v[6:7], v9, off
	v_mov_b32_e32 v17, v3
	v_fma_f32 v9, -v8, v10, 1.0
	v_fmac_f32_e32 v10, v9, v10
	v_div_scale_f32 v9, vcc, v2, s47, v2
	v_mul_f32_e32 v11, v9, v10
	v_fma_f32 v15, -v8, v11, v9
	v_fmac_f32_e32 v11, v15, v10
	v_fma_f32 v8, -v8, v11, v9
	v_div_fmas_f32 v8, v8, v10, v11
	v_div_fixup_f32 v8, v8, s47, v2
	v_and_b32_sdwa v10, v8, s56 dst_sel:DWORD dst_unused:UNUSED_PAD src0_sel:BYTE_3 src1_sel:DWORD
	v_and_b32_e32 v16, 0x7f800000, v8
	v_and_b32_e32 v2, 0x7fffff, v8
	v_or_b32_e32 v9, 0x7e, v10
	v_cmp_ne_u64_e32 vcc, s[16:17], v[16:17]
	s_and_saveexec_b64 s[0:1], vcc
	s_xor_b64 s[34:35], exec, s[0:1]
	s_cbranch_execz .LBB104_40
; %bb.27:                               ;   in Loop: Header=BB104_10 Depth=1
	v_and_b32_e32 v16, 0x7fffffff, v8
	v_mov_b32_e32 v17, v3
	v_cmp_gt_u64_e32 vcc, s[28:29], v[16:17]
	s_and_saveexec_b64 s[0:1], vcc
	s_xor_b64 s[36:37], exec, s[0:1]
	s_cbranch_execz .LBB104_39
; %bb.28:                               ;   in Loop: Header=BB104_10 Depth=1
	v_cmp_ne_u32_e32 vcc, 0, v8
	v_mov_b32_e32 v9, 0
	s_and_saveexec_b64 s[38:39], vcc
	s_cbranch_execz .LBB104_38
; %bb.29:                               ;   in Loop: Header=BB104_10 Depth=1
	v_bfe_u32 v8, v8, 23, 8
	v_sub_u32_e32 v11, 0x79, v8
	v_cmp_gt_u32_e32 vcc, s57, v8
	v_cndmask_b32_e32 v11, 0, v11, vcc
	v_cmp_eq_u32_e32 vcc, 0, v8
	v_cndmask_b32_e32 v11, v11, v13, vcc
	v_add_u32_e32 v9, 0xffffff81, v8
	v_or_b32_e32 v15, 0x800000, v2
	v_add_u32_e32 v8, 20, v11
	v_cndmask_b32_e32 v20, v9, v12, vcc
	v_cndmask_b32_e32 v2, v15, v2, vcc
	v_lshlrev_b64 v[8:9], v8, -1
	v_not_b32_e32 v8, v8
	v_lshrrev_b64 v[18:19], v11, v[2:3]
	v_not_b32_e32 v9, v9
	v_and_b32_e32 v8, v2, v8
	v_add_u32_e32 v15, 19, v11
	v_lshrrev_b32_e32 v2, 23, v18
	v_and_b32_e32 v9, 0, v9
	v_lshlrev_b64 v[16:17], v15, 1
	v_add3_u32 v15, v11, v20, v2
	v_bfe_u32 v2, v18, 20, 1
	v_add_u32_e32 v2, -1, v2
	v_cmp_eq_u64_e32 vcc, v[8:9], v[16:17]
	v_cndmask_b32_e32 v2, 0, v2, vcc
	v_add_u32_e32 v2, v2, v18
	v_and_b32_e32 v2, 0xfffff, v2
	v_add_co_u32_e32 v8, vcc, v2, v18
	v_add_u32_e32 v11, 6, v15
	v_addc_co_u32_e32 v9, vcc, 0, v19, vcc
	v_cmp_ne_u32_e32 vcc, 0, v11
                                        ; implicit-def: $vgpr2
	s_and_saveexec_b64 s[0:1], vcc
	s_xor_b64 s[0:1], exec, s[0:1]
; %bb.30:                               ;   in Loop: Header=BB104_10 Depth=1
	v_add_u32_e32 v2, 7, v15
	v_cmp_lt_u64_e32 vcc, s[30:31], v[8:9]
	v_cndmask_b32_e32 v2, v11, v2, vcc
	v_cndmask_b32_e64 v11, 0, 1, vcc
	v_lshrrev_b64 v[8:9], v11, v[8:9]
; %bb.31:                               ;   in Loop: Header=BB104_10 Depth=1
	s_andn2_saveexec_b64 s[0:1], s[0:1]
; %bb.32:                               ;   in Loop: Header=BB104_10 Depth=1
	v_bfe_u32 v2, v8, 23, 1
; %bb.33:                               ;   in Loop: Header=BB104_10 Depth=1
	s_or_b64 exec, exec, s[0:1]
	v_lshrrev_b64 v[8:9], 20, v[8:9]
	v_cmp_gt_i32_e32 vcc, 16, v2
	v_cndmask_b32_e32 v9, 0, v9, vcc
	v_cndmask_b32_e32 v8, 7, v8, vcc
	v_cmp_ne_u32_e32 vcc, 0, v2
	v_cmp_ne_u64_e64 s[0:1], 0, v[8:9]
	s_or_b64 s[0:1], vcc, s[0:1]
                                        ; implicit-def: $vgpr9
	s_and_saveexec_b64 s[60:61], s[0:1]
	s_xor_b64 s[0:1], exec, s[60:61]
; %bb.34:                               ;   in Loop: Header=BB104_10 Depth=1
	v_min_i32_e32 v2, 15, v2
	v_lshl_or_b32 v2, v2, 3, v10
	v_and_or_b32 v9, v8, 7, v2
                                        ; implicit-def: $vgpr10
; %bb.35:                               ;   in Loop: Header=BB104_10 Depth=1
	s_andn2_saveexec_b64 s[0:1], s[0:1]
; %bb.36:                               ;   in Loop: Header=BB104_10 Depth=1
	v_mov_b32_e32 v9, v10
; %bb.37:                               ;   in Loop: Header=BB104_10 Depth=1
	s_or_b64 exec, exec, s[0:1]
.LBB104_38:                             ;   in Loop: Header=BB104_10 Depth=1
	s_or_b64 exec, exec, s[38:39]
.LBB104_39:                             ;   in Loop: Header=BB104_10 Depth=1
	s_andn2_saveexec_b64 s[0:1], s[36:37]
	s_or_b64 exec, exec, s[0:1]
                                        ; implicit-def: $vgpr8
.LBB104_40:                             ;   in Loop: Header=BB104_10 Depth=1
	s_andn2_saveexec_b64 s[0:1], s[34:35]
	s_cbranch_execz .LBB104_9
; %bb.41:                               ;   in Loop: Header=BB104_10 Depth=1
	v_or_b32_sdwa v8, v8, s58 dst_sel:DWORD dst_unused:UNUSED_PAD src0_sel:BYTE_3 src1_sel:DWORD
	v_cmp_eq_u64_e32 vcc, 0, v[2:3]
	v_cndmask_b32_e32 v9, v8, v9, vcc
	s_branch .LBB104_9
.LBB104_42:
	s_or_b64 exec, exec, s[26:27]
	v_cmp_gt_i32_e32 vcc, s10, v0
	s_and_saveexec_b64 s[0:1], vcc
	s_cbranch_execz .LBB104_61
; %bb.43:
	s_mul_i32 s0, s6, s15
	s_mul_hi_u32 s1, s6, s14
	s_add_i32 s1, s1, s0
	s_mul_i32 s0, s6, s14
	s_lshl_b64 s[0:1], s[0:1], 1
	s_add_u32 s18, s18, s0
	s_addc_u32 s0, s19, s1
	s_ashr_i32 s1, s8, 31
	s_mul_i32 s1, s2, s1
	s_add_i32 s1, s42, s1
	s_add_i32 s1, s1, s43
	s_add_u32 s2, s20, s44
	s_addc_u32 s1, s21, s1
	s_ashr_i32 s6, s9, 31
	s_load_dword s4, s[4:5], 0x8c
	s_mul_i32 s11, s11, s6
	s_waitcnt lgkmcnt(0)
	s_load_dword s20, s[24:25], 0x0
	s_add_i32 s6, s41, s11
	s_add_i32 s6, s6, s3
	s_add_u32 s11, s2, s40
	s_addc_u32 s19, s1, s6
	s_and_b32 s21, s4, 0xffff
	s_mov_b64 s[2:3], 0
	v_mov_b32_e32 v6, s0
	v_mov_b32_e32 v3, 0
	s_movk_i32 s22, 0x80
	s_mov_b64 s[4:5], 0x7f800000
	s_mov_b64 s[6:7], 0x43e00001
	s_movk_i32 s23, 0x7a
	s_mov_b64 s[8:9], 0xffffff
	s_movk_i32 s24, 0x7f
	v_mov_b32_e32 v7, 0xffffff82
	v_mov_b32_e32 v8, 0x78
	s_branch .LBB104_45
.LBB104_44:                             ;   in Loop: Header=BB104_45 Depth=1
	s_or_b64 exec, exec, s[0:1]
	v_mov_b32_e32 v2, s19
	v_add_co_u32_e32 v10, vcc, s11, v0
	v_addc_co_u32_e32 v11, vcc, v2, v1, vcc
	v_add_u32_e32 v0, s21, v0
	v_cmp_le_i32_e32 vcc, s10, v0
	s_or_b64 s[2:3], vcc, s[2:3]
	global_store_byte v[10:11], v5, off
	s_andn2_b64 exec, exec, s[2:3]
	s_cbranch_execz .LBB104_61
.LBB104_45:                             ; =>This Inner Loop Header: Depth=1
	v_ashrrev_i32_e32 v1, 31, v0
	v_lshlrev_b64 v[4:5], 1, v[0:1]
	v_add_co_u32_e32 v4, vcc, s18, v4
	v_addc_co_u32_e32 v5, vcc, v6, v5, vcc
	global_load_ushort v2, v[4:5], off
	v_mov_b32_e32 v11, v3
	s_waitcnt vmcnt(0)
	v_lshlrev_b32_e32 v2, 16, v2
	s_waitcnt lgkmcnt(0)
	v_div_scale_f32 v4, s[0:1], s20, s20, v2
	v_rcp_f32_e32 v5, v4
	v_div_scale_f32 v9, vcc, v2, s20, v2
	v_fma_f32 v10, -v4, v5, 1.0
	v_fmac_f32_e32 v5, v10, v5
	v_mul_f32_e32 v10, v9, v5
	v_fma_f32 v12, -v4, v10, v9
	v_fmac_f32_e32 v10, v12, v5
	v_fma_f32 v4, -v4, v10, v9
	v_div_fmas_f32 v4, v4, v5, v10
	v_div_fixup_f32 v4, v4, s20, v2
	v_and_b32_sdwa v9, v4, s22 dst_sel:DWORD dst_unused:UNUSED_PAD src0_sel:BYTE_3 src1_sel:DWORD
	v_and_b32_e32 v10, 0x7f800000, v4
	v_and_b32_e32 v2, 0x7fffff, v4
	v_or_b32_e32 v5, 0x7e, v9
	v_cmp_ne_u64_e32 vcc, s[4:5], v[10:11]
	s_and_saveexec_b64 s[0:1], vcc
	s_xor_b64 s[12:13], exec, s[0:1]
	s_cbranch_execz .LBB104_59
; %bb.46:                               ;   in Loop: Header=BB104_45 Depth=1
	v_and_b32_e32 v10, 0x7fffffff, v4
	v_mov_b32_e32 v11, v3
	v_cmp_gt_u64_e32 vcc, s[6:7], v[10:11]
	s_and_saveexec_b64 s[0:1], vcc
	s_xor_b64 s[14:15], exec, s[0:1]
	s_cbranch_execz .LBB104_58
; %bb.47:                               ;   in Loop: Header=BB104_45 Depth=1
	v_cmp_ne_u32_e32 vcc, 0, v4
	v_mov_b32_e32 v5, 0
	s_and_saveexec_b64 s[16:17], vcc
	s_cbranch_execz .LBB104_57
; %bb.48:                               ;   in Loop: Header=BB104_45 Depth=1
	v_bfe_u32 v4, v4, 23, 8
	v_sub_u32_e32 v10, 0x79, v4
	v_cmp_gt_u32_e32 vcc, s23, v4
	v_cndmask_b32_e32 v10, 0, v10, vcc
	v_cmp_eq_u32_e32 vcc, 0, v4
	v_cndmask_b32_e32 v10, v10, v8, vcc
	v_add_u32_e32 v5, 0xffffff81, v4
	v_or_b32_e32 v11, 0x800000, v2
	v_add_u32_e32 v4, 20, v10
	v_cndmask_b32_e32 v16, v5, v7, vcc
	v_cndmask_b32_e32 v2, v11, v2, vcc
	v_lshlrev_b64 v[4:5], v4, -1
	v_not_b32_e32 v4, v4
	v_lshrrev_b64 v[14:15], v10, v[2:3]
	v_not_b32_e32 v5, v5
	v_and_b32_e32 v4, v2, v4
	v_add_u32_e32 v11, 19, v10
	v_lshrrev_b32_e32 v2, 23, v14
	v_and_b32_e32 v5, 0, v5
	v_lshlrev_b64 v[12:13], v11, 1
	v_add3_u32 v11, v10, v16, v2
	v_bfe_u32 v2, v14, 20, 1
	v_add_u32_e32 v2, -1, v2
	v_cmp_eq_u64_e32 vcc, v[4:5], v[12:13]
	v_cndmask_b32_e32 v2, 0, v2, vcc
	v_add_u32_e32 v2, v2, v14
	v_and_b32_e32 v2, 0xfffff, v2
	v_add_co_u32_e32 v4, vcc, v2, v14
	v_add_u32_e32 v10, 6, v11
	v_addc_co_u32_e32 v5, vcc, 0, v15, vcc
	v_cmp_ne_u32_e32 vcc, 0, v10
                                        ; implicit-def: $vgpr2
	s_and_saveexec_b64 s[0:1], vcc
	s_xor_b64 s[0:1], exec, s[0:1]
; %bb.49:                               ;   in Loop: Header=BB104_45 Depth=1
	v_add_u32_e32 v2, 7, v11
	v_cmp_lt_u64_e32 vcc, s[8:9], v[4:5]
	v_cndmask_b32_e32 v2, v10, v2, vcc
	v_cndmask_b32_e64 v10, 0, 1, vcc
	v_lshrrev_b64 v[4:5], v10, v[4:5]
; %bb.50:                               ;   in Loop: Header=BB104_45 Depth=1
	s_andn2_saveexec_b64 s[0:1], s[0:1]
; %bb.51:                               ;   in Loop: Header=BB104_45 Depth=1
	v_bfe_u32 v2, v4, 23, 1
; %bb.52:                               ;   in Loop: Header=BB104_45 Depth=1
	s_or_b64 exec, exec, s[0:1]
	v_lshrrev_b64 v[4:5], 20, v[4:5]
	v_cmp_gt_i32_e32 vcc, 16, v2
	v_cndmask_b32_e32 v5, 0, v5, vcc
	v_cndmask_b32_e32 v4, 7, v4, vcc
	v_cmp_ne_u32_e32 vcc, 0, v2
	v_cmp_ne_u64_e64 s[0:1], 0, v[4:5]
	s_or_b64 s[0:1], vcc, s[0:1]
                                        ; implicit-def: $vgpr5
	s_and_saveexec_b64 s[26:27], s[0:1]
	s_xor_b64 s[0:1], exec, s[26:27]
; %bb.53:                               ;   in Loop: Header=BB104_45 Depth=1
	v_min_i32_e32 v2, 15, v2
	v_lshl_or_b32 v2, v2, 3, v9
	v_and_or_b32 v5, v4, 7, v2
                                        ; implicit-def: $vgpr9
; %bb.54:                               ;   in Loop: Header=BB104_45 Depth=1
	s_andn2_saveexec_b64 s[0:1], s[0:1]
; %bb.55:                               ;   in Loop: Header=BB104_45 Depth=1
	v_mov_b32_e32 v5, v9
; %bb.56:                               ;   in Loop: Header=BB104_45 Depth=1
	s_or_b64 exec, exec, s[0:1]
.LBB104_57:                             ;   in Loop: Header=BB104_45 Depth=1
	s_or_b64 exec, exec, s[16:17]
.LBB104_58:                             ;   in Loop: Header=BB104_45 Depth=1
	s_andn2_saveexec_b64 s[0:1], s[14:15]
	s_or_b64 exec, exec, s[0:1]
                                        ; implicit-def: $vgpr4
.LBB104_59:                             ;   in Loop: Header=BB104_45 Depth=1
	s_andn2_saveexec_b64 s[0:1], s[12:13]
	s_cbranch_execz .LBB104_44
; %bb.60:                               ;   in Loop: Header=BB104_45 Depth=1
	v_or_b32_sdwa v4, v4, s24 dst_sel:DWORD dst_unused:UNUSED_PAD src0_sel:BYTE_3 src1_sel:DWORD
	v_cmp_eq_u64_e32 vcc, 0, v[2:3]
	v_cndmask_b32_e32 v5, v4, v5, vcc
	s_branch .LBB104_44
.LBB104_61:
	s_endpgm
.LBB104_62:
                                        ; implicit-def: $sgpr2_sgpr3
	s_branch .LBB104_6
	.section	.rodata,"a",@progbits
	.p2align	6, 0x0
	.amdhsa_kernel _ZN4vllm38concat_and_cache_mla_rope_fused_kernelIN3c108BFloat16ENS1_4HalfELb1E14__hip_bfloat16hLNS_18Fp8KVCacheDataTypeE1EEEvPKlPT_S9_PKS8_PKT0_illlliPT3_S7_iiiiPKf
		.amdhsa_group_segment_fixed_size 0
		.amdhsa_private_segment_fixed_size 0
		.amdhsa_kernarg_size 384
		.amdhsa_user_sgpr_count 6
		.amdhsa_user_sgpr_private_segment_buffer 1
		.amdhsa_user_sgpr_dispatch_ptr 0
		.amdhsa_user_sgpr_queue_ptr 0
		.amdhsa_user_sgpr_kernarg_segment_ptr 1
		.amdhsa_user_sgpr_dispatch_id 0
		.amdhsa_user_sgpr_flat_scratch_init 0
		.amdhsa_user_sgpr_kernarg_preload_length 0
		.amdhsa_user_sgpr_kernarg_preload_offset 0
		.amdhsa_user_sgpr_private_segment_size 0
		.amdhsa_uses_dynamic_stack 0
		.amdhsa_system_sgpr_private_segment_wavefront_offset 0
		.amdhsa_system_sgpr_workgroup_id_x 1
		.amdhsa_system_sgpr_workgroup_id_y 0
		.amdhsa_system_sgpr_workgroup_id_z 0
		.amdhsa_system_sgpr_workgroup_info 0
		.amdhsa_system_vgpr_workitem_id 0
		.amdhsa_next_free_vgpr 25
		.amdhsa_next_free_sgpr 62
		.amdhsa_accum_offset 28
		.amdhsa_reserve_vcc 1
		.amdhsa_reserve_flat_scratch 0
		.amdhsa_float_round_mode_32 0
		.amdhsa_float_round_mode_16_64 0
		.amdhsa_float_denorm_mode_32 3
		.amdhsa_float_denorm_mode_16_64 3
		.amdhsa_dx10_clamp 1
		.amdhsa_ieee_mode 1
		.amdhsa_fp16_overflow 0
		.amdhsa_tg_split 0
		.amdhsa_exception_fp_ieee_invalid_op 0
		.amdhsa_exception_fp_denorm_src 0
		.amdhsa_exception_fp_ieee_div_zero 0
		.amdhsa_exception_fp_ieee_overflow 0
		.amdhsa_exception_fp_ieee_underflow 0
		.amdhsa_exception_fp_ieee_inexact 0
		.amdhsa_exception_int_div_zero 0
	.end_amdhsa_kernel
	.section	.text._ZN4vllm38concat_and_cache_mla_rope_fused_kernelIN3c108BFloat16ENS1_4HalfELb1E14__hip_bfloat16hLNS_18Fp8KVCacheDataTypeE1EEEvPKlPT_S9_PKS8_PKT0_illlliPT3_S7_iiiiPKf,"axG",@progbits,_ZN4vllm38concat_and_cache_mla_rope_fused_kernelIN3c108BFloat16ENS1_4HalfELb1E14__hip_bfloat16hLNS_18Fp8KVCacheDataTypeE1EEEvPKlPT_S9_PKS8_PKT0_illlliPT3_S7_iiiiPKf,comdat
.Lfunc_end104:
	.size	_ZN4vllm38concat_and_cache_mla_rope_fused_kernelIN3c108BFloat16ENS1_4HalfELb1E14__hip_bfloat16hLNS_18Fp8KVCacheDataTypeE1EEEvPKlPT_S9_PKS8_PKT0_illlliPT3_S7_iiiiPKf, .Lfunc_end104-_ZN4vllm38concat_and_cache_mla_rope_fused_kernelIN3c108BFloat16ENS1_4HalfELb1E14__hip_bfloat16hLNS_18Fp8KVCacheDataTypeE1EEEvPKlPT_S9_PKS8_PKT0_illlliPT3_S7_iiiiPKf
                                        ; -- End function
	.section	.AMDGPU.csdata,"",@progbits
; Kernel info:
; codeLenInByte = 4268
; NumSgprs: 66
; NumVgprs: 25
; NumAgprs: 0
; TotalNumVgprs: 25
; ScratchSize: 0
; MemoryBound: 0
; FloatMode: 240
; IeeeMode: 1
; LDSByteSize: 0 bytes/workgroup (compile time only)
; SGPRBlocks: 8
; VGPRBlocks: 3
; NumSGPRsForWavesPerEU: 66
; NumVGPRsForWavesPerEU: 25
; AccumOffset: 28
; Occupancy: 8
; WaveLimiterHint : 1
; COMPUTE_PGM_RSRC2:SCRATCH_EN: 0
; COMPUTE_PGM_RSRC2:USER_SGPR: 6
; COMPUTE_PGM_RSRC2:TRAP_HANDLER: 0
; COMPUTE_PGM_RSRC2:TGID_X_EN: 1
; COMPUTE_PGM_RSRC2:TGID_Y_EN: 0
; COMPUTE_PGM_RSRC2:TGID_Z_EN: 0
; COMPUTE_PGM_RSRC2:TIDIG_COMP_CNT: 0
; COMPUTE_PGM_RSRC3_GFX90A:ACCUM_OFFSET: 6
; COMPUTE_PGM_RSRC3_GFX90A:TG_SPLIT: 0
	.section	.text._ZN4vllm38concat_and_cache_mla_rope_fused_kernelIN3c108BFloat16ENS1_4HalfELb0E14__hip_bfloat16hLNS_18Fp8KVCacheDataTypeE1EEEvPKlPT_S9_PKS8_PKT0_illlliPT3_S7_iiiiPKf,"axG",@progbits,_ZN4vllm38concat_and_cache_mla_rope_fused_kernelIN3c108BFloat16ENS1_4HalfELb0E14__hip_bfloat16hLNS_18Fp8KVCacheDataTypeE1EEEvPKlPT_S9_PKS8_PKT0_illlliPT3_S7_iiiiPKf,comdat
	.protected	_ZN4vllm38concat_and_cache_mla_rope_fused_kernelIN3c108BFloat16ENS1_4HalfELb0E14__hip_bfloat16hLNS_18Fp8KVCacheDataTypeE1EEEvPKlPT_S9_PKS8_PKT0_illlliPT3_S7_iiiiPKf ; -- Begin function _ZN4vllm38concat_and_cache_mla_rope_fused_kernelIN3c108BFloat16ENS1_4HalfELb0E14__hip_bfloat16hLNS_18Fp8KVCacheDataTypeE1EEEvPKlPT_S9_PKS8_PKT0_illlliPT3_S7_iiiiPKf
	.globl	_ZN4vllm38concat_and_cache_mla_rope_fused_kernelIN3c108BFloat16ENS1_4HalfELb0E14__hip_bfloat16hLNS_18Fp8KVCacheDataTypeE1EEEvPKlPT_S9_PKS8_PKT0_illlliPT3_S7_iiiiPKf
	.p2align	8
	.type	_ZN4vllm38concat_and_cache_mla_rope_fused_kernelIN3c108BFloat16ENS1_4HalfELb0E14__hip_bfloat16hLNS_18Fp8KVCacheDataTypeE1EEEvPKlPT_S9_PKS8_PKT0_illlliPT3_S7_iiiiPKf,@function
_ZN4vllm38concat_and_cache_mla_rope_fused_kernelIN3c108BFloat16ENS1_4HalfELb0E14__hip_bfloat16hLNS_18Fp8KVCacheDataTypeE1EEEvPKlPT_S9_PKS8_PKT0_illlliPT3_S7_iiiiPKf: ; @_ZN4vllm38concat_and_cache_mla_rope_fused_kernelIN3c108BFloat16ENS1_4HalfELb0E14__hip_bfloat16hLNS_18Fp8KVCacheDataTypeE1EEEvPKlPT_S9_PKS8_PKT0_illlliPT3_S7_iiiiPKf
; %bb.0:
	s_load_dwordx2 s[2:3], s[4:5], 0x60
	s_mov_b32 s7, 0
	s_lshl_b64 s[0:1], s[6:7], 3
	s_waitcnt lgkmcnt(0)
	s_add_u32 s2, s2, s0
	s_addc_u32 s3, s3, s1
	s_load_dwordx2 s[26:27], s[2:3], 0x0
	s_waitcnt lgkmcnt(0)
	v_cmp_lt_i64_e64 s[2:3], s[26:27], 0
	s_and_b64 vcc, exec, s[2:3]
	s_cbranch_vccnz .LBB105_61
; %bb.1:
	s_load_dword s7, s[4:5], 0x28
	s_load_dwordx2 s[2:3], s[4:5], 0x0
	s_load_dwordx4 s[16:19], s[4:5], 0x10
	v_lshlrev_b32_e32 v5, 1, v0
	s_waitcnt lgkmcnt(0)
	s_ashr_i32 s22, s7, 31
	s_add_u32 s0, s2, s0
	s_addc_u32 s1, s3, s1
	s_load_dwordx2 s[20:21], s[0:1], 0x0
	s_load_dwordx2 s[28:29], s[4:5], 0x20
	s_load_dwordx8 s[8:15], s[4:5], 0x30
	s_load_dwordx2 s[2:3], s[4:5], 0x58
	s_load_dword s23, s[4:5], 0x50
	s_waitcnt lgkmcnt(0)
	s_mul_i32 s0, s20, s22
	s_mul_hi_u32 s1, s20, s7
	s_mul_i32 s21, s21, s7
	s_add_i32 s0, s1, s0
	s_add_i32 s31, s0, s21
	s_lshr_b32 s0, s7, 31
	s_mul_i32 s30, s20, s7
	s_add_i32 s7, s7, s0
	s_ashr_i32 s20, s7, 1
	s_mul_i32 s7, s20, s23
	v_cmp_gt_i32_e32 vcc, s7, v0
	s_and_saveexec_b64 s[22:23], vcc
	s_cbranch_execz .LBB105_4
; %bb.2:
	s_lshl_b64 s[0:1], s[30:31], 1
	s_add_u32 s33, s28, s0
	s_addc_u32 s24, s29, s1
	s_load_dwordx2 s[0:1], s[4:5], 0x8
	s_mul_i32 s9, s6, s9
	s_mul_hi_u32 s25, s6, s8
	s_add_i32 s9, s25, s9
	s_load_dword s25, s[4:5], 0x8c
	s_mul_i32 s8, s6, s8
	s_ashr_i32 s21, s20, 31
	s_lshl_b64 s[8:9], s[8:9], 1
	s_waitcnt lgkmcnt(0)
	s_add_u32 s34, s0, s8
	s_addc_u32 s0, s1, s9
	s_abs_i32 s35, s20
	v_cvt_f32_u32_e32 v1, s35
	s_sub_i32 s1, 0, s35
	s_and_b32 s36, s25, 0xffff
	v_mov_b32_e32 v3, s24
	v_rcp_iflag_f32_e32 v1, v1
	s_lshl_b64 s[24:25], s[20:21], 1
	s_sub_i32 s37, 0, s20
	s_lshl_b32 s39, s36, 1
	v_mul_f32_e32 v1, 0x4f7ffffe, v1
	v_cvt_u32_f32_e32 v1, v1
	s_mov_b64 s[8:9], 0
	s_movk_i32 s40, 0x7fff
	v_mov_b32_e32 v6, s25
	v_mul_lo_u32 v2, s1, v1
	v_mul_hi_u32 v2, v1, v2
	s_lshl_b32 s1, s20, 1
	v_add_u32_e32 v1, v1, v2
	s_sub_i32 s38, 0, s1
	v_mov_b32_e32 v7, s0
	v_mov_b32_e32 v8, 0x7fc00000
	;; [unrolled: 1-line block ×3, first 2 shown]
	s_mov_b32 s25, 0x5040100
	v_mov_b32_e32 v2, v5
	v_mov_b32_e32 v4, v0
.LBB105_3:                              ; =>This Inner Loop Header: Depth=1
	v_sub_u32_e32 v11, 0, v4
	v_max_i32_e32 v11, v4, v11
	v_mul_hi_u32 v12, v11, v1
	v_mul_lo_u32 v13, v12, s35
	v_sub_u32_e32 v11, v11, v13
	v_add_u32_e32 v14, 1, v12
	v_cmp_le_u32_e32 vcc, s35, v11
	v_subrev_u32_e32 v13, s35, v11
	v_cndmask_b32_e32 v12, v12, v14, vcc
	v_cndmask_b32_e32 v11, v11, v13, vcc
	v_ashrrev_i32_e32 v10, 31, v4
	v_add_u32_e32 v13, 1, v12
	v_cmp_le_u32_e32 vcc, s35, v11
	v_xor_b32_e32 v10, s21, v10
	v_cndmask_b32_e32 v11, v12, v13, vcc
	v_xor_b32_e32 v11, v11, v10
	v_sub_u32_e32 v14, v11, v10
	v_mad_u64_u32 v[10:11], s[0:1], s37, v14, v[4:5]
	v_ashrrev_i32_e32 v11, 31, v10
	v_lshlrev_b64 v[10:11], 1, v[10:11]
	v_ashrrev_i32_e32 v16, 31, v14
	v_add_co_u32_e32 v10, vcc, s33, v10
	v_mul_lo_u32 v17, v14, s11
	v_mad_u64_u32 v[12:13], s[0:1], v14, s10, 0
	v_mul_lo_u32 v16, v16, s10
	v_addc_co_u32_e32 v11, vcc, v3, v11, vcc
	v_add3_u32 v13, v13, v17, v16
	v_add_co_u32_e32 v16, vcc, s24, v10
	v_addc_co_u32_e32 v17, vcc, v11, v6, vcc
	global_load_ushort v18, v[10:11], off
	global_load_ushort v19, v[16:17], off
	v_mad_u64_u32 v[14:15], s[0:1], s38, v14, v[2:3]
	v_lshlrev_b64 v[12:13], 1, v[12:13]
	v_ashrrev_i32_e32 v15, 31, v14
	v_add_co_u32_e32 v12, vcc, s34, v12
	v_lshlrev_b64 v[14:15], 1, v[14:15]
	v_addc_co_u32_e32 v13, vcc, v7, v13, vcc
	v_add_co_u32_e32 v10, vcc, v12, v14
	v_addc_co_u32_e32 v11, vcc, v13, v15, vcc
	global_load_dword v12, v[10:11], off
	v_add_u32_e32 v4, s36, v4
	v_cmp_le_i32_e32 vcc, s7, v4
	s_or_b64 s[8:9], vcc, s[8:9]
	v_add_u32_e32 v2, s39, v2
	s_waitcnt vmcnt(2)
	v_cvt_f32_f16_e32 v14, v18
	s_waitcnt vmcnt(1)
	v_cvt_f32_f16_e32 v15, v19
	v_cmp_o_f16_e32 vcc, v18, v18
	v_bfe_u32 v16, v14, 16, 1
	v_add3_u32 v14, v14, v16, s40
	v_bfe_u32 v16, v15, 16, 1
	v_and_b32_e32 v14, 0xffff0000, v14
	v_add3_u32 v15, v15, v16, s40
	v_and_b32_e32 v15, 0xffff0000, v15
	v_cndmask_b32_e32 v14, v8, v14, vcc
	v_cmp_o_f16_e32 vcc, v19, v19
	v_cndmask_b32_e32 v16, v8, v15, vcc
	s_waitcnt vmcnt(0)
	v_and_b32_e32 v13, 0xffff0000, v12
	v_lshlrev_b32_e32 v12, 16, v12
	v_pk_mul_f32 v[14:15], v[14:15], v[12:13] op_sel_hi:[0,1]
	v_bfe_u32 v17, v14, 16, 1
	v_bfe_u32 v18, v15, 16, 1
	v_pk_mul_f32 v[12:13], v[16:17], v[12:13] op_sel_hi:[0,1]
	v_add3_u32 v16, v15, v18, s40
	v_add3_u32 v17, v14, v17, s40
	v_bfe_u32 v18, v13, 16, 1
	v_bfe_u32 v19, v12, 16, 1
	v_and_b32_e32 v17, 0xffff0000, v17
	v_and_b32_e32 v16, 0xffff0000, v16
	v_add3_u32 v19, v12, v19, s40
	v_add3_u32 v18, v13, v18, s40
	v_cmp_o_f32_e32 vcc, v14, v14
	v_cmp_o_f32_e64 s[0:1], v15, v15
	v_and_b32_e32 v18, 0xffff0000, v18
	v_and_b32_e32 v19, 0xffff0000, v19
	v_cndmask_b32_e64 v15, v8, v16, s[0:1]
	v_cndmask_b32_e32 v14, v8, v17, vcc
	v_cmp_o_f32_e32 vcc, v13, v13
	v_cmp_o_f32_e64 s[0:1], v12, v12
	v_cndmask_b32_e64 v13, v8, v19, s[0:1]
	v_cndmask_b32_e32 v12, v8, v18, vcc
	v_pk_add_f32 v[16:17], v[14:15], v[12:13] neg_lo:[0,1] neg_hi:[0,1]
	v_pk_add_f32 v[12:13], v[14:15], v[12:13]
	v_bfe_u32 v12, v16, 16, 1
	v_bfe_u32 v14, v13, 16, 1
	v_add3_u32 v14, v13, v14, s40
	v_add3_u32 v12, v16, v12, s40
	v_lshrrev_b32_e32 v12, 16, v12
	v_lshrrev_b32_e32 v14, 16, v14
	v_cmp_o_f32_e32 vcc, v13, v13
	v_cmp_o_f32_e64 s[0:1], v16, v16
	v_cndmask_b32_e64 v12, v9, v12, s[0:1]
	v_cndmask_b32_e32 v13, v9, v14, vcc
	v_perm_b32 v12, v13, v12, s25
	global_store_dword v[10:11], v12, off
	s_andn2_b64 exec, exec, s[8:9]
	s_cbranch_execnz .LBB105_3
.LBB105_4:
	s_or_b64 exec, exec, s[22:23]
	s_load_dwordx4 s[8:11], s[4:5], 0x68
	s_waitcnt lgkmcnt(0)
	s_ashr_i32 s35, s11, 31
	s_mov_b32 s34, s11
	s_or_b64 s[0:1], s[26:27], s[34:35]
	s_mov_b32 s0, 0
	s_cmp_lg_u64 s[0:1], 0
	s_cbranch_scc0 .LBB105_62
; %bb.5:
	s_add_u32 s0, s34, s35
	s_mov_b32 s22, s35
	s_mov_b32 s23, s35
	s_addc_u32 s1, s35, s35
	s_xor_b64 s[36:37], s[0:1], s[22:23]
	v_cvt_f32_u32_e32 v1, s36
	v_cvt_f32_u32_e32 v2, s37
	s_sub_u32 s0, 0, s36
	s_subb_u32 s1, 0, s37
	v_madmk_f32 v1, v2, 0x4f800000, v1
	v_rcp_f32_e32 v1, v1
	v_mul_f32_e32 v1, 0x5f7ffffc, v1
	v_mul_f32_e32 v2, 0x2f800000, v1
	v_trunc_f32_e32 v2, v2
	v_madmk_f32 v1, v2, 0xcf800000, v1
	v_cvt_u32_f32_e32 v2, v2
	v_cvt_u32_f32_e32 v1, v1
	v_readfirstlane_b32 s7, v2
	v_readfirstlane_b32 s11, v1
	s_mul_i32 s21, s0, s7
	s_mul_hi_u32 s38, s0, s11
	s_mul_i32 s33, s1, s11
	s_add_i32 s21, s38, s21
	s_add_i32 s21, s21, s33
	s_mul_i32 s39, s0, s11
	s_mul_hi_u32 s33, s11, s21
	s_mul_i32 s38, s11, s21
	s_mul_hi_u32 s11, s11, s39
	s_add_u32 s11, s11, s38
	s_addc_u32 s33, 0, s33
	s_mul_hi_u32 s40, s7, s39
	s_mul_i32 s39, s7, s39
	s_add_u32 s11, s11, s39
	s_mul_hi_u32 s38, s7, s21
	s_addc_u32 s11, s33, s40
	s_addc_u32 s33, s38, 0
	s_mul_i32 s21, s7, s21
	s_add_u32 s11, s11, s21
	s_addc_u32 s21, 0, s33
	v_add_co_u32_e32 v1, vcc, s11, v1
	s_cmp_lg_u64 vcc, 0
	s_addc_u32 s7, s7, s21
	v_readfirstlane_b32 s21, v1
	s_mul_i32 s11, s0, s7
	s_mul_hi_u32 s33, s0, s21
	s_add_i32 s11, s33, s11
	s_mul_i32 s1, s1, s21
	s_add_i32 s11, s11, s1
	s_mul_i32 s0, s0, s21
	s_mul_hi_u32 s33, s7, s0
	s_mul_i32 s38, s7, s0
	s_mul_i32 s40, s21, s11
	s_mul_hi_u32 s0, s21, s0
	s_mul_hi_u32 s39, s21, s11
	s_add_u32 s0, s0, s40
	s_addc_u32 s21, 0, s39
	s_add_u32 s0, s0, s38
	s_mul_hi_u32 s1, s7, s11
	s_addc_u32 s0, s21, s33
	s_addc_u32 s1, s1, 0
	s_mul_i32 s11, s7, s11
	s_add_u32 s0, s0, s11
	s_addc_u32 s1, 0, s1
	v_add_co_u32_e32 v1, vcc, s0, v1
	s_cmp_lg_u64 vcc, 0
	s_addc_u32 s7, s7, s1
	s_ashr_i32 s38, s27, 31
	s_add_u32 s0, s26, s38
	s_mov_b32 s39, s38
	s_addc_u32 s1, s27, s38
	s_xor_b64 s[40:41], s[0:1], s[38:39]
	v_readfirstlane_b32 s11, v1
	s_mul_i32 s1, s40, s7
	s_mul_hi_u32 s21, s40, s11
	s_mul_hi_u32 s0, s40, s7
	s_add_u32 s1, s21, s1
	s_addc_u32 s0, 0, s0
	s_mul_hi_u32 s33, s41, s11
	s_mul_i32 s11, s41, s11
	s_add_u32 s1, s1, s11
	s_mul_hi_u32 s21, s41, s7
	s_addc_u32 s0, s0, s33
	s_addc_u32 s1, s21, 0
	s_mul_i32 s7, s41, s7
	s_add_u32 s7, s0, s7
	s_addc_u32 s11, 0, s1
	s_mul_i32 s0, s36, s11
	s_mul_hi_u32 s1, s36, s7
	s_add_i32 s0, s1, s0
	s_mul_i32 s1, s37, s7
	s_add_i32 s21, s0, s1
	s_mul_i32 s1, s36, s7
	v_mov_b32_e32 v1, s1
	s_sub_i32 s0, s41, s21
	v_sub_co_u32_e32 v1, vcc, s40, v1
	s_cmp_lg_u64 vcc, 0
	s_subb_u32 s33, s0, s37
	v_subrev_co_u32_e64 v2, s[0:1], s36, v1
	s_cmp_lg_u64 s[0:1], 0
	s_subb_u32 s0, s33, 0
	s_cmp_ge_u32 s0, s37
	v_readfirstlane_b32 s33, v2
	s_cselect_b32 s1, -1, 0
	s_cmp_ge_u32 s33, s36
	s_cselect_b32 s33, -1, 0
	s_cmp_eq_u32 s0, s37
	s_cselect_b32 s0, s33, s1
	s_add_u32 s1, s7, 1
	s_addc_u32 s33, s11, 0
	s_add_u32 s40, s7, 2
	s_addc_u32 s42, s11, 0
	s_cmp_lg_u32 s0, 0
	s_cselect_b32 s0, s40, s1
	s_cselect_b32 s1, s42, s33
	s_cmp_lg_u64 vcc, 0
	s_subb_u32 s21, s41, s21
	s_cmp_ge_u32 s21, s37
	v_readfirstlane_b32 s40, v1
	s_cselect_b32 s33, -1, 0
	s_cmp_ge_u32 s40, s36
	s_cselect_b32 s36, -1, 0
	s_cmp_eq_u32 s21, s37
	s_cselect_b32 s21, s36, s33
	s_cmp_lg_u32 s21, 0
	s_cselect_b32 s1, s1, s11
	s_cselect_b32 s0, s0, s7
	s_xor_b64 s[22:23], s[38:39], s[22:23]
	s_xor_b64 s[0:1], s[0:1], s[22:23]
	s_sub_u32 s22, s0, s22
	s_subb_u32 s23, s1, s23
	s_cbranch_execnz .LBB105_7
.LBB105_6:
	v_cvt_f32_u32_e32 v1, s34
	s_sub_i32 s0, 0, s34
	s_mov_b32 s23, 0
	v_rcp_iflag_f32_e32 v1, v1
	v_mul_f32_e32 v1, 0x4f7ffffe, v1
	v_cvt_u32_f32_e32 v1, v1
	v_readfirstlane_b32 s1, v1
	s_mul_i32 s0, s0, s1
	s_mul_hi_u32 s0, s1, s0
	s_add_i32 s1, s1, s0
	s_mul_hi_u32 s0, s26, s1
	s_mul_i32 s7, s0, s34
	s_sub_i32 s7, s26, s7
	s_add_i32 s1, s0, 1
	s_sub_i32 s11, s7, s34
	s_cmp_ge_u32 s7, s34
	s_cselect_b32 s0, s1, s0
	s_cselect_b32 s7, s11, s7
	s_add_i32 s1, s0, 1
	s_cmp_ge_u32 s7, s34
	s_cselect_b32 s22, s1, s0
.LBB105_7:
	s_mul_i32 s0, s22, s35
	s_mul_hi_u32 s1, s22, s34
	s_load_dwordx2 s[24:25], s[4:5], 0x78
	s_add_i32 s0, s1, s0
	s_mul_i32 s1, s23, s34
	s_add_i32 s0, s0, s1
	s_mul_i32 s1, s22, s34
	s_sub_u32 s7, s26, s1
	s_subb_u32 s11, s27, s0
	v_cmp_gt_i32_e32 vcc, s20, v0
	s_mul_hi_u32 s42, s22, s8
	s_mul_i32 s43, s23, s8
	s_mul_i32 s44, s22, s8
	s_mul_hi_u32 s33, s7, s9
	s_mul_i32 s11, s11, s9
	s_mul_i32 s23, s7, s9
	s_and_saveexec_b64 s[26:27], vcc
	s_cbranch_execz .LBB105_42
; %bb.8:
	s_ashr_i32 s0, s8, 31
	s_mul_i32 s0, s22, s0
	s_load_dword s1, s[4:5], 0x8c
	s_add_i32 s0, s42, s0
	s_add_i32 s34, s0, s43
	s_ashr_i32 s0, s9, 31
	s_mul_i32 s0, s7, s0
	s_add_i32 s0, s33, s0
	s_ashr_i32 s21, s20, 31
	s_add_i32 s35, s0, s11
	s_ashr_i32 s36, s10, 31
	s_waitcnt lgkmcnt(0)
	s_and_b32 s46, s1, 0xffff
	s_lshl_b64 s[0:1], s[30:31], 1
	s_add_u32 s0, s28, s0
	s_addc_u32 s1, s29, s1
	v_mov_b32_e32 v2, s1
	v_add_co_u32_e32 v1, vcc, s0, v5
	v_addc_co_u32_e32 v10, vcc, 0, v2, vcc
	s_lshl_b64 s[0:1], s[20:21], 1
	v_mov_b32_e32 v2, s1
	v_add_co_u32_e32 v11, vcc, s0, v1
	s_mul_i32 s0, s13, s6
	s_mul_hi_u32 s1, s12, s6
	s_add_i32 s1, s1, s0
	s_mul_i32 s0, s12, s6
	s_lshl_b32 s48, s46, 1
	s_lshl_b64 s[0:1], s[0:1], 1
	s_add_u32 s0, s16, s0
	v_addc_co_u32_e32 v12, vcc, v10, v2, vcc
	v_lshlrev_b32_e32 v2, 2, v0
	s_addc_u32 s1, s17, s1
	s_lshl_b32 s21, s46, 2
	v_add_co_u32_e32 v2, vcc, s0, v2
	s_add_u32 s0, s44, s23
	v_mov_b32_e32 v3, s1
	s_addc_u32 s1, s34, s35
	s_add_u32 s12, s2, s10
	s_load_dword s45, s[24:25], 0x0
	s_addc_u32 s13, s3, s36
	s_add_u32 s0, s12, s0
	v_addc_co_u32_e32 v3, vcc, 0, v3, vcc
	s_addc_u32 s1, s13, s1
	v_mov_b32_e32 v4, s1
	v_add_co_u32_e32 v13, vcc, s0, v5
	s_mov_b32 s47, 0
	v_addc_co_u32_e32 v14, vcc, 0, v4, vcc
	s_mov_b64 s[12:13], 0
	s_movk_i32 s49, 0x7fff
	v_mov_b32_e32 v15, 0x7fc00000
	v_mov_b32_e32 v16, 0x7fc0
	s_mov_b32 s50, 0x5040100
	v_mov_b32_e32 v5, 0
	s_movk_i32 s51, 0x80
	s_mov_b64 s[16:17], 0x7f800000
	s_mov_b64 s[28:29], 0x43e00001
	s_movk_i32 s52, 0x7a
	s_mov_b64 s[30:31], 0xffffff
	s_movk_i32 s53, 0x7f
	v_mov_b32_e32 v17, 0xffffff82
	v_mov_b32_e32 v18, 0x78
	s_mov_b64 s[34:35], 0
	v_mov_b32_e32 v19, v0
	s_branch .LBB105_10
.LBB105_9:                              ;   in Loop: Header=BB105_10 Depth=1
	s_or_b64 exec, exec, s[0:1]
	v_add_u32_e32 v19, s46, v19
	s_add_u32 s34, s34, s48
	s_addc_u32 s35, s35, 0
	v_cmp_le_i32_e32 vcc, s20, v19
	v_mov_b32_e32 v4, s47
	s_or_b64 s[12:13], vcc, s[12:13]
	v_add_co_u32_e32 v2, vcc, s21, v2
	v_addc_co_u32_e32 v3, vcc, v3, v4, vcc
	global_store_byte v[6:7], v9, off offset:1
	s_andn2_b64 exec, exec, s[12:13]
	s_cbranch_execz .LBB105_42
.LBB105_10:                             ; =>This Inner Loop Header: Depth=1
	v_mov_b32_e32 v4, s35
	v_add_co_u32_e32 v6, vcc, s34, v1
	v_addc_co_u32_e32 v7, vcc, v10, v4, vcc
	v_add_co_u32_e32 v8, vcc, s34, v11
	v_addc_co_u32_e32 v9, vcc, v12, v4, vcc
	global_load_ushort v4, v[6:7], off
	global_load_ushort v20, v[8:9], off
	global_load_dword v21, v[2:3], off
	v_mov_b32_e32 v23, v5
	s_waitcnt vmcnt(2)
	v_cvt_f32_f16_e32 v8, v4
	s_waitcnt vmcnt(1)
	v_cvt_f32_f16_e32 v9, v20
	s_waitcnt vmcnt(0)
	v_and_b32_e32 v7, 0xffff0000, v21
	v_lshlrev_b32_e32 v6, 16, v21
	v_bfe_u32 v21, v8, 16, 1
	v_bfe_u32 v22, v9, 16, 1
	v_add3_u32 v8, v8, v21, s49
	v_add3_u32 v9, v9, v22, s49
	v_and_b32_e32 v8, 0xffff0000, v8
	v_cmp_o_f16_e32 vcc, v4, v4
	v_and_b32_e32 v9, 0xffff0000, v9
	v_cndmask_b32_e32 v4, v15, v8, vcc
	v_cmp_o_f16_e32 vcc, v20, v20
	v_cndmask_b32_e32 v8, v15, v9, vcc
	v_pk_mul_f32 v[20:21], v[4:5], v[6:7] op_sel_hi:[0,1]
	v_pk_mul_f32 v[6:7], v[8:9], v[6:7] op_sel_hi:[0,1]
	v_bfe_u32 v8, v21, 16, 1
	v_bfe_u32 v4, v20, 16, 1
	;; [unrolled: 1-line block ×3, first 2 shown]
	v_add3_u32 v8, v21, v8, s49
	v_bfe_u32 v22, v6, 16, 1
	v_add3_u32 v4, v20, v4, s49
	v_add3_u32 v9, v7, v9, s49
	v_and_b32_e32 v8, 0xffff0000, v8
	v_cmp_o_f32_e32 vcc, v21, v21
	v_add3_u32 v22, v6, v22, s49
	v_and_b32_e32 v4, 0xffff0000, v4
	v_and_b32_e32 v24, 0xffff0000, v9
	v_cndmask_b32_e32 v9, v15, v8, vcc
	v_cmp_o_f32_e32 vcc, v20, v20
	v_and_b32_e32 v22, 0xffff0000, v22
	v_cndmask_b32_e32 v8, v15, v4, vcc
	v_cmp_o_f32_e32 vcc, v6, v6
	v_cndmask_b32_e32 v21, v15, v22, vcc
	v_cmp_o_f32_e32 vcc, v7, v7
	v_cndmask_b32_e32 v20, v15, v24, vcc
	v_pk_add_f32 v[6:7], v[8:9], v[20:21] neg_lo:[0,1] neg_hi:[0,1]
	v_pk_add_f32 v[8:9], v[8:9], v[20:21]
	v_bfe_u32 v4, v6, 16, 1
	v_bfe_u32 v7, v9, 16, 1
	v_add3_u32 v4, v6, v4, s49
	v_add3_u32 v7, v9, v7, s49
	v_lshrrev_b32_e32 v4, 16, v4
	v_cmp_o_f32_e32 vcc, v6, v6
	v_lshrrev_b32_e32 v7, 16, v7
	v_cndmask_b32_e32 v4, v16, v4, vcc
	v_cmp_o_f32_e32 vcc, v9, v9
	v_cndmask_b32_e32 v6, v16, v7, vcc
	v_perm_b32 v8, v6, v4, s50
	v_lshlrev_b32_e32 v4, 16, v4
	s_waitcnt lgkmcnt(0)
	v_div_scale_f32 v6, s[0:1], s45, s45, v4
	v_rcp_f32_e32 v7, v6
	v_div_scale_f32 v9, vcc, v4, s45, v4
	global_store_dword v[2:3], v8, off
	v_fma_f32 v20, -v6, v7, 1.0
	v_fmac_f32_e32 v7, v20, v7
	v_mul_f32_e32 v20, v9, v7
	v_fma_f32 v21, -v6, v20, v9
	v_fmac_f32_e32 v20, v21, v7
	v_fma_f32 v6, -v6, v20, v9
	v_div_fmas_f32 v6, v6, v7, v20
	v_div_fixup_f32 v6, v6, s45, v4
	v_and_b32_sdwa v9, v6, s51 dst_sel:DWORD dst_unused:UNUSED_PAD src0_sel:BYTE_3 src1_sel:DWORD
	v_and_b32_e32 v22, 0x7f800000, v6
	v_and_b32_e32 v4, 0x7fffff, v6
	v_or_b32_e32 v20, 0x7e, v9
	v_cmp_ne_u64_e32 vcc, s[16:17], v[22:23]
	s_and_saveexec_b64 s[0:1], vcc
	s_xor_b64 s[36:37], exec, s[0:1]
	s_cbranch_execz .LBB105_24
; %bb.11:                               ;   in Loop: Header=BB105_10 Depth=1
	v_and_b32_e32 v22, 0x7fffffff, v6
	v_mov_b32_e32 v23, v5
	v_cmp_gt_u64_e32 vcc, s[28:29], v[22:23]
	s_and_saveexec_b64 s[0:1], vcc
	s_xor_b64 s[38:39], exec, s[0:1]
	s_cbranch_execz .LBB105_23
; %bb.12:                               ;   in Loop: Header=BB105_10 Depth=1
	v_cmp_ne_u32_e32 vcc, 0, v6
	v_mov_b32_e32 v20, 0
	s_and_saveexec_b64 s[40:41], vcc
	s_cbranch_execz .LBB105_22
; %bb.13:                               ;   in Loop: Header=BB105_10 Depth=1
	v_bfe_u32 v6, v6, 23, 8
	v_sub_u32_e32 v20, 0x79, v6
	v_cmp_gt_u32_e32 vcc, s52, v6
	v_cndmask_b32_e32 v20, 0, v20, vcc
	v_cmp_eq_u32_e32 vcc, 0, v6
	v_cndmask_b32_e32 v20, v20, v18, vcc
	v_add_u32_e32 v7, 0xffffff81, v6
	v_or_b32_e32 v21, 0x800000, v4
	v_add_u32_e32 v6, 20, v20
	v_cndmask_b32_e32 v26, v7, v17, vcc
	v_cndmask_b32_e32 v4, v21, v4, vcc
	v_lshlrev_b64 v[6:7], v6, -1
	v_not_b32_e32 v6, v6
	v_lshrrev_b64 v[24:25], v20, v[4:5]
	v_not_b32_e32 v7, v7
	v_and_b32_e32 v6, v4, v6
	v_add_u32_e32 v21, 19, v20
	v_lshrrev_b32_e32 v4, 23, v24
	v_and_b32_e32 v7, 0, v7
	v_lshlrev_b64 v[22:23], v21, 1
	v_add3_u32 v21, v20, v26, v4
	v_bfe_u32 v4, v24, 20, 1
	v_add_u32_e32 v4, -1, v4
	v_cmp_eq_u64_e32 vcc, v[6:7], v[22:23]
	v_cndmask_b32_e32 v4, 0, v4, vcc
	v_add_u32_e32 v4, v4, v24
	v_and_b32_e32 v4, 0xfffff, v4
	v_add_co_u32_e32 v6, vcc, v4, v24
	v_add_u32_e32 v20, 6, v21
	v_addc_co_u32_e32 v7, vcc, 0, v25, vcc
	v_cmp_ne_u32_e32 vcc, 0, v20
                                        ; implicit-def: $vgpr4
	s_and_saveexec_b64 s[0:1], vcc
	s_xor_b64 s[0:1], exec, s[0:1]
; %bb.14:                               ;   in Loop: Header=BB105_10 Depth=1
	v_add_u32_e32 v4, 7, v21
	v_cmp_lt_u64_e32 vcc, s[30:31], v[6:7]
	v_cndmask_b32_e32 v4, v20, v4, vcc
	v_cndmask_b32_e64 v20, 0, 1, vcc
	v_lshrrev_b64 v[6:7], v20, v[6:7]
; %bb.15:                               ;   in Loop: Header=BB105_10 Depth=1
	s_andn2_saveexec_b64 s[0:1], s[0:1]
; %bb.16:                               ;   in Loop: Header=BB105_10 Depth=1
	v_bfe_u32 v4, v6, 23, 1
; %bb.17:                               ;   in Loop: Header=BB105_10 Depth=1
	s_or_b64 exec, exec, s[0:1]
	v_lshrrev_b64 v[6:7], 20, v[6:7]
	v_cmp_gt_i32_e32 vcc, 16, v4
	v_cndmask_b32_e32 v7, 0, v7, vcc
	v_cndmask_b32_e32 v6, 7, v6, vcc
	v_cmp_ne_u32_e32 vcc, 0, v4
	v_cmp_ne_u64_e64 s[0:1], 0, v[6:7]
	s_or_b64 s[0:1], vcc, s[0:1]
                                        ; implicit-def: $vgpr20
	s_and_saveexec_b64 s[54:55], s[0:1]
	s_xor_b64 s[0:1], exec, s[54:55]
; %bb.18:                               ;   in Loop: Header=BB105_10 Depth=1
	v_min_i32_e32 v4, 15, v4
	v_lshl_or_b32 v4, v4, 3, v9
	v_and_or_b32 v20, v6, 7, v4
                                        ; implicit-def: $vgpr9
; %bb.19:                               ;   in Loop: Header=BB105_10 Depth=1
	s_andn2_saveexec_b64 s[0:1], s[0:1]
; %bb.20:                               ;   in Loop: Header=BB105_10 Depth=1
	v_mov_b32_e32 v20, v9
; %bb.21:                               ;   in Loop: Header=BB105_10 Depth=1
	s_or_b64 exec, exec, s[0:1]
.LBB105_22:                             ;   in Loop: Header=BB105_10 Depth=1
	s_or_b64 exec, exec, s[40:41]
.LBB105_23:                             ;   in Loop: Header=BB105_10 Depth=1
	s_andn2_saveexec_b64 s[0:1], s[38:39]
	s_or_b64 exec, exec, s[0:1]
                                        ; implicit-def: $vgpr6
.LBB105_24:                             ;   in Loop: Header=BB105_10 Depth=1
	s_andn2_saveexec_b64 s[0:1], s[36:37]
; %bb.25:                               ;   in Loop: Header=BB105_10 Depth=1
	v_or_b32_sdwa v6, v6, s53 dst_sel:DWORD dst_unused:UNUSED_PAD src0_sel:BYTE_3 src1_sel:DWORD
	v_cmp_eq_u64_e32 vcc, 0, v[4:5]
	v_cndmask_b32_e32 v20, v6, v20, vcc
; %bb.26:                               ;   in Loop: Header=BB105_10 Depth=1
	s_or_b64 exec, exec, s[0:1]
	v_and_b32_e32 v8, 0xffff0000, v8
	v_div_scale_f32 v9, s[0:1], s45, s45, v8
	v_rcp_f32_e32 v21, v9
	v_mov_b32_e32 v4, s35
	v_add_co_u32_e32 v6, vcc, s34, v13
	v_addc_co_u32_e32 v7, vcc, v14, v4, vcc
	v_fma_f32 v4, -v9, v21, 1.0
	v_fmac_f32_e32 v21, v4, v21
	v_div_scale_f32 v4, vcc, v8, s45, v8
	global_store_byte v[6:7], v20, off
	v_mul_f32_e32 v20, v4, v21
	v_fma_f32 v22, -v9, v20, v4
	v_fmac_f32_e32 v20, v22, v21
	v_fma_f32 v4, -v9, v20, v4
	v_div_fmas_f32 v4, v4, v21, v20
	v_div_fixup_f32 v8, v4, s45, v8
	v_and_b32_sdwa v20, v8, s51 dst_sel:DWORD dst_unused:UNUSED_PAD src0_sel:BYTE_3 src1_sel:DWORD
	v_and_b32_e32 v22, 0x7f800000, v8
	v_mov_b32_e32 v23, v5
	v_and_b32_e32 v4, 0x7fffff, v8
	v_or_b32_e32 v9, 0x7e, v20
	v_cmp_ne_u64_e32 vcc, s[16:17], v[22:23]
	s_and_saveexec_b64 s[0:1], vcc
	s_xor_b64 s[36:37], exec, s[0:1]
	s_cbranch_execz .LBB105_40
; %bb.27:                               ;   in Loop: Header=BB105_10 Depth=1
	v_and_b32_e32 v22, 0x7fffffff, v8
	v_mov_b32_e32 v23, v5
	v_cmp_gt_u64_e32 vcc, s[28:29], v[22:23]
	s_and_saveexec_b64 s[0:1], vcc
	s_xor_b64 s[38:39], exec, s[0:1]
	s_cbranch_execz .LBB105_39
; %bb.28:                               ;   in Loop: Header=BB105_10 Depth=1
	v_cmp_ne_u32_e32 vcc, 0, v8
	v_mov_b32_e32 v9, 0
	s_and_saveexec_b64 s[40:41], vcc
	s_cbranch_execz .LBB105_38
; %bb.29:                               ;   in Loop: Header=BB105_10 Depth=1
	v_bfe_u32 v8, v8, 23, 8
	v_sub_u32_e32 v21, 0x79, v8
	v_cmp_gt_u32_e32 vcc, s52, v8
	v_cndmask_b32_e32 v21, 0, v21, vcc
	v_cmp_eq_u32_e32 vcc, 0, v8
	v_cndmask_b32_e32 v21, v21, v18, vcc
	v_add_u32_e32 v9, 0xffffff81, v8
	v_or_b32_e32 v22, 0x800000, v4
	v_add_u32_e32 v8, 20, v21
	v_cndmask_b32_e32 v23, v9, v17, vcc
	v_cndmask_b32_e32 v4, v22, v4, vcc
	v_lshlrev_b64 v[8:9], v8, -1
	v_not_b32_e32 v8, v8
	v_lshrrev_b64 v[26:27], v21, v[4:5]
	v_not_b32_e32 v9, v9
	v_and_b32_e32 v8, v4, v8
	v_add_u32_e32 v22, 19, v21
	v_lshrrev_b32_e32 v4, 23, v26
	v_and_b32_e32 v9, 0, v9
	v_lshlrev_b64 v[24:25], v22, 1
	v_add3_u32 v22, v21, v23, v4
	v_bfe_u32 v4, v26, 20, 1
	v_add_u32_e32 v4, -1, v4
	v_cmp_eq_u64_e32 vcc, v[8:9], v[24:25]
	v_cndmask_b32_e32 v4, 0, v4, vcc
	v_add_u32_e32 v4, v4, v26
	v_and_b32_e32 v4, 0xfffff, v4
	v_add_co_u32_e32 v8, vcc, v4, v26
	v_add_u32_e32 v21, 6, v22
	v_addc_co_u32_e32 v9, vcc, 0, v27, vcc
	v_cmp_ne_u32_e32 vcc, 0, v21
                                        ; implicit-def: $vgpr4
	s_and_saveexec_b64 s[0:1], vcc
	s_xor_b64 s[0:1], exec, s[0:1]
; %bb.30:                               ;   in Loop: Header=BB105_10 Depth=1
	v_add_u32_e32 v4, 7, v22
	v_cmp_lt_u64_e32 vcc, s[30:31], v[8:9]
	v_cndmask_b32_e32 v4, v21, v4, vcc
	v_cndmask_b32_e64 v21, 0, 1, vcc
	v_lshrrev_b64 v[8:9], v21, v[8:9]
; %bb.31:                               ;   in Loop: Header=BB105_10 Depth=1
	s_andn2_saveexec_b64 s[0:1], s[0:1]
; %bb.32:                               ;   in Loop: Header=BB105_10 Depth=1
	v_bfe_u32 v4, v8, 23, 1
; %bb.33:                               ;   in Loop: Header=BB105_10 Depth=1
	s_or_b64 exec, exec, s[0:1]
	v_lshrrev_b64 v[8:9], 20, v[8:9]
	v_cmp_gt_i32_e32 vcc, 16, v4
	v_cndmask_b32_e32 v9, 0, v9, vcc
	v_cndmask_b32_e32 v8, 7, v8, vcc
	v_cmp_ne_u32_e32 vcc, 0, v4
	v_cmp_ne_u64_e64 s[0:1], 0, v[8:9]
	s_or_b64 s[0:1], vcc, s[0:1]
                                        ; implicit-def: $vgpr9
	s_and_saveexec_b64 s[54:55], s[0:1]
	s_xor_b64 s[0:1], exec, s[54:55]
; %bb.34:                               ;   in Loop: Header=BB105_10 Depth=1
	v_min_i32_e32 v4, 15, v4
	v_lshl_or_b32 v4, v4, 3, v20
	v_and_or_b32 v9, v8, 7, v4
                                        ; implicit-def: $vgpr20
; %bb.35:                               ;   in Loop: Header=BB105_10 Depth=1
	s_andn2_saveexec_b64 s[0:1], s[0:1]
; %bb.36:                               ;   in Loop: Header=BB105_10 Depth=1
	v_mov_b32_e32 v9, v20
; %bb.37:                               ;   in Loop: Header=BB105_10 Depth=1
	s_or_b64 exec, exec, s[0:1]
.LBB105_38:                             ;   in Loop: Header=BB105_10 Depth=1
	s_or_b64 exec, exec, s[40:41]
.LBB105_39:                             ;   in Loop: Header=BB105_10 Depth=1
	s_andn2_saveexec_b64 s[0:1], s[38:39]
	s_or_b64 exec, exec, s[0:1]
                                        ; implicit-def: $vgpr8
.LBB105_40:                             ;   in Loop: Header=BB105_10 Depth=1
	s_andn2_saveexec_b64 s[0:1], s[36:37]
	s_cbranch_execz .LBB105_9
; %bb.41:                               ;   in Loop: Header=BB105_10 Depth=1
	v_or_b32_sdwa v8, v8, s53 dst_sel:DWORD dst_unused:UNUSED_PAD src0_sel:BYTE_3 src1_sel:DWORD
	v_cmp_eq_u64_e32 vcc, 0, v[4:5]
	v_cndmask_b32_e32 v9, v8, v9, vcc
	s_branch .LBB105_9
.LBB105_42:
	s_or_b64 exec, exec, s[26:27]
	v_cmp_gt_i32_e32 vcc, s10, v0
	s_and_saveexec_b64 s[0:1], vcc
	s_cbranch_execz .LBB105_61
; %bb.43:
	s_mul_i32 s0, s6, s15
	s_mul_hi_u32 s1, s6, s14
	s_add_i32 s1, s1, s0
	s_mul_i32 s0, s6, s14
	s_lshl_b64 s[0:1], s[0:1], 1
	s_add_u32 s18, s18, s0
	s_addc_u32 s0, s19, s1
	s_ashr_i32 s1, s8, 31
	s_mul_i32 s1, s22, s1
	s_add_i32 s1, s42, s1
	s_add_i32 s1, s1, s43
	s_add_u32 s2, s2, s44
	s_addc_u32 s1, s3, s1
	s_ashr_i32 s3, s9, 31
	s_load_dword s4, s[4:5], 0x8c
	s_mul_i32 s7, s7, s3
	s_waitcnt lgkmcnt(0)
	s_load_dword s20, s[24:25], 0x0
	s_add_i32 s3, s33, s7
	s_add_i32 s3, s3, s11
	s_add_u32 s11, s2, s23
	s_addc_u32 s19, s1, s3
	s_and_b32 s21, s4, 0xffff
	s_mov_b64 s[2:3], 0
	v_mov_b32_e32 v6, s0
	v_mov_b32_e32 v3, 0
	s_movk_i32 s22, 0x80
	s_mov_b64 s[4:5], 0x7f800000
	s_mov_b64 s[6:7], 0x43e00001
	s_movk_i32 s23, 0x7a
	s_mov_b64 s[8:9], 0xffffff
	s_movk_i32 s24, 0x7f
	v_mov_b32_e32 v7, 0xffffff82
	v_mov_b32_e32 v8, 0x78
	s_branch .LBB105_45
.LBB105_44:                             ;   in Loop: Header=BB105_45 Depth=1
	s_or_b64 exec, exec, s[0:1]
	v_mov_b32_e32 v2, s19
	v_add_co_u32_e32 v10, vcc, s11, v0
	v_addc_co_u32_e32 v11, vcc, v2, v1, vcc
	v_add_u32_e32 v0, s21, v0
	v_cmp_le_i32_e32 vcc, s10, v0
	s_or_b64 s[2:3], vcc, s[2:3]
	global_store_byte v[10:11], v5, off
	s_andn2_b64 exec, exec, s[2:3]
	s_cbranch_execz .LBB105_61
.LBB105_45:                             ; =>This Inner Loop Header: Depth=1
	v_ashrrev_i32_e32 v1, 31, v0
	v_lshlrev_b64 v[4:5], 1, v[0:1]
	v_add_co_u32_e32 v4, vcc, s18, v4
	v_addc_co_u32_e32 v5, vcc, v6, v5, vcc
	global_load_ushort v2, v[4:5], off
	v_mov_b32_e32 v11, v3
	s_waitcnt vmcnt(0)
	v_lshlrev_b32_e32 v2, 16, v2
	s_waitcnt lgkmcnt(0)
	v_div_scale_f32 v4, s[0:1], s20, s20, v2
	v_rcp_f32_e32 v5, v4
	v_div_scale_f32 v9, vcc, v2, s20, v2
	v_fma_f32 v10, -v4, v5, 1.0
	v_fmac_f32_e32 v5, v10, v5
	v_mul_f32_e32 v10, v9, v5
	v_fma_f32 v12, -v4, v10, v9
	v_fmac_f32_e32 v10, v12, v5
	v_fma_f32 v4, -v4, v10, v9
	v_div_fmas_f32 v4, v4, v5, v10
	v_div_fixup_f32 v4, v4, s20, v2
	v_and_b32_sdwa v9, v4, s22 dst_sel:DWORD dst_unused:UNUSED_PAD src0_sel:BYTE_3 src1_sel:DWORD
	v_and_b32_e32 v10, 0x7f800000, v4
	v_and_b32_e32 v2, 0x7fffff, v4
	v_or_b32_e32 v5, 0x7e, v9
	v_cmp_ne_u64_e32 vcc, s[4:5], v[10:11]
	s_and_saveexec_b64 s[0:1], vcc
	s_xor_b64 s[12:13], exec, s[0:1]
	s_cbranch_execz .LBB105_59
; %bb.46:                               ;   in Loop: Header=BB105_45 Depth=1
	v_and_b32_e32 v10, 0x7fffffff, v4
	v_mov_b32_e32 v11, v3
	v_cmp_gt_u64_e32 vcc, s[6:7], v[10:11]
	s_and_saveexec_b64 s[0:1], vcc
	s_xor_b64 s[14:15], exec, s[0:1]
	s_cbranch_execz .LBB105_58
; %bb.47:                               ;   in Loop: Header=BB105_45 Depth=1
	v_cmp_ne_u32_e32 vcc, 0, v4
	v_mov_b32_e32 v5, 0
	s_and_saveexec_b64 s[16:17], vcc
	s_cbranch_execz .LBB105_57
; %bb.48:                               ;   in Loop: Header=BB105_45 Depth=1
	v_bfe_u32 v4, v4, 23, 8
	v_sub_u32_e32 v10, 0x79, v4
	v_cmp_gt_u32_e32 vcc, s23, v4
	v_cndmask_b32_e32 v10, 0, v10, vcc
	v_cmp_eq_u32_e32 vcc, 0, v4
	v_cndmask_b32_e32 v10, v10, v8, vcc
	v_add_u32_e32 v5, 0xffffff81, v4
	v_or_b32_e32 v11, 0x800000, v2
	v_add_u32_e32 v4, 20, v10
	v_cndmask_b32_e32 v16, v5, v7, vcc
	v_cndmask_b32_e32 v2, v11, v2, vcc
	v_lshlrev_b64 v[4:5], v4, -1
	v_not_b32_e32 v4, v4
	v_lshrrev_b64 v[14:15], v10, v[2:3]
	v_not_b32_e32 v5, v5
	v_and_b32_e32 v4, v2, v4
	v_add_u32_e32 v11, 19, v10
	v_lshrrev_b32_e32 v2, 23, v14
	v_and_b32_e32 v5, 0, v5
	v_lshlrev_b64 v[12:13], v11, 1
	v_add3_u32 v11, v10, v16, v2
	v_bfe_u32 v2, v14, 20, 1
	v_add_u32_e32 v2, -1, v2
	v_cmp_eq_u64_e32 vcc, v[4:5], v[12:13]
	v_cndmask_b32_e32 v2, 0, v2, vcc
	v_add_u32_e32 v2, v2, v14
	v_and_b32_e32 v2, 0xfffff, v2
	v_add_co_u32_e32 v4, vcc, v2, v14
	v_add_u32_e32 v10, 6, v11
	v_addc_co_u32_e32 v5, vcc, 0, v15, vcc
	v_cmp_ne_u32_e32 vcc, 0, v10
                                        ; implicit-def: $vgpr2
	s_and_saveexec_b64 s[0:1], vcc
	s_xor_b64 s[0:1], exec, s[0:1]
; %bb.49:                               ;   in Loop: Header=BB105_45 Depth=1
	v_add_u32_e32 v2, 7, v11
	v_cmp_lt_u64_e32 vcc, s[8:9], v[4:5]
	v_cndmask_b32_e32 v2, v10, v2, vcc
	v_cndmask_b32_e64 v10, 0, 1, vcc
	v_lshrrev_b64 v[4:5], v10, v[4:5]
; %bb.50:                               ;   in Loop: Header=BB105_45 Depth=1
	s_andn2_saveexec_b64 s[0:1], s[0:1]
; %bb.51:                               ;   in Loop: Header=BB105_45 Depth=1
	v_bfe_u32 v2, v4, 23, 1
; %bb.52:                               ;   in Loop: Header=BB105_45 Depth=1
	s_or_b64 exec, exec, s[0:1]
	v_lshrrev_b64 v[4:5], 20, v[4:5]
	v_cmp_gt_i32_e32 vcc, 16, v2
	v_cndmask_b32_e32 v5, 0, v5, vcc
	v_cndmask_b32_e32 v4, 7, v4, vcc
	v_cmp_ne_u32_e32 vcc, 0, v2
	v_cmp_ne_u64_e64 s[0:1], 0, v[4:5]
	s_or_b64 s[0:1], vcc, s[0:1]
                                        ; implicit-def: $vgpr5
	s_and_saveexec_b64 s[26:27], s[0:1]
	s_xor_b64 s[0:1], exec, s[26:27]
; %bb.53:                               ;   in Loop: Header=BB105_45 Depth=1
	v_min_i32_e32 v2, 15, v2
	v_lshl_or_b32 v2, v2, 3, v9
	v_and_or_b32 v5, v4, 7, v2
                                        ; implicit-def: $vgpr9
; %bb.54:                               ;   in Loop: Header=BB105_45 Depth=1
	s_andn2_saveexec_b64 s[0:1], s[0:1]
; %bb.55:                               ;   in Loop: Header=BB105_45 Depth=1
	v_mov_b32_e32 v5, v9
; %bb.56:                               ;   in Loop: Header=BB105_45 Depth=1
	s_or_b64 exec, exec, s[0:1]
.LBB105_57:                             ;   in Loop: Header=BB105_45 Depth=1
	s_or_b64 exec, exec, s[16:17]
.LBB105_58:                             ;   in Loop: Header=BB105_45 Depth=1
	s_andn2_saveexec_b64 s[0:1], s[14:15]
	s_or_b64 exec, exec, s[0:1]
                                        ; implicit-def: $vgpr4
.LBB105_59:                             ;   in Loop: Header=BB105_45 Depth=1
	s_andn2_saveexec_b64 s[0:1], s[12:13]
	s_cbranch_execz .LBB105_44
; %bb.60:                               ;   in Loop: Header=BB105_45 Depth=1
	v_or_b32_sdwa v4, v4, s24 dst_sel:DWORD dst_unused:UNUSED_PAD src0_sel:BYTE_3 src1_sel:DWORD
	v_cmp_eq_u64_e32 vcc, 0, v[2:3]
	v_cndmask_b32_e32 v5, v4, v5, vcc
	s_branch .LBB105_44
.LBB105_61:
	s_endpgm
.LBB105_62:
                                        ; implicit-def: $sgpr22_sgpr23
	s_branch .LBB105_6
	.section	.rodata,"a",@progbits
	.p2align	6, 0x0
	.amdhsa_kernel _ZN4vllm38concat_and_cache_mla_rope_fused_kernelIN3c108BFloat16ENS1_4HalfELb0E14__hip_bfloat16hLNS_18Fp8KVCacheDataTypeE1EEEvPKlPT_S9_PKS8_PKT0_illlliPT3_S7_iiiiPKf
		.amdhsa_group_segment_fixed_size 0
		.amdhsa_private_segment_fixed_size 0
		.amdhsa_kernarg_size 384
		.amdhsa_user_sgpr_count 6
		.amdhsa_user_sgpr_private_segment_buffer 1
		.amdhsa_user_sgpr_dispatch_ptr 0
		.amdhsa_user_sgpr_queue_ptr 0
		.amdhsa_user_sgpr_kernarg_segment_ptr 1
		.amdhsa_user_sgpr_dispatch_id 0
		.amdhsa_user_sgpr_flat_scratch_init 0
		.amdhsa_user_sgpr_kernarg_preload_length 0
		.amdhsa_user_sgpr_kernarg_preload_offset 0
		.amdhsa_user_sgpr_private_segment_size 0
		.amdhsa_uses_dynamic_stack 0
		.amdhsa_system_sgpr_private_segment_wavefront_offset 0
		.amdhsa_system_sgpr_workgroup_id_x 1
		.amdhsa_system_sgpr_workgroup_id_y 0
		.amdhsa_system_sgpr_workgroup_id_z 0
		.amdhsa_system_sgpr_workgroup_info 0
		.amdhsa_system_vgpr_workitem_id 0
		.amdhsa_next_free_vgpr 28
		.amdhsa_next_free_sgpr 56
		.amdhsa_accum_offset 28
		.amdhsa_reserve_vcc 1
		.amdhsa_reserve_flat_scratch 0
		.amdhsa_float_round_mode_32 0
		.amdhsa_float_round_mode_16_64 0
		.amdhsa_float_denorm_mode_32 3
		.amdhsa_float_denorm_mode_16_64 3
		.amdhsa_dx10_clamp 1
		.amdhsa_ieee_mode 1
		.amdhsa_fp16_overflow 0
		.amdhsa_tg_split 0
		.amdhsa_exception_fp_ieee_invalid_op 0
		.amdhsa_exception_fp_denorm_src 0
		.amdhsa_exception_fp_ieee_div_zero 0
		.amdhsa_exception_fp_ieee_overflow 0
		.amdhsa_exception_fp_ieee_underflow 0
		.amdhsa_exception_fp_ieee_inexact 0
		.amdhsa_exception_int_div_zero 0
	.end_amdhsa_kernel
	.section	.text._ZN4vllm38concat_and_cache_mla_rope_fused_kernelIN3c108BFloat16ENS1_4HalfELb0E14__hip_bfloat16hLNS_18Fp8KVCacheDataTypeE1EEEvPKlPT_S9_PKS8_PKT0_illlliPT3_S7_iiiiPKf,"axG",@progbits,_ZN4vllm38concat_and_cache_mla_rope_fused_kernelIN3c108BFloat16ENS1_4HalfELb0E14__hip_bfloat16hLNS_18Fp8KVCacheDataTypeE1EEEvPKlPT_S9_PKS8_PKT0_illlliPT3_S7_iiiiPKf,comdat
.Lfunc_end105:
	.size	_ZN4vllm38concat_and_cache_mla_rope_fused_kernelIN3c108BFloat16ENS1_4HalfELb0E14__hip_bfloat16hLNS_18Fp8KVCacheDataTypeE1EEEvPKlPT_S9_PKS8_PKT0_illlliPT3_S7_iiiiPKf, .Lfunc_end105-_ZN4vllm38concat_and_cache_mla_rope_fused_kernelIN3c108BFloat16ENS1_4HalfELb0E14__hip_bfloat16hLNS_18Fp8KVCacheDataTypeE1EEEvPKlPT_S9_PKS8_PKT0_illlliPT3_S7_iiiiPKf
                                        ; -- End function
	.section	.AMDGPU.csdata,"",@progbits
; Kernel info:
; codeLenInByte = 4272
; NumSgprs: 60
; NumVgprs: 28
; NumAgprs: 0
; TotalNumVgprs: 28
; ScratchSize: 0
; MemoryBound: 0
; FloatMode: 240
; IeeeMode: 1
; LDSByteSize: 0 bytes/workgroup (compile time only)
; SGPRBlocks: 7
; VGPRBlocks: 3
; NumSGPRsForWavesPerEU: 60
; NumVGPRsForWavesPerEU: 28
; AccumOffset: 28
; Occupancy: 8
; WaveLimiterHint : 1
; COMPUTE_PGM_RSRC2:SCRATCH_EN: 0
; COMPUTE_PGM_RSRC2:USER_SGPR: 6
; COMPUTE_PGM_RSRC2:TRAP_HANDLER: 0
; COMPUTE_PGM_RSRC2:TGID_X_EN: 1
; COMPUTE_PGM_RSRC2:TGID_Y_EN: 0
; COMPUTE_PGM_RSRC2:TGID_Z_EN: 0
; COMPUTE_PGM_RSRC2:TIDIG_COMP_CNT: 0
; COMPUTE_PGM_RSRC3_GFX90A:ACCUM_OFFSET: 6
; COMPUTE_PGM_RSRC3_GFX90A:TG_SPLIT: 0
	.section	.text._ZN4vllm38concat_and_cache_mla_rope_fused_kernelIN3c108BFloat16ES2_Lb1E14__hip_bfloat16hLNS_18Fp8KVCacheDataTypeE1EEEvPKlPT_S8_PKS7_PKT0_illlliPT3_S6_iiiiPKf,"axG",@progbits,_ZN4vllm38concat_and_cache_mla_rope_fused_kernelIN3c108BFloat16ES2_Lb1E14__hip_bfloat16hLNS_18Fp8KVCacheDataTypeE1EEEvPKlPT_S8_PKS7_PKT0_illlliPT3_S6_iiiiPKf,comdat
	.protected	_ZN4vllm38concat_and_cache_mla_rope_fused_kernelIN3c108BFloat16ES2_Lb1E14__hip_bfloat16hLNS_18Fp8KVCacheDataTypeE1EEEvPKlPT_S8_PKS7_PKT0_illlliPT3_S6_iiiiPKf ; -- Begin function _ZN4vllm38concat_and_cache_mla_rope_fused_kernelIN3c108BFloat16ES2_Lb1E14__hip_bfloat16hLNS_18Fp8KVCacheDataTypeE1EEEvPKlPT_S8_PKS7_PKT0_illlliPT3_S6_iiiiPKf
	.globl	_ZN4vllm38concat_and_cache_mla_rope_fused_kernelIN3c108BFloat16ES2_Lb1E14__hip_bfloat16hLNS_18Fp8KVCacheDataTypeE1EEEvPKlPT_S8_PKS7_PKT0_illlliPT3_S6_iiiiPKf
	.p2align	8
	.type	_ZN4vllm38concat_and_cache_mla_rope_fused_kernelIN3c108BFloat16ES2_Lb1E14__hip_bfloat16hLNS_18Fp8KVCacheDataTypeE1EEEvPKlPT_S8_PKS7_PKT0_illlliPT3_S6_iiiiPKf,@function
_ZN4vllm38concat_and_cache_mla_rope_fused_kernelIN3c108BFloat16ES2_Lb1E14__hip_bfloat16hLNS_18Fp8KVCacheDataTypeE1EEEvPKlPT_S8_PKS7_PKT0_illlliPT3_S6_iiiiPKf: ; @_ZN4vllm38concat_and_cache_mla_rope_fused_kernelIN3c108BFloat16ES2_Lb1E14__hip_bfloat16hLNS_18Fp8KVCacheDataTypeE1EEEvPKlPT_S8_PKS7_PKT0_illlliPT3_S6_iiiiPKf
; %bb.0:
	s_load_dwordx2 s[2:3], s[4:5], 0x60
	s_mov_b32 s7, 0
	s_lshl_b64 s[0:1], s[6:7], 3
	s_waitcnt lgkmcnt(0)
	s_add_u32 s2, s2, s0
	s_addc_u32 s3, s3, s1
	s_load_dwordx2 s[26:27], s[2:3], 0x0
	s_waitcnt lgkmcnt(0)
	v_cmp_lt_i64_e64 s[2:3], s[26:27], 0
	s_and_b64 vcc, exec, s[2:3]
	s_cbranch_vccnz .LBB106_61
; %bb.1:
	s_load_dword s22, s[4:5], 0x28
	s_load_dwordx2 s[2:3], s[4:5], 0x0
	s_load_dwordx4 s[16:19], s[4:5], 0x10
	s_waitcnt lgkmcnt(0)
	s_ashr_i32 s7, s22, 31
	s_add_u32 s0, s2, s0
	s_addc_u32 s1, s3, s1
	s_load_dwordx2 s[2:3], s[0:1], 0x0
	s_load_dwordx2 s[28:29], s[4:5], 0x20
	s_load_dwordx8 s[8:15], s[4:5], 0x30
	s_load_dwordx2 s[20:21], s[4:5], 0x58
	s_load_dword s23, s[4:5], 0x50
	s_waitcnt lgkmcnt(0)
	s_mul_i32 s0, s2, s7
	s_mul_hi_u32 s1, s2, s22
	s_mul_i32 s3, s3, s22
	s_add_i32 s0, s1, s0
	s_add_i32 s1, s0, s3
	s_mul_i32 s0, s2, s22
	s_lshl_b64 s[30:31], s[0:1], 1
	s_add_u32 s7, s28, s30
	s_addc_u32 s33, s29, s31
	s_lshr_b32 s0, s22, 31
	s_add_i32 s22, s22, s0
	s_ashr_i32 s22, s22, 1
	s_mul_i32 s38, s22, s23
	v_cmp_gt_i32_e32 vcc, s38, v0
	s_and_saveexec_b64 s[24:25], vcc
	s_cbranch_execz .LBB106_4
; %bb.2:
	s_load_dwordx2 s[0:1], s[4:5], 0x8
	s_mul_i32 s2, s6, s9
	s_mul_hi_u32 s3, s6, s8
	s_add_i32 s3, s3, s2
	s_mul_i32 s2, s6, s8
	s_load_dword s8, s[4:5], 0x8c
	s_ashr_i32 s23, s22, 31
	s_lshl_b64 s[2:3], s[2:3], 1
	s_waitcnt lgkmcnt(0)
	s_add_u32 s39, s0, s2
	s_addc_u32 s0, s1, s3
	s_abs_i32 s40, s22
	v_cvt_f32_u32_e32 v1, s40
	s_sub_i32 s1, 0, s40
	s_lshl_b64 s[36:37], s[22:23], 1
	s_mov_b64 s[34:35], 0
	v_rcp_iflag_f32_e32 v2, v1
	v_mov_b32_e32 v1, s33
	s_and_b32 s41, s8, 0xffff
	s_sub_i32 s42, 0, s22
	v_mul_f32_e32 v2, 0x4f7ffffe, v2
	v_cvt_u32_f32_e32 v2, v2
	v_mov_b32_e32 v4, s37
	v_mov_b32_e32 v5, s0
	s_movk_i32 s37, 0x7fff
	v_mul_lo_u32 v3, s1, v2
	v_mul_hi_u32 v3, v2, v3
	v_add_u32_e32 v3, v2, v3
	v_mov_b32_e32 v6, 0x7fc00000
	v_mov_b32_e32 v7, 0x7fc0
	;; [unrolled: 1-line block ×3, first 2 shown]
.LBB106_3:                              ; =>This Inner Loop Header: Depth=1
	v_sub_u32_e32 v9, 0, v2
	v_max_i32_e32 v9, v2, v9
	v_mul_hi_u32 v10, v9, v3
	v_mul_lo_u32 v11, v10, s40
	v_sub_u32_e32 v9, v9, v11
	v_add_u32_e32 v12, 1, v10
	v_cmp_le_u32_e32 vcc, s40, v9
	v_subrev_u32_e32 v11, s40, v9
	v_cndmask_b32_e32 v10, v10, v12, vcc
	v_cndmask_b32_e32 v9, v9, v11, vcc
	v_ashrrev_i32_e32 v8, 31, v2
	v_add_u32_e32 v11, 1, v10
	v_cmp_le_u32_e32 vcc, s40, v9
	v_xor_b32_e32 v8, s23, v8
	v_cndmask_b32_e32 v9, v10, v11, vcc
	v_xor_b32_e32 v9, v9, v8
	v_sub_u32_e32 v10, v9, v8
	v_mad_u64_u32 v[8:9], s[0:1], s42, v10, v[2:3]
	v_ashrrev_i32_e32 v12, 31, v10
	v_ashrrev_i32_e32 v9, 31, v8
	v_mul_lo_u32 v13, v10, s11
	v_mad_u64_u32 v[10:11], s[0:1], v10, s10, 0
	v_mul_lo_u32 v12, v12, s10
	v_lshlrev_b64 v[8:9], 1, v[8:9]
	v_add3_u32 v11, v11, v13, v12
	v_add_co_u32_e32 v12, vcc, s7, v8
	v_addc_co_u32_e32 v13, vcc, v1, v9, vcc
	v_add_co_u32_e32 v14, vcc, s36, v12
	v_lshlrev_b64 v[10:11], 1, v[10:11]
	v_addc_co_u32_e32 v15, vcc, v13, v4, vcc
	v_add_co_u32_e32 v10, vcc, s39, v10
	v_addc_co_u32_e32 v11, vcc, v5, v11, vcc
	v_add_co_u32_e32 v8, vcc, v10, v8
	v_addc_co_u32_e32 v9, vcc, v11, v9, vcc
	global_load_ushort v16, v[14:15], off
	global_load_ushort v17, v[12:13], off
	v_add_co_u32_e32 v10, vcc, s36, v8
	v_addc_co_u32_e32 v11, vcc, v9, v4, vcc
	global_load_ushort v18, v[8:9], off
	global_load_ushort v19, v[10:11], off
	v_add_u32_e32 v2, s41, v2
	v_cmp_le_i32_e32 vcc, s38, v2
	s_or_b64 s[34:35], vcc, s[34:35]
	s_waitcnt vmcnt(3)
	v_lshlrev_b32_e32 v12, 16, v16
	s_waitcnt vmcnt(2)
	v_lshlrev_b32_e32 v13, 16, v17
	v_mov_b32_e32 v14, v13
	v_mov_b32_e32 v15, v12
	s_waitcnt vmcnt(1)
	v_lshlrev_b32_e32 v16, 16, v18
	s_waitcnt vmcnt(0)
	v_lshlrev_b32_e32 v17, 16, v19
	v_pk_mul_f32 v[14:15], v[14:15], v[16:17]
	v_pk_mul_f32 v[12:13], v[12:13], v[16:17]
	v_bfe_u32 v16, v14, 16, 1
	v_bfe_u32 v17, v15, 16, 1
	;; [unrolled: 1-line block ×4, first 2 shown]
	v_add3_u32 v17, v15, v17, s37
	v_add3_u32 v16, v14, v16, s37
	;; [unrolled: 1-line block ×4, first 2 shown]
	v_and_b32_e32 v16, 0xffff0000, v16
	v_and_b32_e32 v17, 0xffff0000, v17
	v_cmp_o_f32_e32 vcc, v14, v14
	v_cmp_o_f32_e64 s[8:9], v15, v15
	v_and_b32_e32 v14, 0xffff0000, v18
	v_and_b32_e32 v18, 0xffff0000, v19
	v_cmp_o_f32_e64 s[0:1], v13, v13
	v_cmp_o_f32_e64 s[2:3], v12, v12
	v_cndmask_b32_e64 v12, v6, v17, s[8:9]
	v_cndmask_b32_e32 v13, v6, v16, vcc
	v_cndmask_b32_e64 v15, v6, v18, s[0:1]
	v_cndmask_b32_e64 v14, v6, v14, s[2:3]
	v_sub_f32_e32 v12, v13, v12
	v_add_f32_e32 v13, v14, v15
	v_bfe_u32 v14, v12, 16, 1
	v_bfe_u32 v15, v13, 16, 1
	v_add3_u32 v14, v12, v14, s37
	v_add3_u32 v15, v13, v15, s37
	v_lshrrev_b32_e32 v14, 16, v14
	v_cmp_o_f32_e64 s[0:1], v12, v12
	v_lshrrev_b32_e32 v15, 16, v15
	v_cmp_o_f32_e32 vcc, v13, v13
	v_cndmask_b32_e64 v12, v7, v14, s[0:1]
	v_cndmask_b32_e32 v13, v7, v15, vcc
	global_store_short v[8:9], v12, off
	global_store_short v[10:11], v13, off
	s_andn2_b64 exec, exec, s[34:35]
	s_cbranch_execnz .LBB106_3
.LBB106_4:
	s_or_b64 exec, exec, s[24:25]
	s_load_dwordx4 s[8:11], s[4:5], 0x68
	s_waitcnt lgkmcnt(0)
	s_ashr_i32 s35, s11, 31
	s_mov_b32 s34, s11
	s_or_b64 s[0:1], s[26:27], s[34:35]
	s_mov_b32 s0, 0
	s_cmp_lg_u64 s[0:1], 0
	s_cbranch_scc0 .LBB106_62
; %bb.5:
	s_add_u32 s0, s34, s35
	s_mov_b32 s2, s35
	s_mov_b32 s3, s35
	s_addc_u32 s1, s35, s35
	s_xor_b64 s[36:37], s[0:1], s[2:3]
	v_cvt_f32_u32_e32 v1, s36
	v_cvt_f32_u32_e32 v2, s37
	s_sub_u32 s0, 0, s36
	s_subb_u32 s1, 0, s37
	v_madmk_f32 v1, v2, 0x4f800000, v1
	v_rcp_f32_e32 v1, v1
	v_mul_f32_e32 v1, 0x5f7ffffc, v1
	v_mul_f32_e32 v2, 0x2f800000, v1
	v_trunc_f32_e32 v2, v2
	v_madmk_f32 v1, v2, 0xcf800000, v1
	v_cvt_u32_f32_e32 v2, v2
	v_cvt_u32_f32_e32 v1, v1
	v_readfirstlane_b32 s11, v2
	v_readfirstlane_b32 s23, v1
	s_mul_i32 s38, s0, s11
	s_mul_hi_u32 s40, s0, s23
	s_mul_i32 s39, s1, s23
	s_add_i32 s38, s40, s38
	s_add_i32 s38, s38, s39
	s_mul_i32 s41, s0, s23
	s_mul_hi_u32 s39, s23, s38
	s_mul_i32 s40, s23, s38
	s_mul_hi_u32 s23, s23, s41
	s_add_u32 s23, s23, s40
	s_addc_u32 s39, 0, s39
	s_mul_hi_u32 s42, s11, s41
	s_mul_i32 s41, s11, s41
	s_add_u32 s23, s23, s41
	s_mul_hi_u32 s40, s11, s38
	s_addc_u32 s23, s39, s42
	s_addc_u32 s39, s40, 0
	s_mul_i32 s38, s11, s38
	s_add_u32 s23, s23, s38
	s_addc_u32 s38, 0, s39
	v_add_co_u32_e32 v1, vcc, s23, v1
	s_cmp_lg_u64 vcc, 0
	s_addc_u32 s11, s11, s38
	v_readfirstlane_b32 s38, v1
	s_mul_i32 s23, s0, s11
	s_mul_hi_u32 s39, s0, s38
	s_add_i32 s23, s39, s23
	s_mul_i32 s1, s1, s38
	s_add_i32 s23, s23, s1
	s_mul_i32 s0, s0, s38
	s_mul_hi_u32 s39, s11, s0
	s_mul_i32 s40, s11, s0
	s_mul_i32 s42, s38, s23
	s_mul_hi_u32 s0, s38, s0
	s_mul_hi_u32 s41, s38, s23
	s_add_u32 s0, s0, s42
	s_addc_u32 s38, 0, s41
	s_add_u32 s0, s0, s40
	s_mul_hi_u32 s1, s11, s23
	s_addc_u32 s0, s38, s39
	s_addc_u32 s1, s1, 0
	s_mul_i32 s23, s11, s23
	s_add_u32 s0, s0, s23
	s_addc_u32 s1, 0, s1
	v_add_co_u32_e32 v1, vcc, s0, v1
	s_cmp_lg_u64 vcc, 0
	s_addc_u32 s11, s11, s1
	s_ashr_i32 s38, s27, 31
	s_add_u32 s0, s26, s38
	s_mov_b32 s39, s38
	s_addc_u32 s1, s27, s38
	s_xor_b64 s[40:41], s[0:1], s[38:39]
	v_readfirstlane_b32 s23, v1
	s_mul_i32 s1, s40, s11
	s_mul_hi_u32 s42, s40, s23
	s_mul_hi_u32 s0, s40, s11
	s_add_u32 s1, s42, s1
	s_addc_u32 s0, 0, s0
	s_mul_hi_u32 s43, s41, s23
	s_mul_i32 s23, s41, s23
	s_add_u32 s1, s1, s23
	s_mul_hi_u32 s42, s41, s11
	s_addc_u32 s0, s0, s43
	s_addc_u32 s1, s42, 0
	s_mul_i32 s11, s41, s11
	s_add_u32 s11, s0, s11
	s_addc_u32 s23, 0, s1
	s_mul_i32 s0, s36, s23
	s_mul_hi_u32 s1, s36, s11
	s_add_i32 s0, s1, s0
	s_mul_i32 s1, s37, s11
	s_add_i32 s42, s0, s1
	s_mul_i32 s1, s36, s11
	v_mov_b32_e32 v1, s1
	s_sub_i32 s0, s41, s42
	v_sub_co_u32_e32 v1, vcc, s40, v1
	s_cmp_lg_u64 vcc, 0
	s_subb_u32 s40, s0, s37
	v_subrev_co_u32_e64 v2, s[0:1], s36, v1
	s_cmp_lg_u64 s[0:1], 0
	s_subb_u32 s0, s40, 0
	s_cmp_ge_u32 s0, s37
	v_readfirstlane_b32 s40, v2
	s_cselect_b32 s1, -1, 0
	s_cmp_ge_u32 s40, s36
	s_cselect_b32 s40, -1, 0
	s_cmp_eq_u32 s0, s37
	s_cselect_b32 s0, s40, s1
	s_add_u32 s1, s11, 1
	s_addc_u32 s40, s23, 0
	s_add_u32 s43, s11, 2
	s_addc_u32 s44, s23, 0
	s_cmp_lg_u32 s0, 0
	s_cselect_b32 s0, s43, s1
	s_cselect_b32 s1, s44, s40
	s_cmp_lg_u64 vcc, 0
	s_subb_u32 s40, s41, s42
	s_cmp_ge_u32 s40, s37
	v_readfirstlane_b32 s42, v1
	s_cselect_b32 s41, -1, 0
	s_cmp_ge_u32 s42, s36
	s_cselect_b32 s36, -1, 0
	s_cmp_eq_u32 s40, s37
	s_cselect_b32 s36, s36, s41
	s_cmp_lg_u32 s36, 0
	s_cselect_b32 s1, s1, s23
	s_cselect_b32 s0, s0, s11
	s_xor_b64 s[2:3], s[38:39], s[2:3]
	s_xor_b64 s[0:1], s[0:1], s[2:3]
	s_sub_u32 s2, s0, s2
	s_subb_u32 s3, s1, s3
	s_cbranch_execnz .LBB106_7
.LBB106_6:
	v_cvt_f32_u32_e32 v1, s34
	s_sub_i32 s0, 0, s34
	s_mov_b32 s3, 0
	v_rcp_iflag_f32_e32 v1, v1
	v_mul_f32_e32 v1, 0x4f7ffffe, v1
	v_cvt_u32_f32_e32 v1, v1
	v_readfirstlane_b32 s1, v1
	s_mul_i32 s0, s0, s1
	s_mul_hi_u32 s0, s1, s0
	s_add_i32 s1, s1, s0
	s_mul_hi_u32 s0, s26, s1
	s_mul_i32 s2, s0, s34
	s_sub_i32 s2, s26, s2
	s_add_i32 s1, s0, 1
	s_sub_i32 s11, s2, s34
	s_cmp_ge_u32 s2, s34
	s_cselect_b32 s0, s1, s0
	s_cselect_b32 s2, s11, s2
	s_add_i32 s1, s0, 1
	s_cmp_ge_u32 s2, s34
	s_cselect_b32 s2, s1, s0
.LBB106_7:
	s_mul_i32 s0, s2, s35
	s_mul_hi_u32 s1, s2, s34
	s_load_dwordx2 s[24:25], s[4:5], 0x78
	s_add_i32 s0, s1, s0
	s_mul_i32 s1, s3, s34
	s_add_i32 s0, s0, s1
	s_mul_i32 s1, s2, s34
	s_sub_u32 s11, s26, s1
	s_subb_u32 s0, s27, s0
	v_cmp_gt_i32_e32 vcc, s22, v0
	s_mul_hi_u32 s42, s2, s8
	s_mul_i32 s43, s3, s8
	s_mul_i32 s44, s2, s8
	s_mul_hi_u32 s41, s11, s9
	s_mul_i32 s3, s0, s9
	s_mul_i32 s40, s11, s9
	s_and_saveexec_b64 s[26:27], vcc
	s_cbranch_execz .LBB106_42
; %bb.8:
	s_mul_i32 s0, s6, s13
	s_mul_hi_u32 s1, s6, s12
	s_add_i32 s1, s1, s0
	s_mul_i32 s0, s6, s12
	s_ashr_i32 s23, s22, 31
	s_lshl_b64 s[0:1], s[0:1], 1
	s_add_u32 s45, s16, s0
	s_addc_u32 s46, s17, s1
	s_ashr_i32 s12, s8, 31
	s_load_dword s13, s[4:5], 0x8c
	s_mul_i32 s12, s2, s12
	s_add_i32 s12, s42, s12
	s_add_i32 s34, s12, s43
	s_ashr_i32 s12, s9, 31
	s_mul_i32 s12, s11, s12
	s_add_i32 s12, s41, s12
	s_waitcnt lgkmcnt(0)
	s_and_b32 s48, s13, 0xffff
	s_add_i32 s35, s12, s3
	s_ashr_i32 s36, s10, 31
	s_lshl_b32 s50, s48, 1
	s_lshl_b64 s[12:13], s[22:23], 1
	s_add_u32 s30, s30, s12
	s_addc_u32 s31, s31, s13
	s_add_u32 s51, s28, s30
	s_addc_u32 s52, s29, s31
	;; [unrolled: 2-line block ×5, first 2 shown]
	s_add_u32 s0, s0, s10
	s_load_dword s47, s[24:25], 0x0
	s_addc_u32 s1, s1, s36
	s_add_u32 s0, s20, s0
	s_addc_u32 s1, s21, s1
	v_mov_b32_e32 v1, s1
	v_add_co_u32_e32 v6, vcc, s0, v0
	s_mov_b32 s49, 0
	v_mov_b32_e32 v3, 0
	v_lshlrev_b32_e32 v4, 1, v0
	v_addc_co_u32_e32 v7, vcc, 0, v1, vcc
	s_mov_b64 s[12:13], 0
	s_movk_i32 s55, 0x7fff
	v_mov_b32_e32 v1, 0x7fc00000
	v_mov_b32_e32 v5, 0x7fc0
	s_movk_i32 s56, 0x80
	s_mov_b64 s[16:17], 0x7f800000
	s_mov_b64 s[28:29], 0x43e00001
	s_movk_i32 s57, 0x7a
	s_mov_b64 s[30:31], 0xffffff
	s_movk_i32 s58, 0x7f
	v_mov_b32_e32 v10, 0xffffff82
	v_mov_b32_e32 v11, 0x78
	;; [unrolled: 1-line block ×3, first 2 shown]
	s_branch .LBB106_10
.LBB106_9:                              ;   in Loop: Header=BB106_10 Depth=1
	s_or_b64 exec, exec, s[0:1]
	s_add_u32 s7, s7, s50
	s_addc_u32 s33, s33, 0
	s_add_u32 s51, s51, s50
	s_addc_u32 s52, s52, 0
	s_add_u32 s53, s53, s50
	v_mov_b32_e32 v2, s23
	v_add_co_u32_e32 v14, vcc, s22, v6
	s_addc_u32 s54, s54, 0
	v_addc_co_u32_e32 v15, vcc, v7, v2, vcc
	v_add_u32_e32 v12, s48, v12
	s_add_u32 s45, s45, s50
	s_addc_u32 s46, s46, 0
	v_cmp_le_i32_e32 vcc, s22, v12
	v_mov_b32_e32 v2, s49
	s_or_b64 s[12:13], vcc, s[12:13]
	v_add_co_u32_e32 v6, vcc, s48, v6
	v_addc_co_u32_e32 v7, vcc, v7, v2, vcc
	global_store_byte v[14:15], v9, off
	s_andn2_b64 exec, exec, s[12:13]
	s_cbranch_execz .LBB106_42
.LBB106_10:                             ; =>This Inner Loop Header: Depth=1
	v_mov_b32_e32 v2, s33
	v_add_co_u32_e32 v8, vcc, s7, v4
	v_addc_co_u32_e32 v9, vcc, 0, v2, vcc
	v_mov_b32_e32 v2, s52
	v_add_co_u32_e32 v14, vcc, s51, v4
	v_addc_co_u32_e32 v15, vcc, 0, v2, vcc
	;; [unrolled: 3-line block ×4, first 2 shown]
	global_load_ushort v2, v[18:19], off
	global_load_ushort v13, v[16:17], off
	;; [unrolled: 1-line block ×3, first 2 shown]
	s_nop 0
	global_load_ushort v14, v[14:15], off
	v_mov_b32_e32 v21, v3
	s_waitcnt vmcnt(3)
	v_lshlrev_b32_e32 v9, 16, v2
	s_waitcnt vmcnt(2)
	v_lshlrev_b32_e32 v8, 16, v13
	;; [unrolled: 2-line block ×4, first 2 shown]
	v_mov_b32_e32 v22, v15
	v_mov_b32_e32 v23, v14
	v_pk_mul_f32 v[14:15], v[14:15], v[8:9]
	v_bfe_u32 v13, v15, 16, 1
	v_pk_mul_f32 v[8:9], v[22:23], v[8:9]
	v_bfe_u32 v2, v14, 16, 1
	v_add3_u32 v13, v15, v13, s55
	v_bfe_u32 v22, v9, 16, 1
	v_add3_u32 v2, v14, v2, s55
	v_and_b32_e32 v13, 0xffff0000, v13
	v_cmp_o_f32_e32 vcc, v15, v15
	v_bfe_u32 v20, v8, 16, 1
	v_add3_u32 v22, v9, v22, s55
	v_and_b32_e32 v2, 0xffff0000, v2
	v_cndmask_b32_e32 v13, v1, v13, vcc
	v_cmp_o_f32_e32 vcc, v14, v14
	v_add3_u32 v20, v8, v20, s55
	v_and_b32_e32 v22, 0xffff0000, v22
	v_cndmask_b32_e32 v2, v1, v2, vcc
	v_cmp_o_f32_e32 vcc, v9, v9
	v_and_b32_e32 v20, 0xffff0000, v20
	v_cndmask_b32_e32 v9, v1, v22, vcc
	v_cmp_o_f32_e32 vcc, v8, v8
	v_cndmask_b32_e32 v8, v1, v20, vcc
	v_add_f32_e32 v2, v2, v13
	v_sub_f32_e32 v8, v8, v9
	v_bfe_u32 v9, v2, 16, 1
	v_bfe_u32 v13, v8, 16, 1
	v_add3_u32 v9, v2, v9, s55
	v_add3_u32 v13, v8, v13, s55
	v_lshrrev_b32_e32 v9, 16, v9
	v_cmp_o_f32_e32 vcc, v2, v2
	v_lshrrev_b32_e32 v14, 16, v13
	v_cndmask_b32_e32 v13, v5, v9, vcc
	v_cmp_o_f32_e32 vcc, v8, v8
	v_cndmask_b32_e32 v2, v5, v14, vcc
	global_store_short v[16:17], v2, off
	v_lshlrev_b32_e32 v2, 16, v2
	s_waitcnt lgkmcnt(0)
	v_div_scale_f32 v8, s[0:1], s47, s47, v2
	v_rcp_f32_e32 v9, v8
	v_div_scale_f32 v14, vcc, v2, s47, v2
	global_store_short v[18:19], v13, off
	v_fma_f32 v15, -v8, v9, 1.0
	v_fmac_f32_e32 v9, v15, v9
	v_mul_f32_e32 v15, v14, v9
	v_fma_f32 v16, -v8, v15, v14
	v_fmac_f32_e32 v15, v16, v9
	v_fma_f32 v8, -v8, v15, v14
	v_div_fmas_f32 v8, v8, v9, v15
	v_div_fixup_f32 v8, v8, s47, v2
	v_and_b32_sdwa v14, v8, s56 dst_sel:DWORD dst_unused:UNUSED_PAD src0_sel:BYTE_3 src1_sel:DWORD
	v_and_b32_e32 v20, 0x7f800000, v8
	v_and_b32_e32 v2, 0x7fffff, v8
	v_or_b32_e32 v9, 0x7e, v14
	v_cmp_ne_u64_e32 vcc, s[16:17], v[20:21]
	s_and_saveexec_b64 s[0:1], vcc
	s_xor_b64 s[34:35], exec, s[0:1]
	s_cbranch_execz .LBB106_24
; %bb.11:                               ;   in Loop: Header=BB106_10 Depth=1
	v_and_b32_e32 v16, 0x7fffffff, v8
	v_mov_b32_e32 v17, v3
	v_cmp_gt_u64_e32 vcc, s[28:29], v[16:17]
	s_and_saveexec_b64 s[0:1], vcc
	s_xor_b64 s[36:37], exec, s[0:1]
	s_cbranch_execz .LBB106_23
; %bb.12:                               ;   in Loop: Header=BB106_10 Depth=1
	v_cmp_ne_u32_e32 vcc, 0, v8
	v_mov_b32_e32 v9, 0
	s_and_saveexec_b64 s[38:39], vcc
	s_cbranch_execz .LBB106_22
; %bb.13:                               ;   in Loop: Header=BB106_10 Depth=1
	v_bfe_u32 v8, v8, 23, 8
	v_sub_u32_e32 v15, 0x79, v8
	v_cmp_gt_u32_e32 vcc, s57, v8
	v_cndmask_b32_e32 v15, 0, v15, vcc
	v_cmp_eq_u32_e32 vcc, 0, v8
	v_cndmask_b32_e32 v15, v15, v11, vcc
	v_add_u32_e32 v9, 0xffffff81, v8
	v_or_b32_e32 v16, 0x800000, v2
	v_add_u32_e32 v8, 20, v15
	v_cndmask_b32_e32 v17, v9, v10, vcc
	v_cndmask_b32_e32 v2, v16, v2, vcc
	v_lshlrev_b64 v[8:9], v8, -1
	v_not_b32_e32 v8, v8
	v_lshrrev_b64 v[20:21], v15, v[2:3]
	v_not_b32_e32 v9, v9
	v_and_b32_e32 v8, v2, v8
	v_add_u32_e32 v16, 19, v15
	v_lshrrev_b32_e32 v2, 23, v20
	v_and_b32_e32 v9, 0, v9
	v_lshlrev_b64 v[18:19], v16, 1
	v_add3_u32 v16, v15, v17, v2
	v_bfe_u32 v2, v20, 20, 1
	v_add_u32_e32 v2, -1, v2
	v_cmp_eq_u64_e32 vcc, v[8:9], v[18:19]
	v_cndmask_b32_e32 v2, 0, v2, vcc
	v_add_u32_e32 v2, v2, v20
	v_and_b32_e32 v2, 0xfffff, v2
	v_add_co_u32_e32 v8, vcc, v2, v20
	v_add_u32_e32 v15, 6, v16
	v_addc_co_u32_e32 v9, vcc, 0, v21, vcc
	v_cmp_ne_u32_e32 vcc, 0, v15
                                        ; implicit-def: $vgpr2
	s_and_saveexec_b64 s[0:1], vcc
	s_xor_b64 s[0:1], exec, s[0:1]
; %bb.14:                               ;   in Loop: Header=BB106_10 Depth=1
	v_add_u32_e32 v2, 7, v16
	v_cmp_lt_u64_e32 vcc, s[30:31], v[8:9]
	v_cndmask_b32_e32 v2, v15, v2, vcc
	v_cndmask_b32_e64 v15, 0, 1, vcc
	v_lshrrev_b64 v[8:9], v15, v[8:9]
; %bb.15:                               ;   in Loop: Header=BB106_10 Depth=1
	s_andn2_saveexec_b64 s[0:1], s[0:1]
; %bb.16:                               ;   in Loop: Header=BB106_10 Depth=1
	v_bfe_u32 v2, v8, 23, 1
; %bb.17:                               ;   in Loop: Header=BB106_10 Depth=1
	s_or_b64 exec, exec, s[0:1]
	v_lshrrev_b64 v[8:9], 20, v[8:9]
	v_cmp_gt_i32_e32 vcc, 16, v2
	v_cndmask_b32_e32 v9, 0, v9, vcc
	v_cndmask_b32_e32 v8, 7, v8, vcc
	v_cmp_ne_u32_e32 vcc, 0, v2
	v_cmp_ne_u64_e64 s[0:1], 0, v[8:9]
	s_or_b64 s[0:1], vcc, s[0:1]
                                        ; implicit-def: $vgpr9
	s_and_saveexec_b64 s[60:61], s[0:1]
	s_xor_b64 s[0:1], exec, s[60:61]
; %bb.18:                               ;   in Loop: Header=BB106_10 Depth=1
	v_min_i32_e32 v2, 15, v2
	v_lshl_or_b32 v2, v2, 3, v14
	v_and_or_b32 v9, v8, 7, v2
                                        ; implicit-def: $vgpr14
; %bb.19:                               ;   in Loop: Header=BB106_10 Depth=1
	s_andn2_saveexec_b64 s[0:1], s[0:1]
; %bb.20:                               ;   in Loop: Header=BB106_10 Depth=1
	v_mov_b32_e32 v9, v14
; %bb.21:                               ;   in Loop: Header=BB106_10 Depth=1
	s_or_b64 exec, exec, s[0:1]
.LBB106_22:                             ;   in Loop: Header=BB106_10 Depth=1
	s_or_b64 exec, exec, s[38:39]
.LBB106_23:                             ;   in Loop: Header=BB106_10 Depth=1
	s_andn2_saveexec_b64 s[0:1], s[36:37]
	s_or_b64 exec, exec, s[0:1]
                                        ; implicit-def: $vgpr8
.LBB106_24:                             ;   in Loop: Header=BB106_10 Depth=1
	s_andn2_saveexec_b64 s[0:1], s[34:35]
; %bb.25:                               ;   in Loop: Header=BB106_10 Depth=1
	v_or_b32_sdwa v8, v8, s58 dst_sel:DWORD dst_unused:UNUSED_PAD src0_sel:BYTE_3 src1_sel:DWORD
	v_cmp_eq_u64_e32 vcc, 0, v[2:3]
	v_cndmask_b32_e32 v9, v8, v9, vcc
; %bb.26:                               ;   in Loop: Header=BB106_10 Depth=1
	s_or_b64 exec, exec, s[0:1]
	v_lshlrev_b32_e32 v2, 16, v13
	v_div_scale_f32 v8, s[0:1], s47, s47, v2
	v_rcp_f32_e32 v13, v8
	global_store_byte v[6:7], v9, off
	v_fma_f32 v9, -v8, v13, 1.0
	v_fmac_f32_e32 v13, v9, v13
	v_div_scale_f32 v9, vcc, v2, s47, v2
	v_mul_f32_e32 v14, v9, v13
	v_fma_f32 v15, -v8, v14, v9
	v_fmac_f32_e32 v14, v15, v13
	v_fma_f32 v8, -v8, v14, v9
	v_div_fmas_f32 v8, v8, v13, v14
	v_div_fixup_f32 v8, v8, s47, v2
	v_and_b32_sdwa v13, v8, s56 dst_sel:DWORD dst_unused:UNUSED_PAD src0_sel:BYTE_3 src1_sel:DWORD
	v_and_b32_e32 v14, 0x7f800000, v8
	v_mov_b32_e32 v15, v3
	v_and_b32_e32 v2, 0x7fffff, v8
	v_or_b32_e32 v9, 0x7e, v13
	v_cmp_ne_u64_e32 vcc, s[16:17], v[14:15]
	s_and_saveexec_b64 s[0:1], vcc
	s_xor_b64 s[34:35], exec, s[0:1]
	s_cbranch_execz .LBB106_40
; %bb.27:                               ;   in Loop: Header=BB106_10 Depth=1
	v_and_b32_e32 v14, 0x7fffffff, v8
	v_mov_b32_e32 v15, v3
	v_cmp_gt_u64_e32 vcc, s[28:29], v[14:15]
	s_and_saveexec_b64 s[0:1], vcc
	s_xor_b64 s[36:37], exec, s[0:1]
	s_cbranch_execz .LBB106_39
; %bb.28:                               ;   in Loop: Header=BB106_10 Depth=1
	v_cmp_ne_u32_e32 vcc, 0, v8
	v_mov_b32_e32 v9, 0
	s_and_saveexec_b64 s[38:39], vcc
	s_cbranch_execz .LBB106_38
; %bb.29:                               ;   in Loop: Header=BB106_10 Depth=1
	v_bfe_u32 v8, v8, 23, 8
	v_sub_u32_e32 v14, 0x79, v8
	v_cmp_gt_u32_e32 vcc, s57, v8
	v_cndmask_b32_e32 v14, 0, v14, vcc
	v_cmp_eq_u32_e32 vcc, 0, v8
	v_cndmask_b32_e32 v14, v14, v11, vcc
	v_add_u32_e32 v9, 0xffffff81, v8
	v_or_b32_e32 v15, 0x800000, v2
	v_add_u32_e32 v8, 20, v14
	v_cndmask_b32_e32 v20, v9, v10, vcc
	v_cndmask_b32_e32 v2, v15, v2, vcc
	v_lshlrev_b64 v[8:9], v8, -1
	v_not_b32_e32 v8, v8
	v_lshrrev_b64 v[18:19], v14, v[2:3]
	v_not_b32_e32 v9, v9
	v_and_b32_e32 v8, v2, v8
	v_add_u32_e32 v15, 19, v14
	v_lshrrev_b32_e32 v2, 23, v18
	v_and_b32_e32 v9, 0, v9
	v_lshlrev_b64 v[16:17], v15, 1
	v_add3_u32 v15, v14, v20, v2
	v_bfe_u32 v2, v18, 20, 1
	v_add_u32_e32 v2, -1, v2
	v_cmp_eq_u64_e32 vcc, v[8:9], v[16:17]
	v_cndmask_b32_e32 v2, 0, v2, vcc
	v_add_u32_e32 v2, v2, v18
	v_and_b32_e32 v2, 0xfffff, v2
	v_add_co_u32_e32 v8, vcc, v2, v18
	v_add_u32_e32 v14, 6, v15
	v_addc_co_u32_e32 v9, vcc, 0, v19, vcc
	v_cmp_ne_u32_e32 vcc, 0, v14
                                        ; implicit-def: $vgpr2
	s_and_saveexec_b64 s[0:1], vcc
	s_xor_b64 s[0:1], exec, s[0:1]
; %bb.30:                               ;   in Loop: Header=BB106_10 Depth=1
	v_add_u32_e32 v2, 7, v15
	v_cmp_lt_u64_e32 vcc, s[30:31], v[8:9]
	v_cndmask_b32_e32 v2, v14, v2, vcc
	v_cndmask_b32_e64 v14, 0, 1, vcc
	v_lshrrev_b64 v[8:9], v14, v[8:9]
; %bb.31:                               ;   in Loop: Header=BB106_10 Depth=1
	s_andn2_saveexec_b64 s[0:1], s[0:1]
; %bb.32:                               ;   in Loop: Header=BB106_10 Depth=1
	v_bfe_u32 v2, v8, 23, 1
; %bb.33:                               ;   in Loop: Header=BB106_10 Depth=1
	s_or_b64 exec, exec, s[0:1]
	v_lshrrev_b64 v[8:9], 20, v[8:9]
	v_cmp_gt_i32_e32 vcc, 16, v2
	v_cndmask_b32_e32 v9, 0, v9, vcc
	v_cndmask_b32_e32 v8, 7, v8, vcc
	v_cmp_ne_u32_e32 vcc, 0, v2
	v_cmp_ne_u64_e64 s[0:1], 0, v[8:9]
	s_or_b64 s[0:1], vcc, s[0:1]
                                        ; implicit-def: $vgpr9
	s_and_saveexec_b64 s[60:61], s[0:1]
	s_xor_b64 s[0:1], exec, s[60:61]
; %bb.34:                               ;   in Loop: Header=BB106_10 Depth=1
	v_min_i32_e32 v2, 15, v2
	v_lshl_or_b32 v2, v2, 3, v13
	v_and_or_b32 v9, v8, 7, v2
                                        ; implicit-def: $vgpr13
; %bb.35:                               ;   in Loop: Header=BB106_10 Depth=1
	s_andn2_saveexec_b64 s[0:1], s[0:1]
; %bb.36:                               ;   in Loop: Header=BB106_10 Depth=1
	v_mov_b32_e32 v9, v13
; %bb.37:                               ;   in Loop: Header=BB106_10 Depth=1
	s_or_b64 exec, exec, s[0:1]
.LBB106_38:                             ;   in Loop: Header=BB106_10 Depth=1
	s_or_b64 exec, exec, s[38:39]
.LBB106_39:                             ;   in Loop: Header=BB106_10 Depth=1
	s_andn2_saveexec_b64 s[0:1], s[36:37]
	s_or_b64 exec, exec, s[0:1]
                                        ; implicit-def: $vgpr8
.LBB106_40:                             ;   in Loop: Header=BB106_10 Depth=1
	s_andn2_saveexec_b64 s[0:1], s[34:35]
	s_cbranch_execz .LBB106_9
; %bb.41:                               ;   in Loop: Header=BB106_10 Depth=1
	v_or_b32_sdwa v8, v8, s58 dst_sel:DWORD dst_unused:UNUSED_PAD src0_sel:BYTE_3 src1_sel:DWORD
	v_cmp_eq_u64_e32 vcc, 0, v[2:3]
	v_cndmask_b32_e32 v9, v8, v9, vcc
	s_branch .LBB106_9
.LBB106_42:
	s_or_b64 exec, exec, s[26:27]
	v_cmp_gt_i32_e32 vcc, s10, v0
	s_and_saveexec_b64 s[0:1], vcc
	s_cbranch_execz .LBB106_61
; %bb.43:
	s_mul_i32 s0, s6, s15
	s_mul_hi_u32 s1, s6, s14
	s_add_i32 s1, s1, s0
	s_mul_i32 s0, s6, s14
	s_lshl_b64 s[0:1], s[0:1], 1
	s_add_u32 s18, s18, s0
	s_addc_u32 s0, s19, s1
	s_ashr_i32 s1, s8, 31
	s_mul_i32 s1, s2, s1
	s_add_i32 s1, s42, s1
	s_add_i32 s1, s1, s43
	s_add_u32 s2, s20, s44
	s_addc_u32 s1, s21, s1
	s_ashr_i32 s6, s9, 31
	s_load_dword s4, s[4:5], 0x8c
	s_mul_i32 s11, s11, s6
	s_waitcnt lgkmcnt(0)
	s_load_dword s20, s[24:25], 0x0
	s_add_i32 s6, s41, s11
	s_add_i32 s6, s6, s3
	s_add_u32 s11, s2, s40
	s_addc_u32 s19, s1, s6
	s_and_b32 s21, s4, 0xffff
	s_mov_b64 s[2:3], 0
	v_mov_b32_e32 v6, s0
	v_mov_b32_e32 v3, 0
	s_movk_i32 s22, 0x80
	s_mov_b64 s[4:5], 0x7f800000
	s_mov_b64 s[6:7], 0x43e00001
	s_movk_i32 s23, 0x7a
	s_mov_b64 s[8:9], 0xffffff
	s_movk_i32 s24, 0x7f
	v_mov_b32_e32 v7, 0xffffff82
	v_mov_b32_e32 v8, 0x78
	s_branch .LBB106_45
.LBB106_44:                             ;   in Loop: Header=BB106_45 Depth=1
	s_or_b64 exec, exec, s[0:1]
	v_mov_b32_e32 v2, s19
	v_add_co_u32_e32 v10, vcc, s11, v0
	v_addc_co_u32_e32 v11, vcc, v2, v1, vcc
	v_add_u32_e32 v0, s21, v0
	v_cmp_le_i32_e32 vcc, s10, v0
	s_or_b64 s[2:3], vcc, s[2:3]
	global_store_byte v[10:11], v5, off
	s_andn2_b64 exec, exec, s[2:3]
	s_cbranch_execz .LBB106_61
.LBB106_45:                             ; =>This Inner Loop Header: Depth=1
	v_ashrrev_i32_e32 v1, 31, v0
	v_lshlrev_b64 v[4:5], 1, v[0:1]
	v_add_co_u32_e32 v4, vcc, s18, v4
	v_addc_co_u32_e32 v5, vcc, v6, v5, vcc
	global_load_ushort v2, v[4:5], off
	v_mov_b32_e32 v11, v3
	s_waitcnt vmcnt(0)
	v_lshlrev_b32_e32 v2, 16, v2
	s_waitcnt lgkmcnt(0)
	v_div_scale_f32 v4, s[0:1], s20, s20, v2
	v_rcp_f32_e32 v5, v4
	v_div_scale_f32 v9, vcc, v2, s20, v2
	v_fma_f32 v10, -v4, v5, 1.0
	v_fmac_f32_e32 v5, v10, v5
	v_mul_f32_e32 v10, v9, v5
	v_fma_f32 v12, -v4, v10, v9
	v_fmac_f32_e32 v10, v12, v5
	v_fma_f32 v4, -v4, v10, v9
	v_div_fmas_f32 v4, v4, v5, v10
	v_div_fixup_f32 v4, v4, s20, v2
	v_and_b32_sdwa v9, v4, s22 dst_sel:DWORD dst_unused:UNUSED_PAD src0_sel:BYTE_3 src1_sel:DWORD
	v_and_b32_e32 v10, 0x7f800000, v4
	v_and_b32_e32 v2, 0x7fffff, v4
	v_or_b32_e32 v5, 0x7e, v9
	v_cmp_ne_u64_e32 vcc, s[4:5], v[10:11]
	s_and_saveexec_b64 s[0:1], vcc
	s_xor_b64 s[12:13], exec, s[0:1]
	s_cbranch_execz .LBB106_59
; %bb.46:                               ;   in Loop: Header=BB106_45 Depth=1
	v_and_b32_e32 v10, 0x7fffffff, v4
	v_mov_b32_e32 v11, v3
	v_cmp_gt_u64_e32 vcc, s[6:7], v[10:11]
	s_and_saveexec_b64 s[0:1], vcc
	s_xor_b64 s[14:15], exec, s[0:1]
	s_cbranch_execz .LBB106_58
; %bb.47:                               ;   in Loop: Header=BB106_45 Depth=1
	v_cmp_ne_u32_e32 vcc, 0, v4
	v_mov_b32_e32 v5, 0
	s_and_saveexec_b64 s[16:17], vcc
	s_cbranch_execz .LBB106_57
; %bb.48:                               ;   in Loop: Header=BB106_45 Depth=1
	v_bfe_u32 v4, v4, 23, 8
	v_sub_u32_e32 v10, 0x79, v4
	v_cmp_gt_u32_e32 vcc, s23, v4
	v_cndmask_b32_e32 v10, 0, v10, vcc
	v_cmp_eq_u32_e32 vcc, 0, v4
	v_cndmask_b32_e32 v10, v10, v8, vcc
	v_add_u32_e32 v5, 0xffffff81, v4
	v_or_b32_e32 v11, 0x800000, v2
	v_add_u32_e32 v4, 20, v10
	v_cndmask_b32_e32 v16, v5, v7, vcc
	v_cndmask_b32_e32 v2, v11, v2, vcc
	v_lshlrev_b64 v[4:5], v4, -1
	v_not_b32_e32 v4, v4
	v_lshrrev_b64 v[14:15], v10, v[2:3]
	v_not_b32_e32 v5, v5
	v_and_b32_e32 v4, v2, v4
	v_add_u32_e32 v11, 19, v10
	v_lshrrev_b32_e32 v2, 23, v14
	v_and_b32_e32 v5, 0, v5
	v_lshlrev_b64 v[12:13], v11, 1
	v_add3_u32 v11, v10, v16, v2
	v_bfe_u32 v2, v14, 20, 1
	v_add_u32_e32 v2, -1, v2
	v_cmp_eq_u64_e32 vcc, v[4:5], v[12:13]
	v_cndmask_b32_e32 v2, 0, v2, vcc
	v_add_u32_e32 v2, v2, v14
	v_and_b32_e32 v2, 0xfffff, v2
	v_add_co_u32_e32 v4, vcc, v2, v14
	v_add_u32_e32 v10, 6, v11
	v_addc_co_u32_e32 v5, vcc, 0, v15, vcc
	v_cmp_ne_u32_e32 vcc, 0, v10
                                        ; implicit-def: $vgpr2
	s_and_saveexec_b64 s[0:1], vcc
	s_xor_b64 s[0:1], exec, s[0:1]
; %bb.49:                               ;   in Loop: Header=BB106_45 Depth=1
	v_add_u32_e32 v2, 7, v11
	v_cmp_lt_u64_e32 vcc, s[8:9], v[4:5]
	v_cndmask_b32_e32 v2, v10, v2, vcc
	v_cndmask_b32_e64 v10, 0, 1, vcc
	v_lshrrev_b64 v[4:5], v10, v[4:5]
; %bb.50:                               ;   in Loop: Header=BB106_45 Depth=1
	s_andn2_saveexec_b64 s[0:1], s[0:1]
; %bb.51:                               ;   in Loop: Header=BB106_45 Depth=1
	v_bfe_u32 v2, v4, 23, 1
; %bb.52:                               ;   in Loop: Header=BB106_45 Depth=1
	s_or_b64 exec, exec, s[0:1]
	v_lshrrev_b64 v[4:5], 20, v[4:5]
	v_cmp_gt_i32_e32 vcc, 16, v2
	v_cndmask_b32_e32 v5, 0, v5, vcc
	v_cndmask_b32_e32 v4, 7, v4, vcc
	v_cmp_ne_u32_e32 vcc, 0, v2
	v_cmp_ne_u64_e64 s[0:1], 0, v[4:5]
	s_or_b64 s[0:1], vcc, s[0:1]
                                        ; implicit-def: $vgpr5
	s_and_saveexec_b64 s[26:27], s[0:1]
	s_xor_b64 s[0:1], exec, s[26:27]
; %bb.53:                               ;   in Loop: Header=BB106_45 Depth=1
	v_min_i32_e32 v2, 15, v2
	v_lshl_or_b32 v2, v2, 3, v9
	v_and_or_b32 v5, v4, 7, v2
                                        ; implicit-def: $vgpr9
; %bb.54:                               ;   in Loop: Header=BB106_45 Depth=1
	s_andn2_saveexec_b64 s[0:1], s[0:1]
; %bb.55:                               ;   in Loop: Header=BB106_45 Depth=1
	v_mov_b32_e32 v5, v9
; %bb.56:                               ;   in Loop: Header=BB106_45 Depth=1
	s_or_b64 exec, exec, s[0:1]
.LBB106_57:                             ;   in Loop: Header=BB106_45 Depth=1
	s_or_b64 exec, exec, s[16:17]
.LBB106_58:                             ;   in Loop: Header=BB106_45 Depth=1
	s_andn2_saveexec_b64 s[0:1], s[14:15]
	s_or_b64 exec, exec, s[0:1]
                                        ; implicit-def: $vgpr4
.LBB106_59:                             ;   in Loop: Header=BB106_45 Depth=1
	s_andn2_saveexec_b64 s[0:1], s[12:13]
	s_cbranch_execz .LBB106_44
; %bb.60:                               ;   in Loop: Header=BB106_45 Depth=1
	v_or_b32_sdwa v4, v4, s24 dst_sel:DWORD dst_unused:UNUSED_PAD src0_sel:BYTE_3 src1_sel:DWORD
	v_cmp_eq_u64_e32 vcc, 0, v[2:3]
	v_cndmask_b32_e32 v5, v4, v5, vcc
	s_branch .LBB106_44
.LBB106_61:
	s_endpgm
.LBB106_62:
                                        ; implicit-def: $sgpr2_sgpr3
	s_branch .LBB106_6
	.section	.rodata,"a",@progbits
	.p2align	6, 0x0
	.amdhsa_kernel _ZN4vllm38concat_and_cache_mla_rope_fused_kernelIN3c108BFloat16ES2_Lb1E14__hip_bfloat16hLNS_18Fp8KVCacheDataTypeE1EEEvPKlPT_S8_PKS7_PKT0_illlliPT3_S6_iiiiPKf
		.amdhsa_group_segment_fixed_size 0
		.amdhsa_private_segment_fixed_size 0
		.amdhsa_kernarg_size 384
		.amdhsa_user_sgpr_count 6
		.amdhsa_user_sgpr_private_segment_buffer 1
		.amdhsa_user_sgpr_dispatch_ptr 0
		.amdhsa_user_sgpr_queue_ptr 0
		.amdhsa_user_sgpr_kernarg_segment_ptr 1
		.amdhsa_user_sgpr_dispatch_id 0
		.amdhsa_user_sgpr_flat_scratch_init 0
		.amdhsa_user_sgpr_kernarg_preload_length 0
		.amdhsa_user_sgpr_kernarg_preload_offset 0
		.amdhsa_user_sgpr_private_segment_size 0
		.amdhsa_uses_dynamic_stack 0
		.amdhsa_system_sgpr_private_segment_wavefront_offset 0
		.amdhsa_system_sgpr_workgroup_id_x 1
		.amdhsa_system_sgpr_workgroup_id_y 0
		.amdhsa_system_sgpr_workgroup_id_z 0
		.amdhsa_system_sgpr_workgroup_info 0
		.amdhsa_system_vgpr_workitem_id 0
		.amdhsa_next_free_vgpr 24
		.amdhsa_next_free_sgpr 62
		.amdhsa_accum_offset 24
		.amdhsa_reserve_vcc 1
		.amdhsa_reserve_flat_scratch 0
		.amdhsa_float_round_mode_32 0
		.amdhsa_float_round_mode_16_64 0
		.amdhsa_float_denorm_mode_32 3
		.amdhsa_float_denorm_mode_16_64 3
		.amdhsa_dx10_clamp 1
		.amdhsa_ieee_mode 1
		.amdhsa_fp16_overflow 0
		.amdhsa_tg_split 0
		.amdhsa_exception_fp_ieee_invalid_op 0
		.amdhsa_exception_fp_denorm_src 0
		.amdhsa_exception_fp_ieee_div_zero 0
		.amdhsa_exception_fp_ieee_overflow 0
		.amdhsa_exception_fp_ieee_underflow 0
		.amdhsa_exception_fp_ieee_inexact 0
		.amdhsa_exception_int_div_zero 0
	.end_amdhsa_kernel
	.section	.text._ZN4vllm38concat_and_cache_mla_rope_fused_kernelIN3c108BFloat16ES2_Lb1E14__hip_bfloat16hLNS_18Fp8KVCacheDataTypeE1EEEvPKlPT_S8_PKS7_PKT0_illlliPT3_S6_iiiiPKf,"axG",@progbits,_ZN4vllm38concat_and_cache_mla_rope_fused_kernelIN3c108BFloat16ES2_Lb1E14__hip_bfloat16hLNS_18Fp8KVCacheDataTypeE1EEEvPKlPT_S8_PKS7_PKT0_illlliPT3_S6_iiiiPKf,comdat
.Lfunc_end106:
	.size	_ZN4vllm38concat_and_cache_mla_rope_fused_kernelIN3c108BFloat16ES2_Lb1E14__hip_bfloat16hLNS_18Fp8KVCacheDataTypeE1EEEvPKlPT_S8_PKS7_PKT0_illlliPT3_S6_iiiiPKf, .Lfunc_end106-_ZN4vllm38concat_and_cache_mla_rope_fused_kernelIN3c108BFloat16ES2_Lb1E14__hip_bfloat16hLNS_18Fp8KVCacheDataTypeE1EEEvPKlPT_S8_PKS7_PKT0_illlliPT3_S6_iiiiPKf
                                        ; -- End function
	.section	.AMDGPU.csdata,"",@progbits
; Kernel info:
; codeLenInByte = 4144
; NumSgprs: 66
; NumVgprs: 24
; NumAgprs: 0
; TotalNumVgprs: 24
; ScratchSize: 0
; MemoryBound: 0
; FloatMode: 240
; IeeeMode: 1
; LDSByteSize: 0 bytes/workgroup (compile time only)
; SGPRBlocks: 8
; VGPRBlocks: 2
; NumSGPRsForWavesPerEU: 66
; NumVGPRsForWavesPerEU: 24
; AccumOffset: 24
; Occupancy: 8
; WaveLimiterHint : 1
; COMPUTE_PGM_RSRC2:SCRATCH_EN: 0
; COMPUTE_PGM_RSRC2:USER_SGPR: 6
; COMPUTE_PGM_RSRC2:TRAP_HANDLER: 0
; COMPUTE_PGM_RSRC2:TGID_X_EN: 1
; COMPUTE_PGM_RSRC2:TGID_Y_EN: 0
; COMPUTE_PGM_RSRC2:TGID_Z_EN: 0
; COMPUTE_PGM_RSRC2:TIDIG_COMP_CNT: 0
; COMPUTE_PGM_RSRC3_GFX90A:ACCUM_OFFSET: 5
; COMPUTE_PGM_RSRC3_GFX90A:TG_SPLIT: 0
	.section	.text._ZN4vllm38concat_and_cache_mla_rope_fused_kernelIN3c108BFloat16ES2_Lb0E14__hip_bfloat16hLNS_18Fp8KVCacheDataTypeE1EEEvPKlPT_S8_PKS7_PKT0_illlliPT3_S6_iiiiPKf,"axG",@progbits,_ZN4vllm38concat_and_cache_mla_rope_fused_kernelIN3c108BFloat16ES2_Lb0E14__hip_bfloat16hLNS_18Fp8KVCacheDataTypeE1EEEvPKlPT_S8_PKS7_PKT0_illlliPT3_S6_iiiiPKf,comdat
	.protected	_ZN4vllm38concat_and_cache_mla_rope_fused_kernelIN3c108BFloat16ES2_Lb0E14__hip_bfloat16hLNS_18Fp8KVCacheDataTypeE1EEEvPKlPT_S8_PKS7_PKT0_illlliPT3_S6_iiiiPKf ; -- Begin function _ZN4vllm38concat_and_cache_mla_rope_fused_kernelIN3c108BFloat16ES2_Lb0E14__hip_bfloat16hLNS_18Fp8KVCacheDataTypeE1EEEvPKlPT_S8_PKS7_PKT0_illlliPT3_S6_iiiiPKf
	.globl	_ZN4vllm38concat_and_cache_mla_rope_fused_kernelIN3c108BFloat16ES2_Lb0E14__hip_bfloat16hLNS_18Fp8KVCacheDataTypeE1EEEvPKlPT_S8_PKS7_PKT0_illlliPT3_S6_iiiiPKf
	.p2align	8
	.type	_ZN4vllm38concat_and_cache_mla_rope_fused_kernelIN3c108BFloat16ES2_Lb0E14__hip_bfloat16hLNS_18Fp8KVCacheDataTypeE1EEEvPKlPT_S8_PKS7_PKT0_illlliPT3_S6_iiiiPKf,@function
_ZN4vllm38concat_and_cache_mla_rope_fused_kernelIN3c108BFloat16ES2_Lb0E14__hip_bfloat16hLNS_18Fp8KVCacheDataTypeE1EEEvPKlPT_S8_PKS7_PKT0_illlliPT3_S6_iiiiPKf: ; @_ZN4vllm38concat_and_cache_mla_rope_fused_kernelIN3c108BFloat16ES2_Lb0E14__hip_bfloat16hLNS_18Fp8KVCacheDataTypeE1EEEvPKlPT_S8_PKS7_PKT0_illlliPT3_S6_iiiiPKf
; %bb.0:
	s_load_dwordx2 s[2:3], s[4:5], 0x60
	s_mov_b32 s7, 0
	s_lshl_b64 s[0:1], s[6:7], 3
	s_waitcnt lgkmcnt(0)
	s_add_u32 s2, s2, s0
	s_addc_u32 s3, s3, s1
	s_load_dwordx2 s[26:27], s[2:3], 0x0
	s_waitcnt lgkmcnt(0)
	v_cmp_lt_i64_e64 s[2:3], s[26:27], 0
	s_and_b64 vcc, exec, s[2:3]
	s_cbranch_vccnz .LBB107_61
; %bb.1:
	s_load_dword s7, s[4:5], 0x28
	s_load_dwordx2 s[2:3], s[4:5], 0x0
	s_load_dwordx4 s[16:19], s[4:5], 0x10
	v_lshlrev_b32_e32 v1, 1, v0
	s_waitcnt lgkmcnt(0)
	s_ashr_i32 s22, s7, 31
	s_add_u32 s0, s2, s0
	s_addc_u32 s1, s3, s1
	s_load_dwordx2 s[20:21], s[0:1], 0x0
	s_load_dwordx2 s[28:29], s[4:5], 0x20
	s_load_dwordx8 s[8:15], s[4:5], 0x30
	s_load_dwordx2 s[2:3], s[4:5], 0x58
	s_load_dword s23, s[4:5], 0x50
	s_waitcnt lgkmcnt(0)
	s_mul_i32 s0, s20, s22
	s_mul_hi_u32 s1, s20, s7
	s_mul_i32 s21, s21, s7
	s_add_i32 s0, s1, s0
	s_add_i32 s31, s0, s21
	s_lshr_b32 s0, s7, 31
	s_mul_i32 s30, s20, s7
	s_add_i32 s7, s7, s0
	s_ashr_i32 s20, s7, 1
	s_mul_i32 s7, s20, s23
	v_cmp_gt_i32_e32 vcc, s7, v0
	s_and_saveexec_b64 s[22:23], vcc
	s_cbranch_execz .LBB107_4
; %bb.2:
	s_lshl_b64 s[0:1], s[30:31], 1
	s_add_u32 s33, s28, s0
	s_addc_u32 s24, s29, s1
	s_load_dwordx2 s[0:1], s[4:5], 0x8
	s_mul_i32 s9, s6, s9
	s_mul_hi_u32 s25, s6, s8
	s_add_i32 s9, s25, s9
	s_load_dword s25, s[4:5], 0x8c
	s_mul_i32 s8, s6, s8
	s_ashr_i32 s21, s20, 31
	s_lshl_b64 s[8:9], s[8:9], 1
	s_waitcnt lgkmcnt(0)
	s_add_u32 s34, s0, s8
	s_addc_u32 s0, s1, s9
	s_abs_i32 s35, s20
	v_cvt_f32_u32_e32 v2, s35
	s_sub_i32 s1, 0, s35
	s_and_b32 s36, s25, 0xffff
	v_mov_b32_e32 v5, s24
	v_rcp_iflag_f32_e32 v2, v2
	s_lshl_b64 s[24:25], s[20:21], 1
	s_sub_i32 s37, 0, s20
	s_lshl_b32 s39, s36, 1
	v_mul_f32_e32 v2, 0x4f7ffffe, v2
	v_cvt_u32_f32_e32 v2, v2
	s_mov_b64 s[8:9], 0
	v_mov_b32_e32 v6, s25
	v_mov_b32_e32 v7, s0
	v_mul_lo_u32 v3, s1, v2
	v_mul_hi_u32 v3, v2, v3
	s_lshl_b32 s1, s20, 1
	v_add_u32_e32 v3, v2, v3
	s_sub_i32 s38, 0, s1
	s_movk_i32 s25, 0x7fff
	v_mov_b32_e32 v8, 0x7fc00000
	v_mov_b32_e32 v9, 0x7fc0
	s_mov_b32 s40, 0x5040100
	v_mov_b32_e32 v2, v1
	v_mov_b32_e32 v4, v0
.LBB107_3:                              ; =>This Inner Loop Header: Depth=1
	v_sub_u32_e32 v11, 0, v4
	v_max_i32_e32 v11, v4, v11
	v_mul_hi_u32 v12, v11, v3
	v_mul_lo_u32 v13, v12, s35
	v_sub_u32_e32 v11, v11, v13
	v_add_u32_e32 v14, 1, v12
	v_cmp_le_u32_e32 vcc, s35, v11
	v_subrev_u32_e32 v13, s35, v11
	v_cndmask_b32_e32 v12, v12, v14, vcc
	v_cndmask_b32_e32 v11, v11, v13, vcc
	v_ashrrev_i32_e32 v10, 31, v4
	v_add_u32_e32 v13, 1, v12
	v_cmp_le_u32_e32 vcc, s35, v11
	v_xor_b32_e32 v10, s21, v10
	v_cndmask_b32_e32 v11, v12, v13, vcc
	v_xor_b32_e32 v11, v11, v10
	v_sub_u32_e32 v14, v11, v10
	v_mad_u64_u32 v[10:11], s[0:1], s37, v14, v[4:5]
	v_ashrrev_i32_e32 v11, 31, v10
	v_lshlrev_b64 v[10:11], 1, v[10:11]
	v_ashrrev_i32_e32 v16, 31, v14
	v_add_co_u32_e32 v10, vcc, s33, v10
	v_mul_lo_u32 v17, v14, s11
	v_mad_u64_u32 v[12:13], s[0:1], v14, s10, 0
	v_mul_lo_u32 v16, v16, s10
	v_addc_co_u32_e32 v11, vcc, v5, v11, vcc
	v_add3_u32 v13, v13, v17, v16
	v_add_co_u32_e32 v16, vcc, s24, v10
	v_mad_u64_u32 v[14:15], s[0:1], s38, v14, v[2:3]
	v_lshlrev_b64 v[12:13], 1, v[12:13]
	v_addc_co_u32_e32 v17, vcc, v11, v6, vcc
	v_ashrrev_i32_e32 v15, 31, v14
	v_add_co_u32_e32 v12, vcc, s34, v12
	v_lshlrev_b64 v[14:15], 1, v[14:15]
	v_addc_co_u32_e32 v13, vcc, v7, v13, vcc
	global_load_ushort v18, v[10:11], off
	global_load_ushort v19, v[16:17], off
	v_add_co_u32_e32 v10, vcc, v12, v14
	v_addc_co_u32_e32 v11, vcc, v13, v15, vcc
	global_load_dword v12, v[10:11], off
	v_add_u32_e32 v4, s36, v4
	v_cmp_le_i32_e32 vcc, s7, v4
	s_or_b64 s[8:9], vcc, s[8:9]
	v_add_u32_e32 v2, s39, v2
	s_waitcnt vmcnt(2)
	v_lshlrev_b32_e32 v13, 16, v18
	s_waitcnt vmcnt(1)
	v_lshlrev_b32_e32 v15, 16, v19
	v_mov_b32_e32 v16, v13
	s_waitcnt vmcnt(0)
	v_and_b32_e32 v18, 0xffff0000, v12
	v_lshlrev_b32_e32 v14, 16, v12
	v_mov_b32_e32 v12, v15
	v_pk_mul_f32 v[12:13], v[12:13], v[18:19] op_sel_hi:[1,0]
	v_mov_b32_e32 v17, v14
	v_bfe_u32 v18, v12, 16, 1
	v_bfe_u32 v19, v13, 16, 1
	v_pk_mul_f32 v[14:15], v[16:17], v[14:15]
	v_add3_u32 v16, v13, v19, s25
	v_add3_u32 v17, v12, v18, s25
	v_bfe_u32 v18, v14, 16, 1
	v_bfe_u32 v19, v15, 16, 1
	v_and_b32_e32 v17, 0xffff0000, v17
	v_and_b32_e32 v16, 0xffff0000, v16
	v_add3_u32 v19, v15, v19, s25
	v_add3_u32 v18, v14, v18, s25
	v_cmp_o_f32_e32 vcc, v12, v12
	v_cmp_o_f32_e64 s[0:1], v13, v13
	v_and_b32_e32 v18, 0xffff0000, v18
	v_and_b32_e32 v19, 0xffff0000, v19
	v_cndmask_b32_e64 v13, v8, v16, s[0:1]
	v_cndmask_b32_e32 v12, v8, v17, vcc
	v_cmp_o_f32_e32 vcc, v14, v14
	v_cmp_o_f32_e64 s[0:1], v15, v15
	v_cndmask_b32_e64 v15, v8, v19, s[0:1]
	v_cndmask_b32_e32 v14, v8, v18, vcc
	v_pk_add_f32 v[16:17], v[14:15], v[12:13] neg_lo:[0,1] neg_hi:[0,1]
	v_pk_add_f32 v[12:13], v[14:15], v[12:13]
	v_bfe_u32 v12, v16, 16, 1
	v_bfe_u32 v14, v13, 16, 1
	v_add3_u32 v14, v13, v14, s25
	v_add3_u32 v12, v16, v12, s25
	v_lshrrev_b32_e32 v12, 16, v12
	v_lshrrev_b32_e32 v14, 16, v14
	v_cmp_o_f32_e32 vcc, v13, v13
	v_cmp_o_f32_e64 s[0:1], v16, v16
	v_cndmask_b32_e64 v12, v9, v12, s[0:1]
	v_cndmask_b32_e32 v13, v9, v14, vcc
	v_perm_b32 v12, v13, v12, s40
	global_store_dword v[10:11], v12, off
	s_andn2_b64 exec, exec, s[8:9]
	s_cbranch_execnz .LBB107_3
.LBB107_4:
	s_or_b64 exec, exec, s[22:23]
	s_load_dwordx4 s[8:11], s[4:5], 0x68
	s_waitcnt lgkmcnt(0)
	s_ashr_i32 s35, s11, 31
	s_mov_b32 s34, s11
	s_or_b64 s[0:1], s[26:27], s[34:35]
	s_mov_b32 s0, 0
	s_cmp_lg_u64 s[0:1], 0
	s_cbranch_scc0 .LBB107_62
; %bb.5:
	s_add_u32 s0, s34, s35
	s_mov_b32 s22, s35
	s_mov_b32 s23, s35
	s_addc_u32 s1, s35, s35
	s_xor_b64 s[36:37], s[0:1], s[22:23]
	v_cvt_f32_u32_e32 v2, s36
	v_cvt_f32_u32_e32 v3, s37
	s_sub_u32 s0, 0, s36
	s_subb_u32 s1, 0, s37
	v_madmk_f32 v2, v3, 0x4f800000, v2
	v_rcp_f32_e32 v2, v2
	v_mul_f32_e32 v2, 0x5f7ffffc, v2
	v_mul_f32_e32 v3, 0x2f800000, v2
	v_trunc_f32_e32 v3, v3
	v_madmk_f32 v2, v3, 0xcf800000, v2
	v_cvt_u32_f32_e32 v3, v3
	v_cvt_u32_f32_e32 v2, v2
	v_readfirstlane_b32 s7, v3
	v_readfirstlane_b32 s11, v2
	s_mul_i32 s21, s0, s7
	s_mul_hi_u32 s38, s0, s11
	s_mul_i32 s33, s1, s11
	s_add_i32 s21, s38, s21
	s_add_i32 s21, s21, s33
	s_mul_i32 s39, s0, s11
	s_mul_hi_u32 s33, s11, s21
	s_mul_i32 s38, s11, s21
	s_mul_hi_u32 s11, s11, s39
	s_add_u32 s11, s11, s38
	s_addc_u32 s33, 0, s33
	s_mul_hi_u32 s40, s7, s39
	s_mul_i32 s39, s7, s39
	s_add_u32 s11, s11, s39
	s_mul_hi_u32 s38, s7, s21
	s_addc_u32 s11, s33, s40
	s_addc_u32 s33, s38, 0
	s_mul_i32 s21, s7, s21
	s_add_u32 s11, s11, s21
	s_addc_u32 s21, 0, s33
	v_add_co_u32_e32 v2, vcc, s11, v2
	s_cmp_lg_u64 vcc, 0
	s_addc_u32 s7, s7, s21
	v_readfirstlane_b32 s21, v2
	s_mul_i32 s11, s0, s7
	s_mul_hi_u32 s33, s0, s21
	s_add_i32 s11, s33, s11
	s_mul_i32 s1, s1, s21
	s_add_i32 s11, s11, s1
	s_mul_i32 s0, s0, s21
	s_mul_hi_u32 s33, s7, s0
	s_mul_i32 s38, s7, s0
	s_mul_i32 s40, s21, s11
	s_mul_hi_u32 s0, s21, s0
	s_mul_hi_u32 s39, s21, s11
	s_add_u32 s0, s0, s40
	s_addc_u32 s21, 0, s39
	s_add_u32 s0, s0, s38
	s_mul_hi_u32 s1, s7, s11
	s_addc_u32 s0, s21, s33
	s_addc_u32 s1, s1, 0
	s_mul_i32 s11, s7, s11
	s_add_u32 s0, s0, s11
	s_addc_u32 s1, 0, s1
	v_add_co_u32_e32 v2, vcc, s0, v2
	s_cmp_lg_u64 vcc, 0
	s_addc_u32 s7, s7, s1
	s_ashr_i32 s38, s27, 31
	s_add_u32 s0, s26, s38
	s_mov_b32 s39, s38
	s_addc_u32 s1, s27, s38
	s_xor_b64 s[40:41], s[0:1], s[38:39]
	v_readfirstlane_b32 s11, v2
	s_mul_i32 s1, s40, s7
	s_mul_hi_u32 s21, s40, s11
	s_mul_hi_u32 s0, s40, s7
	s_add_u32 s1, s21, s1
	s_addc_u32 s0, 0, s0
	s_mul_hi_u32 s33, s41, s11
	s_mul_i32 s11, s41, s11
	s_add_u32 s1, s1, s11
	s_mul_hi_u32 s21, s41, s7
	s_addc_u32 s0, s0, s33
	s_addc_u32 s1, s21, 0
	s_mul_i32 s7, s41, s7
	s_add_u32 s7, s0, s7
	s_addc_u32 s11, 0, s1
	s_mul_i32 s0, s36, s11
	s_mul_hi_u32 s1, s36, s7
	s_add_i32 s0, s1, s0
	s_mul_i32 s1, s37, s7
	s_add_i32 s21, s0, s1
	s_mul_i32 s1, s36, s7
	v_mov_b32_e32 v2, s1
	s_sub_i32 s0, s41, s21
	v_sub_co_u32_e32 v2, vcc, s40, v2
	s_cmp_lg_u64 vcc, 0
	s_subb_u32 s33, s0, s37
	v_subrev_co_u32_e64 v3, s[0:1], s36, v2
	s_cmp_lg_u64 s[0:1], 0
	s_subb_u32 s0, s33, 0
	s_cmp_ge_u32 s0, s37
	v_readfirstlane_b32 s33, v3
	s_cselect_b32 s1, -1, 0
	s_cmp_ge_u32 s33, s36
	s_cselect_b32 s33, -1, 0
	s_cmp_eq_u32 s0, s37
	s_cselect_b32 s0, s33, s1
	s_add_u32 s1, s7, 1
	s_addc_u32 s33, s11, 0
	s_add_u32 s40, s7, 2
	s_addc_u32 s42, s11, 0
	s_cmp_lg_u32 s0, 0
	s_cselect_b32 s0, s40, s1
	s_cselect_b32 s1, s42, s33
	s_cmp_lg_u64 vcc, 0
	s_subb_u32 s21, s41, s21
	s_cmp_ge_u32 s21, s37
	v_readfirstlane_b32 s40, v2
	s_cselect_b32 s33, -1, 0
	s_cmp_ge_u32 s40, s36
	s_cselect_b32 s36, -1, 0
	s_cmp_eq_u32 s21, s37
	s_cselect_b32 s21, s36, s33
	s_cmp_lg_u32 s21, 0
	s_cselect_b32 s1, s1, s11
	s_cselect_b32 s0, s0, s7
	s_xor_b64 s[22:23], s[38:39], s[22:23]
	s_xor_b64 s[0:1], s[0:1], s[22:23]
	s_sub_u32 s22, s0, s22
	s_subb_u32 s23, s1, s23
	s_cbranch_execnz .LBB107_7
.LBB107_6:
	v_cvt_f32_u32_e32 v2, s34
	s_sub_i32 s0, 0, s34
	s_mov_b32 s23, 0
	v_rcp_iflag_f32_e32 v2, v2
	v_mul_f32_e32 v2, 0x4f7ffffe, v2
	v_cvt_u32_f32_e32 v2, v2
	v_readfirstlane_b32 s1, v2
	s_mul_i32 s0, s0, s1
	s_mul_hi_u32 s0, s1, s0
	s_add_i32 s1, s1, s0
	s_mul_hi_u32 s0, s26, s1
	s_mul_i32 s7, s0, s34
	s_sub_i32 s7, s26, s7
	s_add_i32 s1, s0, 1
	s_sub_i32 s11, s7, s34
	s_cmp_ge_u32 s7, s34
	s_cselect_b32 s0, s1, s0
	s_cselect_b32 s7, s11, s7
	s_add_i32 s1, s0, 1
	s_cmp_ge_u32 s7, s34
	s_cselect_b32 s22, s1, s0
.LBB107_7:
	s_mul_i32 s0, s22, s35
	s_mul_hi_u32 s1, s22, s34
	s_load_dwordx2 s[24:25], s[4:5], 0x78
	s_add_i32 s0, s1, s0
	s_mul_i32 s1, s23, s34
	s_add_i32 s0, s0, s1
	s_mul_i32 s1, s22, s34
	s_sub_u32 s7, s26, s1
	s_subb_u32 s11, s27, s0
	v_cmp_gt_i32_e32 vcc, s20, v0
	s_mul_hi_u32 s42, s22, s8
	s_mul_i32 s43, s23, s8
	s_mul_i32 s44, s22, s8
	s_mul_hi_u32 s33, s7, s9
	s_mul_i32 s11, s11, s9
	s_mul_i32 s23, s7, s9
	s_and_saveexec_b64 s[26:27], vcc
	s_cbranch_execz .LBB107_42
; %bb.8:
	s_ashr_i32 s0, s8, 31
	s_mul_i32 s0, s22, s0
	s_load_dword s1, s[4:5], 0x8c
	s_add_i32 s0, s42, s0
	s_add_i32 s34, s0, s43
	s_ashr_i32 s0, s9, 31
	s_mul_i32 s0, s7, s0
	s_add_i32 s0, s33, s0
	s_ashr_i32 s21, s20, 31
	s_add_i32 s35, s0, s11
	s_ashr_i32 s36, s10, 31
	s_waitcnt lgkmcnt(0)
	s_and_b32 s46, s1, 0xffff
	s_lshl_b64 s[0:1], s[30:31], 1
	s_add_u32 s0, s28, s0
	s_addc_u32 s1, s29, s1
	v_mov_b32_e32 v3, s1
	v_add_co_u32_e32 v2, vcc, s0, v1
	s_mul_i32 s0, s13, s6
	s_mul_hi_u32 s1, s12, s6
	s_add_i32 s1, s1, s0
	s_mul_i32 s0, s12, s6
	s_lshl_b32 s48, s46, 1
	s_lshl_b64 s[28:29], s[20:21], 1
	s_lshl_b64 s[0:1], s[0:1], 1
	s_add_u32 s0, s16, s0
	v_addc_co_u32_e32 v3, vcc, 0, v3, vcc
	v_lshlrev_b32_e32 v4, 2, v0
	s_addc_u32 s1, s17, s1
	s_lshl_b32 s21, s46, 2
	v_add_co_u32_e32 v4, vcc, s0, v4
	s_add_u32 s0, s44, s23
	v_mov_b32_e32 v5, s1
	s_addc_u32 s1, s34, s35
	s_add_u32 s12, s2, s10
	v_addc_co_u32_e32 v5, vcc, 0, v5, vcc
	s_addc_u32 s13, s3, s36
	v_add_co_u32_e32 v4, vcc, 2, v4
	s_add_u32 s0, s12, s0
	s_load_dword s45, s[24:25], 0x0
	v_addc_co_u32_e32 v5, vcc, 0, v5, vcc
	s_addc_u32 s1, s13, s1
	v_mov_b32_e32 v6, s1
	v_add_co_u32_e32 v1, vcc, s0, v1
	v_addc_co_u32_e32 v7, vcc, 0, v6, vcc
	s_mov_b32 s47, 0
	v_add_co_u32_e32 v6, vcc, 1, v1
	s_mov_b32 s49, s47
	v_addc_co_u32_e32 v7, vcc, 0, v7, vcc
	s_mov_b64 s[12:13], 0
	v_mov_b32_e32 v1, s29
	s_movk_i32 s29, 0x7fff
	v_mov_b32_e32 v12, 0x7fc00000
	v_mov_b32_e32 v13, 0x7fc0
	s_mov_b32 s50, 0x5040100
	v_mov_b32_e32 v9, 0
	s_movk_i32 s51, 0x80
	s_mov_b64 s[16:17], 0x7f800000
	s_mov_b64 s[30:31], 0x43e00001
	s_movk_i32 s52, 0x7a
	s_mov_b64 s[34:35], 0xffffff
	s_movk_i32 s53, 0x7f
	v_mov_b32_e32 v14, 0xffffff82
	v_mov_b32_e32 v15, 0x78
	;; [unrolled: 1-line block ×3, first 2 shown]
	s_branch .LBB107_10
.LBB107_9:                              ;   in Loop: Header=BB107_10 Depth=1
	s_or_b64 exec, exec, s[0:1]
	v_mov_b32_e32 v8, s47
	v_add_co_u32_e32 v2, vcc, s48, v2
	v_addc_co_u32_e32 v3, vcc, v3, v8, vcc
	v_mov_b32_e32 v10, s49
	v_add_co_u32_e32 v4, vcc, s21, v4
	v_add_u32_e32 v16, s46, v16
	v_addc_co_u32_e32 v5, vcc, v5, v10, vcc
	v_cmp_le_i32_e32 vcc, s20, v16
	global_store_byte v[6:7], v11, off
	s_or_b64 s[12:13], vcc, s[12:13]
	v_add_co_u32_e32 v6, vcc, s48, v6
	v_addc_co_u32_e32 v7, vcc, v7, v8, vcc
	s_andn2_b64 exec, exec, s[12:13]
	s_cbranch_execz .LBB107_42
.LBB107_10:                             ; =>This Inner Loop Header: Depth=1
	v_add_co_u32_e32 v10, vcc, s28, v2
	global_load_dword v17, v[4:5], off offset:-2
	global_load_ushort v8, v[2:3], off
	v_addc_co_u32_e32 v11, vcc, v3, v1, vcc
	global_load_ushort v10, v[10:11], off
	v_mov_b32_e32 v21, v9
	s_waitcnt vmcnt(2)
	v_lshlrev_b32_e32 v18, 16, v17
	s_waitcnt vmcnt(1)
	v_lshlrev_b32_e32 v11, 16, v8
	v_mov_b32_e32 v22, v11
	v_mov_b32_e32 v23, v18
	s_waitcnt vmcnt(0)
	v_lshlrev_b32_e32 v19, 16, v10
	v_mov_b32_e32 v10, v19
	v_pk_mul_f32 v[18:19], v[22:23], v[18:19]
	v_and_b32_e32 v8, 0xffff0000, v17
	v_bfe_u32 v17, v19, 16, 1
	v_pk_mul_f32 v[10:11], v[10:11], v[8:9] op_sel_hi:[1,0]
	v_bfe_u32 v8, v18, 16, 1
	v_add3_u32 v17, v19, v17, s29
	v_bfe_u32 v22, v11, 16, 1
	v_add3_u32 v8, v18, v8, s29
	v_and_b32_e32 v17, 0xffff0000, v17
	v_cmp_o_f32_e32 vcc, v19, v19
	v_bfe_u32 v20, v10, 16, 1
	v_add3_u32 v22, v11, v22, s29
	v_and_b32_e32 v8, 0xffff0000, v8
	v_cndmask_b32_e32 v19, v12, v17, vcc
	v_cmp_o_f32_e32 vcc, v18, v18
	v_add3_u32 v20, v10, v20, s29
	v_and_b32_e32 v22, 0xffff0000, v22
	v_cndmask_b32_e32 v18, v12, v8, vcc
	v_cmp_o_f32_e32 vcc, v11, v11
	v_and_b32_e32 v20, 0xffff0000, v20
	v_cndmask_b32_e32 v11, v12, v22, vcc
	v_cmp_o_f32_e32 vcc, v10, v10
	v_cndmask_b32_e32 v10, v12, v20, vcc
	v_pk_add_f32 v[22:23], v[18:19], v[10:11] neg_lo:[0,1] neg_hi:[0,1]
	v_pk_add_f32 v[10:11], v[18:19], v[10:11]
	v_bfe_u32 v8, v22, 16, 1
	v_bfe_u32 v10, v11, 16, 1
	v_add3_u32 v8, v22, v8, s29
	v_add3_u32 v10, v11, v10, s29
	v_lshrrev_b32_e32 v8, 16, v8
	v_cmp_o_f32_e32 vcc, v22, v22
	v_lshrrev_b32_e32 v10, 16, v10
	v_cndmask_b32_e32 v8, v13, v8, vcc
	v_cmp_o_f32_e32 vcc, v11, v11
	v_cndmask_b32_e32 v10, v13, v10, vcc
	v_perm_b32 v17, v10, v8, s50
	v_lshlrev_b32_e32 v8, 16, v8
	s_waitcnt lgkmcnt(0)
	v_div_scale_f32 v10, s[0:1], s45, s45, v8
	v_rcp_f32_e32 v11, v10
	v_div_scale_f32 v18, vcc, v8, s45, v8
	global_store_dword v[4:5], v17, off offset:-2
	v_fma_f32 v19, -v10, v11, 1.0
	v_fmac_f32_e32 v11, v19, v11
	v_mul_f32_e32 v19, v18, v11
	v_fma_f32 v20, -v10, v19, v18
	v_fmac_f32_e32 v19, v20, v11
	v_fma_f32 v10, -v10, v19, v18
	v_div_fmas_f32 v10, v10, v11, v19
	v_div_fixup_f32 v10, v10, s45, v8
	v_and_b32_sdwa v18, v10, s51 dst_sel:DWORD dst_unused:UNUSED_PAD src0_sel:BYTE_3 src1_sel:DWORD
	v_and_b32_e32 v20, 0x7f800000, v10
	v_and_b32_e32 v8, 0x7fffff, v10
	v_or_b32_e32 v11, 0x7e, v18
	v_cmp_ne_u64_e32 vcc, s[16:17], v[20:21]
	s_and_saveexec_b64 s[0:1], vcc
	s_xor_b64 s[36:37], exec, s[0:1]
	s_cbranch_execz .LBB107_24
; %bb.11:                               ;   in Loop: Header=BB107_10 Depth=1
	v_and_b32_e32 v20, 0x7fffffff, v10
	v_mov_b32_e32 v21, v9
	v_cmp_gt_u64_e32 vcc, s[30:31], v[20:21]
	s_and_saveexec_b64 s[0:1], vcc
	s_xor_b64 s[38:39], exec, s[0:1]
	s_cbranch_execz .LBB107_23
; %bb.12:                               ;   in Loop: Header=BB107_10 Depth=1
	v_cmp_ne_u32_e32 vcc, 0, v10
	v_mov_b32_e32 v11, 0
	s_and_saveexec_b64 s[40:41], vcc
	s_cbranch_execz .LBB107_22
; %bb.13:                               ;   in Loop: Header=BB107_10 Depth=1
	v_bfe_u32 v10, v10, 23, 8
	v_sub_u32_e32 v19, 0x79, v10
	v_cmp_gt_u32_e32 vcc, s52, v10
	v_cndmask_b32_e32 v19, 0, v19, vcc
	v_cmp_eq_u32_e32 vcc, 0, v10
	v_cndmask_b32_e32 v19, v19, v15, vcc
	v_add_u32_e32 v11, 0xffffff81, v10
	v_or_b32_e32 v20, 0x800000, v8
	v_add_u32_e32 v10, 20, v19
	v_cndmask_b32_e32 v21, v11, v14, vcc
	v_cndmask_b32_e32 v8, v20, v8, vcc
	v_lshlrev_b64 v[10:11], v10, -1
	v_not_b32_e32 v10, v10
	v_lshrrev_b64 v[24:25], v19, v[8:9]
	v_not_b32_e32 v11, v11
	v_and_b32_e32 v10, v8, v10
	v_add_u32_e32 v20, 19, v19
	v_lshrrev_b32_e32 v8, 23, v24
	v_and_b32_e32 v11, 0, v11
	v_lshlrev_b64 v[22:23], v20, 1
	v_add3_u32 v20, v19, v21, v8
	v_bfe_u32 v8, v24, 20, 1
	v_add_u32_e32 v8, -1, v8
	v_cmp_eq_u64_e32 vcc, v[10:11], v[22:23]
	v_cndmask_b32_e32 v8, 0, v8, vcc
	v_add_u32_e32 v8, v8, v24
	v_and_b32_e32 v8, 0xfffff, v8
	v_add_co_u32_e32 v10, vcc, v8, v24
	v_add_u32_e32 v19, 6, v20
	v_addc_co_u32_e32 v11, vcc, 0, v25, vcc
	v_cmp_ne_u32_e32 vcc, 0, v19
                                        ; implicit-def: $vgpr8
	s_and_saveexec_b64 s[0:1], vcc
	s_xor_b64 s[0:1], exec, s[0:1]
; %bb.14:                               ;   in Loop: Header=BB107_10 Depth=1
	v_add_u32_e32 v8, 7, v20
	v_cmp_lt_u64_e32 vcc, s[34:35], v[10:11]
	v_cndmask_b32_e32 v8, v19, v8, vcc
	v_cndmask_b32_e64 v19, 0, 1, vcc
	v_lshrrev_b64 v[10:11], v19, v[10:11]
; %bb.15:                               ;   in Loop: Header=BB107_10 Depth=1
	s_andn2_saveexec_b64 s[0:1], s[0:1]
; %bb.16:                               ;   in Loop: Header=BB107_10 Depth=1
	v_bfe_u32 v8, v10, 23, 1
; %bb.17:                               ;   in Loop: Header=BB107_10 Depth=1
	s_or_b64 exec, exec, s[0:1]
	v_lshrrev_b64 v[10:11], 20, v[10:11]
	v_cmp_gt_i32_e32 vcc, 16, v8
	v_cndmask_b32_e32 v11, 0, v11, vcc
	v_cndmask_b32_e32 v10, 7, v10, vcc
	v_cmp_ne_u32_e32 vcc, 0, v8
	v_cmp_ne_u64_e64 s[0:1], 0, v[10:11]
	s_or_b64 s[0:1], vcc, s[0:1]
                                        ; implicit-def: $vgpr11
	s_and_saveexec_b64 s[54:55], s[0:1]
	s_xor_b64 s[0:1], exec, s[54:55]
; %bb.18:                               ;   in Loop: Header=BB107_10 Depth=1
	v_min_i32_e32 v8, 15, v8
	v_lshl_or_b32 v8, v8, 3, v18
	v_and_or_b32 v11, v10, 7, v8
                                        ; implicit-def: $vgpr18
; %bb.19:                               ;   in Loop: Header=BB107_10 Depth=1
	s_andn2_saveexec_b64 s[0:1], s[0:1]
; %bb.20:                               ;   in Loop: Header=BB107_10 Depth=1
	v_mov_b32_e32 v11, v18
; %bb.21:                               ;   in Loop: Header=BB107_10 Depth=1
	s_or_b64 exec, exec, s[0:1]
.LBB107_22:                             ;   in Loop: Header=BB107_10 Depth=1
	s_or_b64 exec, exec, s[40:41]
.LBB107_23:                             ;   in Loop: Header=BB107_10 Depth=1
	s_andn2_saveexec_b64 s[0:1], s[38:39]
	s_or_b64 exec, exec, s[0:1]
                                        ; implicit-def: $vgpr10
.LBB107_24:                             ;   in Loop: Header=BB107_10 Depth=1
	s_andn2_saveexec_b64 s[0:1], s[36:37]
; %bb.25:                               ;   in Loop: Header=BB107_10 Depth=1
	v_or_b32_sdwa v10, v10, s53 dst_sel:DWORD dst_unused:UNUSED_PAD src0_sel:BYTE_3 src1_sel:DWORD
	v_cmp_eq_u64_e32 vcc, 0, v[8:9]
	v_cndmask_b32_e32 v11, v10, v11, vcc
; %bb.26:                               ;   in Loop: Header=BB107_10 Depth=1
	s_or_b64 exec, exec, s[0:1]
	v_and_b32_e32 v8, 0xffff0000, v17
	v_div_scale_f32 v10, s[0:1], s45, s45, v8
	v_rcp_f32_e32 v17, v10
	global_store_byte v[6:7], v11, off offset:-1
	v_fma_f32 v11, -v10, v17, 1.0
	v_fmac_f32_e32 v17, v11, v17
	v_div_scale_f32 v11, vcc, v8, s45, v8
	v_mul_f32_e32 v18, v11, v17
	v_fma_f32 v19, -v10, v18, v11
	v_fmac_f32_e32 v18, v19, v17
	v_fma_f32 v10, -v10, v18, v11
	v_div_fmas_f32 v10, v10, v17, v18
	v_div_fixup_f32 v10, v10, s45, v8
	v_and_b32_sdwa v17, v10, s51 dst_sel:DWORD dst_unused:UNUSED_PAD src0_sel:BYTE_3 src1_sel:DWORD
	v_and_b32_e32 v18, 0x7f800000, v10
	v_mov_b32_e32 v19, v9
	v_and_b32_e32 v8, 0x7fffff, v10
	v_or_b32_e32 v11, 0x7e, v17
	v_cmp_ne_u64_e32 vcc, s[16:17], v[18:19]
	s_and_saveexec_b64 s[0:1], vcc
	s_xor_b64 s[36:37], exec, s[0:1]
	s_cbranch_execz .LBB107_40
; %bb.27:                               ;   in Loop: Header=BB107_10 Depth=1
	v_and_b32_e32 v18, 0x7fffffff, v10
	v_mov_b32_e32 v19, v9
	v_cmp_gt_u64_e32 vcc, s[30:31], v[18:19]
	s_and_saveexec_b64 s[0:1], vcc
	s_xor_b64 s[38:39], exec, s[0:1]
	s_cbranch_execz .LBB107_39
; %bb.28:                               ;   in Loop: Header=BB107_10 Depth=1
	v_cmp_ne_u32_e32 vcc, 0, v10
	v_mov_b32_e32 v11, 0
	s_and_saveexec_b64 s[40:41], vcc
	s_cbranch_execz .LBB107_38
; %bb.29:                               ;   in Loop: Header=BB107_10 Depth=1
	v_bfe_u32 v10, v10, 23, 8
	v_sub_u32_e32 v18, 0x79, v10
	v_cmp_gt_u32_e32 vcc, s52, v10
	v_cndmask_b32_e32 v18, 0, v18, vcc
	v_cmp_eq_u32_e32 vcc, 0, v10
	v_cndmask_b32_e32 v18, v18, v15, vcc
	v_add_u32_e32 v11, 0xffffff81, v10
	v_or_b32_e32 v19, 0x800000, v8
	v_add_u32_e32 v10, 20, v18
	v_cndmask_b32_e32 v24, v11, v14, vcc
	v_cndmask_b32_e32 v8, v19, v8, vcc
	v_lshlrev_b64 v[10:11], v10, -1
	v_not_b32_e32 v10, v10
	v_lshrrev_b64 v[22:23], v18, v[8:9]
	v_not_b32_e32 v11, v11
	v_and_b32_e32 v10, v8, v10
	v_add_u32_e32 v19, 19, v18
	v_lshrrev_b32_e32 v8, 23, v22
	v_and_b32_e32 v11, 0, v11
	v_lshlrev_b64 v[20:21], v19, 1
	v_add3_u32 v19, v18, v24, v8
	v_bfe_u32 v8, v22, 20, 1
	v_add_u32_e32 v8, -1, v8
	v_cmp_eq_u64_e32 vcc, v[10:11], v[20:21]
	v_cndmask_b32_e32 v8, 0, v8, vcc
	v_add_u32_e32 v8, v8, v22
	v_and_b32_e32 v8, 0xfffff, v8
	v_add_co_u32_e32 v10, vcc, v8, v22
	v_add_u32_e32 v18, 6, v19
	v_addc_co_u32_e32 v11, vcc, 0, v23, vcc
	v_cmp_ne_u32_e32 vcc, 0, v18
                                        ; implicit-def: $vgpr8
	s_and_saveexec_b64 s[0:1], vcc
	s_xor_b64 s[0:1], exec, s[0:1]
; %bb.30:                               ;   in Loop: Header=BB107_10 Depth=1
	v_add_u32_e32 v8, 7, v19
	v_cmp_lt_u64_e32 vcc, s[34:35], v[10:11]
	v_cndmask_b32_e32 v8, v18, v8, vcc
	v_cndmask_b32_e64 v18, 0, 1, vcc
	v_lshrrev_b64 v[10:11], v18, v[10:11]
; %bb.31:                               ;   in Loop: Header=BB107_10 Depth=1
	s_andn2_saveexec_b64 s[0:1], s[0:1]
; %bb.32:                               ;   in Loop: Header=BB107_10 Depth=1
	v_bfe_u32 v8, v10, 23, 1
; %bb.33:                               ;   in Loop: Header=BB107_10 Depth=1
	s_or_b64 exec, exec, s[0:1]
	v_lshrrev_b64 v[10:11], 20, v[10:11]
	v_cmp_gt_i32_e32 vcc, 16, v8
	v_cndmask_b32_e32 v11, 0, v11, vcc
	v_cndmask_b32_e32 v10, 7, v10, vcc
	v_cmp_ne_u32_e32 vcc, 0, v8
	v_cmp_ne_u64_e64 s[0:1], 0, v[10:11]
	s_or_b64 s[0:1], vcc, s[0:1]
                                        ; implicit-def: $vgpr11
	s_and_saveexec_b64 s[54:55], s[0:1]
	s_xor_b64 s[0:1], exec, s[54:55]
; %bb.34:                               ;   in Loop: Header=BB107_10 Depth=1
	v_min_i32_e32 v8, 15, v8
	v_lshl_or_b32 v8, v8, 3, v17
	v_and_or_b32 v11, v10, 7, v8
                                        ; implicit-def: $vgpr17
; %bb.35:                               ;   in Loop: Header=BB107_10 Depth=1
	s_andn2_saveexec_b64 s[0:1], s[0:1]
; %bb.36:                               ;   in Loop: Header=BB107_10 Depth=1
	v_mov_b32_e32 v11, v17
; %bb.37:                               ;   in Loop: Header=BB107_10 Depth=1
	s_or_b64 exec, exec, s[0:1]
.LBB107_38:                             ;   in Loop: Header=BB107_10 Depth=1
	s_or_b64 exec, exec, s[40:41]
.LBB107_39:                             ;   in Loop: Header=BB107_10 Depth=1
	s_andn2_saveexec_b64 s[0:1], s[38:39]
	s_or_b64 exec, exec, s[0:1]
                                        ; implicit-def: $vgpr10
.LBB107_40:                             ;   in Loop: Header=BB107_10 Depth=1
	s_andn2_saveexec_b64 s[0:1], s[36:37]
	s_cbranch_execz .LBB107_9
; %bb.41:                               ;   in Loop: Header=BB107_10 Depth=1
	v_or_b32_sdwa v10, v10, s53 dst_sel:DWORD dst_unused:UNUSED_PAD src0_sel:BYTE_3 src1_sel:DWORD
	v_cmp_eq_u64_e32 vcc, 0, v[8:9]
	v_cndmask_b32_e32 v11, v10, v11, vcc
	s_branch .LBB107_9
.LBB107_42:
	s_or_b64 exec, exec, s[26:27]
	v_cmp_gt_i32_e32 vcc, s10, v0
	s_and_saveexec_b64 s[0:1], vcc
	s_cbranch_execz .LBB107_61
; %bb.43:
	s_mul_i32 s0, s6, s15
	s_mul_hi_u32 s1, s6, s14
	s_add_i32 s1, s1, s0
	s_mul_i32 s0, s6, s14
	s_lshl_b64 s[0:1], s[0:1], 1
	s_add_u32 s18, s18, s0
	s_addc_u32 s0, s19, s1
	s_ashr_i32 s1, s8, 31
	s_mul_i32 s1, s22, s1
	s_add_i32 s1, s42, s1
	s_add_i32 s1, s1, s43
	s_add_u32 s2, s2, s44
	s_addc_u32 s1, s3, s1
	s_ashr_i32 s3, s9, 31
	s_load_dword s4, s[4:5], 0x8c
	s_mul_i32 s7, s7, s3
	s_waitcnt lgkmcnt(0)
	s_load_dword s20, s[24:25], 0x0
	s_add_i32 s3, s33, s7
	s_add_i32 s3, s3, s11
	s_add_u32 s11, s2, s23
	s_addc_u32 s19, s1, s3
	s_and_b32 s21, s4, 0xffff
	s_mov_b64 s[2:3], 0
	v_mov_b32_e32 v6, s0
	v_mov_b32_e32 v3, 0
	s_movk_i32 s22, 0x80
	s_mov_b64 s[4:5], 0x7f800000
	s_mov_b64 s[6:7], 0x43e00001
	s_movk_i32 s23, 0x7a
	s_mov_b64 s[8:9], 0xffffff
	s_movk_i32 s24, 0x7f
	v_mov_b32_e32 v7, 0xffffff82
	v_mov_b32_e32 v8, 0x78
	s_branch .LBB107_45
.LBB107_44:                             ;   in Loop: Header=BB107_45 Depth=1
	s_or_b64 exec, exec, s[0:1]
	v_mov_b32_e32 v2, s19
	v_add_co_u32_e32 v10, vcc, s11, v0
	v_addc_co_u32_e32 v11, vcc, v2, v1, vcc
	v_add_u32_e32 v0, s21, v0
	v_cmp_le_i32_e32 vcc, s10, v0
	s_or_b64 s[2:3], vcc, s[2:3]
	global_store_byte v[10:11], v5, off
	s_andn2_b64 exec, exec, s[2:3]
	s_cbranch_execz .LBB107_61
.LBB107_45:                             ; =>This Inner Loop Header: Depth=1
	v_ashrrev_i32_e32 v1, 31, v0
	v_lshlrev_b64 v[4:5], 1, v[0:1]
	v_add_co_u32_e32 v4, vcc, s18, v4
	v_addc_co_u32_e32 v5, vcc, v6, v5, vcc
	global_load_ushort v2, v[4:5], off
	v_mov_b32_e32 v11, v3
	s_waitcnt vmcnt(0)
	v_lshlrev_b32_e32 v2, 16, v2
	s_waitcnt lgkmcnt(0)
	v_div_scale_f32 v4, s[0:1], s20, s20, v2
	v_rcp_f32_e32 v5, v4
	v_div_scale_f32 v9, vcc, v2, s20, v2
	v_fma_f32 v10, -v4, v5, 1.0
	v_fmac_f32_e32 v5, v10, v5
	v_mul_f32_e32 v10, v9, v5
	v_fma_f32 v12, -v4, v10, v9
	v_fmac_f32_e32 v10, v12, v5
	v_fma_f32 v4, -v4, v10, v9
	v_div_fmas_f32 v4, v4, v5, v10
	v_div_fixup_f32 v4, v4, s20, v2
	v_and_b32_sdwa v9, v4, s22 dst_sel:DWORD dst_unused:UNUSED_PAD src0_sel:BYTE_3 src1_sel:DWORD
	v_and_b32_e32 v10, 0x7f800000, v4
	v_and_b32_e32 v2, 0x7fffff, v4
	v_or_b32_e32 v5, 0x7e, v9
	v_cmp_ne_u64_e32 vcc, s[4:5], v[10:11]
	s_and_saveexec_b64 s[0:1], vcc
	s_xor_b64 s[12:13], exec, s[0:1]
	s_cbranch_execz .LBB107_59
; %bb.46:                               ;   in Loop: Header=BB107_45 Depth=1
	v_and_b32_e32 v10, 0x7fffffff, v4
	v_mov_b32_e32 v11, v3
	v_cmp_gt_u64_e32 vcc, s[6:7], v[10:11]
	s_and_saveexec_b64 s[0:1], vcc
	s_xor_b64 s[14:15], exec, s[0:1]
	s_cbranch_execz .LBB107_58
; %bb.47:                               ;   in Loop: Header=BB107_45 Depth=1
	v_cmp_ne_u32_e32 vcc, 0, v4
	v_mov_b32_e32 v5, 0
	s_and_saveexec_b64 s[16:17], vcc
	s_cbranch_execz .LBB107_57
; %bb.48:                               ;   in Loop: Header=BB107_45 Depth=1
	v_bfe_u32 v4, v4, 23, 8
	v_sub_u32_e32 v10, 0x79, v4
	v_cmp_gt_u32_e32 vcc, s23, v4
	v_cndmask_b32_e32 v10, 0, v10, vcc
	v_cmp_eq_u32_e32 vcc, 0, v4
	v_cndmask_b32_e32 v10, v10, v8, vcc
	v_add_u32_e32 v5, 0xffffff81, v4
	v_or_b32_e32 v11, 0x800000, v2
	v_add_u32_e32 v4, 20, v10
	v_cndmask_b32_e32 v16, v5, v7, vcc
	v_cndmask_b32_e32 v2, v11, v2, vcc
	v_lshlrev_b64 v[4:5], v4, -1
	v_not_b32_e32 v4, v4
	v_lshrrev_b64 v[14:15], v10, v[2:3]
	v_not_b32_e32 v5, v5
	v_and_b32_e32 v4, v2, v4
	v_add_u32_e32 v11, 19, v10
	v_lshrrev_b32_e32 v2, 23, v14
	v_and_b32_e32 v5, 0, v5
	v_lshlrev_b64 v[12:13], v11, 1
	v_add3_u32 v11, v10, v16, v2
	v_bfe_u32 v2, v14, 20, 1
	v_add_u32_e32 v2, -1, v2
	v_cmp_eq_u64_e32 vcc, v[4:5], v[12:13]
	v_cndmask_b32_e32 v2, 0, v2, vcc
	v_add_u32_e32 v2, v2, v14
	v_and_b32_e32 v2, 0xfffff, v2
	v_add_co_u32_e32 v4, vcc, v2, v14
	v_add_u32_e32 v10, 6, v11
	v_addc_co_u32_e32 v5, vcc, 0, v15, vcc
	v_cmp_ne_u32_e32 vcc, 0, v10
                                        ; implicit-def: $vgpr2
	s_and_saveexec_b64 s[0:1], vcc
	s_xor_b64 s[0:1], exec, s[0:1]
; %bb.49:                               ;   in Loop: Header=BB107_45 Depth=1
	v_add_u32_e32 v2, 7, v11
	v_cmp_lt_u64_e32 vcc, s[8:9], v[4:5]
	v_cndmask_b32_e32 v2, v10, v2, vcc
	v_cndmask_b32_e64 v10, 0, 1, vcc
	v_lshrrev_b64 v[4:5], v10, v[4:5]
; %bb.50:                               ;   in Loop: Header=BB107_45 Depth=1
	s_andn2_saveexec_b64 s[0:1], s[0:1]
; %bb.51:                               ;   in Loop: Header=BB107_45 Depth=1
	v_bfe_u32 v2, v4, 23, 1
; %bb.52:                               ;   in Loop: Header=BB107_45 Depth=1
	s_or_b64 exec, exec, s[0:1]
	v_lshrrev_b64 v[4:5], 20, v[4:5]
	v_cmp_gt_i32_e32 vcc, 16, v2
	v_cndmask_b32_e32 v5, 0, v5, vcc
	v_cndmask_b32_e32 v4, 7, v4, vcc
	v_cmp_ne_u32_e32 vcc, 0, v2
	v_cmp_ne_u64_e64 s[0:1], 0, v[4:5]
	s_or_b64 s[0:1], vcc, s[0:1]
                                        ; implicit-def: $vgpr5
	s_and_saveexec_b64 s[26:27], s[0:1]
	s_xor_b64 s[0:1], exec, s[26:27]
; %bb.53:                               ;   in Loop: Header=BB107_45 Depth=1
	v_min_i32_e32 v2, 15, v2
	v_lshl_or_b32 v2, v2, 3, v9
	v_and_or_b32 v5, v4, 7, v2
                                        ; implicit-def: $vgpr9
; %bb.54:                               ;   in Loop: Header=BB107_45 Depth=1
	s_andn2_saveexec_b64 s[0:1], s[0:1]
; %bb.55:                               ;   in Loop: Header=BB107_45 Depth=1
	v_mov_b32_e32 v5, v9
; %bb.56:                               ;   in Loop: Header=BB107_45 Depth=1
	s_or_b64 exec, exec, s[0:1]
.LBB107_57:                             ;   in Loop: Header=BB107_45 Depth=1
	s_or_b64 exec, exec, s[16:17]
.LBB107_58:                             ;   in Loop: Header=BB107_45 Depth=1
	s_andn2_saveexec_b64 s[0:1], s[14:15]
	s_or_b64 exec, exec, s[0:1]
                                        ; implicit-def: $vgpr4
.LBB107_59:                             ;   in Loop: Header=BB107_45 Depth=1
	s_andn2_saveexec_b64 s[0:1], s[12:13]
	s_cbranch_execz .LBB107_44
; %bb.60:                               ;   in Loop: Header=BB107_45 Depth=1
	v_or_b32_sdwa v4, v4, s24 dst_sel:DWORD dst_unused:UNUSED_PAD src0_sel:BYTE_3 src1_sel:DWORD
	v_cmp_eq_u64_e32 vcc, 0, v[2:3]
	v_cndmask_b32_e32 v5, v4, v5, vcc
	s_branch .LBB107_44
.LBB107_61:
	s_endpgm
.LBB107_62:
                                        ; implicit-def: $sgpr22_sgpr23
	s_branch .LBB107_6
	.section	.rodata,"a",@progbits
	.p2align	6, 0x0
	.amdhsa_kernel _ZN4vllm38concat_and_cache_mla_rope_fused_kernelIN3c108BFloat16ES2_Lb0E14__hip_bfloat16hLNS_18Fp8KVCacheDataTypeE1EEEvPKlPT_S8_PKS7_PKT0_illlliPT3_S6_iiiiPKf
		.amdhsa_group_segment_fixed_size 0
		.amdhsa_private_segment_fixed_size 0
		.amdhsa_kernarg_size 384
		.amdhsa_user_sgpr_count 6
		.amdhsa_user_sgpr_private_segment_buffer 1
		.amdhsa_user_sgpr_dispatch_ptr 0
		.amdhsa_user_sgpr_queue_ptr 0
		.amdhsa_user_sgpr_kernarg_segment_ptr 1
		.amdhsa_user_sgpr_dispatch_id 0
		.amdhsa_user_sgpr_flat_scratch_init 0
		.amdhsa_user_sgpr_kernarg_preload_length 0
		.amdhsa_user_sgpr_kernarg_preload_offset 0
		.amdhsa_user_sgpr_private_segment_size 0
		.amdhsa_uses_dynamic_stack 0
		.amdhsa_system_sgpr_private_segment_wavefront_offset 0
		.amdhsa_system_sgpr_workgroup_id_x 1
		.amdhsa_system_sgpr_workgroup_id_y 0
		.amdhsa_system_sgpr_workgroup_id_z 0
		.amdhsa_system_sgpr_workgroup_info 0
		.amdhsa_system_vgpr_workitem_id 0
		.amdhsa_next_free_vgpr 26
		.amdhsa_next_free_sgpr 56
		.amdhsa_accum_offset 28
		.amdhsa_reserve_vcc 1
		.amdhsa_reserve_flat_scratch 0
		.amdhsa_float_round_mode_32 0
		.amdhsa_float_round_mode_16_64 0
		.amdhsa_float_denorm_mode_32 3
		.amdhsa_float_denorm_mode_16_64 3
		.amdhsa_dx10_clamp 1
		.amdhsa_ieee_mode 1
		.amdhsa_fp16_overflow 0
		.amdhsa_tg_split 0
		.amdhsa_exception_fp_ieee_invalid_op 0
		.amdhsa_exception_fp_denorm_src 0
		.amdhsa_exception_fp_ieee_div_zero 0
		.amdhsa_exception_fp_ieee_overflow 0
		.amdhsa_exception_fp_ieee_underflow 0
		.amdhsa_exception_fp_ieee_inexact 0
		.amdhsa_exception_int_div_zero 0
	.end_amdhsa_kernel
	.section	.text._ZN4vllm38concat_and_cache_mla_rope_fused_kernelIN3c108BFloat16ES2_Lb0E14__hip_bfloat16hLNS_18Fp8KVCacheDataTypeE1EEEvPKlPT_S8_PKS7_PKT0_illlliPT3_S6_iiiiPKf,"axG",@progbits,_ZN4vllm38concat_and_cache_mla_rope_fused_kernelIN3c108BFloat16ES2_Lb0E14__hip_bfloat16hLNS_18Fp8KVCacheDataTypeE1EEEvPKlPT_S8_PKS7_PKT0_illlliPT3_S6_iiiiPKf,comdat
.Lfunc_end107:
	.size	_ZN4vllm38concat_and_cache_mla_rope_fused_kernelIN3c108BFloat16ES2_Lb0E14__hip_bfloat16hLNS_18Fp8KVCacheDataTypeE1EEEvPKlPT_S8_PKS7_PKT0_illlliPT3_S6_iiiiPKf, .Lfunc_end107-_ZN4vllm38concat_and_cache_mla_rope_fused_kernelIN3c108BFloat16ES2_Lb0E14__hip_bfloat16hLNS_18Fp8KVCacheDataTypeE1EEEvPKlPT_S8_PKS7_PKT0_illlliPT3_S6_iiiiPKf
                                        ; -- End function
	.section	.AMDGPU.csdata,"",@progbits
; Kernel info:
; codeLenInByte = 4164
; NumSgprs: 60
; NumVgprs: 26
; NumAgprs: 0
; TotalNumVgprs: 26
; ScratchSize: 0
; MemoryBound: 0
; FloatMode: 240
; IeeeMode: 1
; LDSByteSize: 0 bytes/workgroup (compile time only)
; SGPRBlocks: 7
; VGPRBlocks: 3
; NumSGPRsForWavesPerEU: 60
; NumVGPRsForWavesPerEU: 26
; AccumOffset: 28
; Occupancy: 8
; WaveLimiterHint : 1
; COMPUTE_PGM_RSRC2:SCRATCH_EN: 0
; COMPUTE_PGM_RSRC2:USER_SGPR: 6
; COMPUTE_PGM_RSRC2:TRAP_HANDLER: 0
; COMPUTE_PGM_RSRC2:TGID_X_EN: 1
; COMPUTE_PGM_RSRC2:TGID_Y_EN: 0
; COMPUTE_PGM_RSRC2:TGID_Z_EN: 0
; COMPUTE_PGM_RSRC2:TIDIG_COMP_CNT: 0
; COMPUTE_PGM_RSRC3_GFX90A:ACCUM_OFFSET: 6
; COMPUTE_PGM_RSRC3_GFX90A:TG_SPLIT: 0
	.text
	.p2alignl 6, 3212836864
	.fill 256, 4, 3212836864
	.type	__hip_cuid_fd56ba54644d257,@object ; @__hip_cuid_fd56ba54644d257
	.section	.bss,"aw",@nobits
	.globl	__hip_cuid_fd56ba54644d257
__hip_cuid_fd56ba54644d257:
	.byte	0                               ; 0x0
	.size	__hip_cuid_fd56ba54644d257, 1

	.ident	"AMD clang version 19.0.0git (https://github.com/RadeonOpenCompute/llvm-project roc-6.4.0 25133 c7fe45cf4b819c5991fe208aaa96edf142730f1d)"
	.section	".note.GNU-stack","",@progbits
	.addrsig
	.addrsig_sym __hip_cuid_fd56ba54644d257
	.amdgpu_metadata
---
amdhsa.kernels:
  - .agpr_count:     0
    .args:
      - .actual_access:  read_only
        .address_space:  global
        .offset:         0
        .size:           8
        .value_kind:     global_buffer
      - .address_space:  global
        .offset:         8
        .size:           8
        .value_kind:     global_buffer
      - .address_space:  global
        .offset:         16
        .size:           8
        .value_kind:     global_buffer
      - .actual_access:  read_only
        .address_space:  global
        .offset:         24
        .size:           8
        .value_kind:     global_buffer
      - .actual_access:  read_only
        .address_space:  global
        .offset:         32
        .size:           8
        .value_kind:     global_buffer
      - .offset:         40
        .size:           4
        .value_kind:     by_value
      - .offset:         48
        .size:           8
        .value_kind:     by_value
      - .offset:         56
        .size:           8
        .value_kind:     by_value
      - .offset:         64
        .size:           8
        .value_kind:     by_value
      - .offset:         72
        .size:           8
        .value_kind:     by_value
      - .offset:         80
        .size:           4
        .value_kind:     by_value
      - .actual_access:  write_only
        .address_space:  global
        .offset:         88
        .size:           8
        .value_kind:     global_buffer
      - .actual_access:  read_only
        .address_space:  global
        .offset:         96
        .size:           8
        .value_kind:     global_buffer
      - .offset:         104
        .size:           4
        .value_kind:     by_value
      - .offset:         108
        .size:           4
        .value_kind:     by_value
      - .offset:         112
        .size:           4
        .value_kind:     by_value
      - .offset:         116
        .size:           4
        .value_kind:     by_value
      - .address_space:  global
        .offset:         120
        .size:           8
        .value_kind:     global_buffer
      - .offset:         128
        .size:           4
        .value_kind:     hidden_block_count_x
      - .offset:         132
        .size:           4
        .value_kind:     hidden_block_count_y
      - .offset:         136
        .size:           4
        .value_kind:     hidden_block_count_z
      - .offset:         140
        .size:           2
        .value_kind:     hidden_group_size_x
      - .offset:         142
        .size:           2
        .value_kind:     hidden_group_size_y
      - .offset:         144
        .size:           2
        .value_kind:     hidden_group_size_z
      - .offset:         146
        .size:           2
        .value_kind:     hidden_remainder_x
      - .offset:         148
        .size:           2
        .value_kind:     hidden_remainder_y
      - .offset:         150
        .size:           2
        .value_kind:     hidden_remainder_z
      - .offset:         168
        .size:           8
        .value_kind:     hidden_global_offset_x
      - .offset:         176
        .size:           8
        .value_kind:     hidden_global_offset_y
      - .offset:         184
        .size:           8
        .value_kind:     hidden_global_offset_z
      - .offset:         192
        .size:           2
        .value_kind:     hidden_grid_dims
    .group_segment_fixed_size: 0
    .kernarg_segment_align: 8
    .kernarg_segment_size: 384
    .language:       OpenCL C
    .language_version:
      - 2
      - 0
    .max_flat_workgroup_size: 1024
    .name:           _ZN4vllm38concat_and_cache_mla_rope_fused_kernelIffLb1EffLNS_18Fp8KVCacheDataTypeE0EEEvPKlPT_S5_PKS4_PKT0_illlliPT3_S3_iiiiPKf
    .private_segment_fixed_size: 0
    .sgpr_count:     51
    .sgpr_spill_count: 0
    .symbol:         _ZN4vllm38concat_and_cache_mla_rope_fused_kernelIffLb1EffLNS_18Fp8KVCacheDataTypeE0EEEvPKlPT_S5_PKS4_PKT0_illlliPT3_S3_iiiiPKf.kd
    .uniform_work_group_size: 1
    .uses_dynamic_stack: false
    .vgpr_count:     16
    .vgpr_spill_count: 0
    .wavefront_size: 64
  - .agpr_count:     0
    .args:
      - .actual_access:  read_only
        .address_space:  global
        .offset:         0
        .size:           8
        .value_kind:     global_buffer
      - .address_space:  global
        .offset:         8
        .size:           8
        .value_kind:     global_buffer
      - .address_space:  global
        .offset:         16
        .size:           8
        .value_kind:     global_buffer
      - .actual_access:  read_only
        .address_space:  global
        .offset:         24
        .size:           8
        .value_kind:     global_buffer
      - .actual_access:  read_only
        .address_space:  global
        .offset:         32
        .size:           8
        .value_kind:     global_buffer
      - .offset:         40
        .size:           4
        .value_kind:     by_value
      - .offset:         48
        .size:           8
        .value_kind:     by_value
      - .offset:         56
        .size:           8
        .value_kind:     by_value
      - .offset:         64
        .size:           8
        .value_kind:     by_value
      - .offset:         72
        .size:           8
        .value_kind:     by_value
      - .offset:         80
        .size:           4
        .value_kind:     by_value
      - .actual_access:  write_only
        .address_space:  global
        .offset:         88
        .size:           8
        .value_kind:     global_buffer
      - .actual_access:  read_only
        .address_space:  global
        .offset:         96
        .size:           8
        .value_kind:     global_buffer
      - .offset:         104
        .size:           4
        .value_kind:     by_value
      - .offset:         108
        .size:           4
        .value_kind:     by_value
      - .offset:         112
        .size:           4
        .value_kind:     by_value
      - .offset:         116
        .size:           4
        .value_kind:     by_value
      - .address_space:  global
        .offset:         120
        .size:           8
        .value_kind:     global_buffer
      - .offset:         128
        .size:           4
        .value_kind:     hidden_block_count_x
      - .offset:         132
        .size:           4
        .value_kind:     hidden_block_count_y
      - .offset:         136
        .size:           4
        .value_kind:     hidden_block_count_z
      - .offset:         140
        .size:           2
        .value_kind:     hidden_group_size_x
      - .offset:         142
        .size:           2
        .value_kind:     hidden_group_size_y
      - .offset:         144
        .size:           2
        .value_kind:     hidden_group_size_z
      - .offset:         146
        .size:           2
        .value_kind:     hidden_remainder_x
      - .offset:         148
        .size:           2
        .value_kind:     hidden_remainder_y
      - .offset:         150
        .size:           2
        .value_kind:     hidden_remainder_z
      - .offset:         168
        .size:           8
        .value_kind:     hidden_global_offset_x
      - .offset:         176
        .size:           8
        .value_kind:     hidden_global_offset_y
      - .offset:         184
        .size:           8
        .value_kind:     hidden_global_offset_z
      - .offset:         192
        .size:           2
        .value_kind:     hidden_grid_dims
    .group_segment_fixed_size: 0
    .kernarg_segment_align: 8
    .kernarg_segment_size: 384
    .language:       OpenCL C
    .language_version:
      - 2
      - 0
    .max_flat_workgroup_size: 1024
    .name:           _ZN4vllm38concat_and_cache_mla_rope_fused_kernelIffLb0EffLNS_18Fp8KVCacheDataTypeE0EEEvPKlPT_S5_PKS4_PKT0_illlliPT3_S3_iiiiPKf
    .private_segment_fixed_size: 0
    .sgpr_count:     47
    .sgpr_spill_count: 0
    .symbol:         _ZN4vllm38concat_and_cache_mla_rope_fused_kernelIffLb0EffLNS_18Fp8KVCacheDataTypeE0EEEvPKlPT_S5_PKS4_PKT0_illlliPT3_S3_iiiiPKf.kd
    .uniform_work_group_size: 1
    .uses_dynamic_stack: false
    .vgpr_count:     22
    .vgpr_spill_count: 0
    .wavefront_size: 64
  - .agpr_count:     0
    .args:
      - .actual_access:  read_only
        .address_space:  global
        .offset:         0
        .size:           8
        .value_kind:     global_buffer
      - .address_space:  global
        .offset:         8
        .size:           8
        .value_kind:     global_buffer
      - .address_space:  global
        .offset:         16
        .size:           8
        .value_kind:     global_buffer
      - .actual_access:  read_only
        .address_space:  global
        .offset:         24
        .size:           8
        .value_kind:     global_buffer
      - .actual_access:  read_only
        .address_space:  global
        .offset:         32
        .size:           8
        .value_kind:     global_buffer
      - .offset:         40
        .size:           4
        .value_kind:     by_value
      - .offset:         48
        .size:           8
        .value_kind:     by_value
      - .offset:         56
        .size:           8
        .value_kind:     by_value
      - .offset:         64
        .size:           8
        .value_kind:     by_value
      - .offset:         72
        .size:           8
        .value_kind:     by_value
      - .offset:         80
        .size:           4
        .value_kind:     by_value
      - .actual_access:  write_only
        .address_space:  global
        .offset:         88
        .size:           8
        .value_kind:     global_buffer
      - .actual_access:  read_only
        .address_space:  global
        .offset:         96
        .size:           8
        .value_kind:     global_buffer
      - .offset:         104
        .size:           4
        .value_kind:     by_value
      - .offset:         108
        .size:           4
        .value_kind:     by_value
      - .offset:         112
        .size:           4
        .value_kind:     by_value
      - .offset:         116
        .size:           4
        .value_kind:     by_value
      - .address_space:  global
        .offset:         120
        .size:           8
        .value_kind:     global_buffer
      - .offset:         128
        .size:           4
        .value_kind:     hidden_block_count_x
      - .offset:         132
        .size:           4
        .value_kind:     hidden_block_count_y
      - .offset:         136
        .size:           4
        .value_kind:     hidden_block_count_z
      - .offset:         140
        .size:           2
        .value_kind:     hidden_group_size_x
      - .offset:         142
        .size:           2
        .value_kind:     hidden_group_size_y
      - .offset:         144
        .size:           2
        .value_kind:     hidden_group_size_z
      - .offset:         146
        .size:           2
        .value_kind:     hidden_remainder_x
      - .offset:         148
        .size:           2
        .value_kind:     hidden_remainder_y
      - .offset:         150
        .size:           2
        .value_kind:     hidden_remainder_z
      - .offset:         168
        .size:           8
        .value_kind:     hidden_global_offset_x
      - .offset:         176
        .size:           8
        .value_kind:     hidden_global_offset_y
      - .offset:         184
        .size:           8
        .value_kind:     hidden_global_offset_z
      - .offset:         192
        .size:           2
        .value_kind:     hidden_grid_dims
    .group_segment_fixed_size: 0
    .kernarg_segment_align: 8
    .kernarg_segment_size: 384
    .language:       OpenCL C
    .language_version:
      - 2
      - 0
    .max_flat_workgroup_size: 1024
    .name:           _ZN4vllm38concat_and_cache_mla_rope_fused_kernelIfN3c104HalfELb1EffLNS_18Fp8KVCacheDataTypeE0EEEvPKlPT_S7_PKS6_PKT0_illlliPT3_S5_iiiiPKf
    .private_segment_fixed_size: 0
    .sgpr_count:     51
    .sgpr_spill_count: 0
    .symbol:         _ZN4vllm38concat_and_cache_mla_rope_fused_kernelIfN3c104HalfELb1EffLNS_18Fp8KVCacheDataTypeE0EEEvPKlPT_S7_PKS6_PKT0_illlliPT3_S5_iiiiPKf.kd
    .uniform_work_group_size: 1
    .uses_dynamic_stack: false
    .vgpr_count:     21
    .vgpr_spill_count: 0
    .wavefront_size: 64
  - .agpr_count:     0
    .args:
      - .actual_access:  read_only
        .address_space:  global
        .offset:         0
        .size:           8
        .value_kind:     global_buffer
      - .address_space:  global
        .offset:         8
        .size:           8
        .value_kind:     global_buffer
      - .address_space:  global
        .offset:         16
        .size:           8
        .value_kind:     global_buffer
      - .actual_access:  read_only
        .address_space:  global
        .offset:         24
        .size:           8
        .value_kind:     global_buffer
      - .actual_access:  read_only
        .address_space:  global
        .offset:         32
        .size:           8
        .value_kind:     global_buffer
      - .offset:         40
        .size:           4
        .value_kind:     by_value
      - .offset:         48
        .size:           8
        .value_kind:     by_value
      - .offset:         56
        .size:           8
        .value_kind:     by_value
      - .offset:         64
        .size:           8
        .value_kind:     by_value
      - .offset:         72
        .size:           8
        .value_kind:     by_value
      - .offset:         80
        .size:           4
        .value_kind:     by_value
      - .actual_access:  write_only
        .address_space:  global
        .offset:         88
        .size:           8
        .value_kind:     global_buffer
      - .actual_access:  read_only
        .address_space:  global
        .offset:         96
        .size:           8
        .value_kind:     global_buffer
      - .offset:         104
        .size:           4
        .value_kind:     by_value
      - .offset:         108
        .size:           4
        .value_kind:     by_value
      - .offset:         112
        .size:           4
        .value_kind:     by_value
      - .offset:         116
        .size:           4
        .value_kind:     by_value
      - .address_space:  global
        .offset:         120
        .size:           8
        .value_kind:     global_buffer
      - .offset:         128
        .size:           4
        .value_kind:     hidden_block_count_x
      - .offset:         132
        .size:           4
        .value_kind:     hidden_block_count_y
      - .offset:         136
        .size:           4
        .value_kind:     hidden_block_count_z
      - .offset:         140
        .size:           2
        .value_kind:     hidden_group_size_x
      - .offset:         142
        .size:           2
        .value_kind:     hidden_group_size_y
      - .offset:         144
        .size:           2
        .value_kind:     hidden_group_size_z
      - .offset:         146
        .size:           2
        .value_kind:     hidden_remainder_x
      - .offset:         148
        .size:           2
        .value_kind:     hidden_remainder_y
      - .offset:         150
        .size:           2
        .value_kind:     hidden_remainder_z
      - .offset:         168
        .size:           8
        .value_kind:     hidden_global_offset_x
      - .offset:         176
        .size:           8
        .value_kind:     hidden_global_offset_y
      - .offset:         184
        .size:           8
        .value_kind:     hidden_global_offset_z
      - .offset:         192
        .size:           2
        .value_kind:     hidden_grid_dims
    .group_segment_fixed_size: 0
    .kernarg_segment_align: 8
    .kernarg_segment_size: 384
    .language:       OpenCL C
    .language_version:
      - 2
      - 0
    .max_flat_workgroup_size: 1024
    .name:           _ZN4vllm38concat_and_cache_mla_rope_fused_kernelIfN3c104HalfELb0EffLNS_18Fp8KVCacheDataTypeE0EEEvPKlPT_S7_PKS6_PKT0_illlliPT3_S5_iiiiPKf
    .private_segment_fixed_size: 0
    .sgpr_count:     47
    .sgpr_spill_count: 0
    .symbol:         _ZN4vllm38concat_and_cache_mla_rope_fused_kernelIfN3c104HalfELb0EffLNS_18Fp8KVCacheDataTypeE0EEEvPKlPT_S7_PKS6_PKT0_illlliPT3_S5_iiiiPKf.kd
    .uniform_work_group_size: 1
    .uses_dynamic_stack: false
    .vgpr_count:     22
    .vgpr_spill_count: 0
    .wavefront_size: 64
  - .agpr_count:     0
    .args:
      - .actual_access:  read_only
        .address_space:  global
        .offset:         0
        .size:           8
        .value_kind:     global_buffer
      - .address_space:  global
        .offset:         8
        .size:           8
        .value_kind:     global_buffer
      - .address_space:  global
        .offset:         16
        .size:           8
        .value_kind:     global_buffer
      - .actual_access:  read_only
        .address_space:  global
        .offset:         24
        .size:           8
        .value_kind:     global_buffer
      - .actual_access:  read_only
        .address_space:  global
        .offset:         32
        .size:           8
        .value_kind:     global_buffer
      - .offset:         40
        .size:           4
        .value_kind:     by_value
      - .offset:         48
        .size:           8
        .value_kind:     by_value
      - .offset:         56
        .size:           8
        .value_kind:     by_value
      - .offset:         64
        .size:           8
        .value_kind:     by_value
      - .offset:         72
        .size:           8
        .value_kind:     by_value
      - .offset:         80
        .size:           4
        .value_kind:     by_value
      - .actual_access:  write_only
        .address_space:  global
        .offset:         88
        .size:           8
        .value_kind:     global_buffer
      - .actual_access:  read_only
        .address_space:  global
        .offset:         96
        .size:           8
        .value_kind:     global_buffer
      - .offset:         104
        .size:           4
        .value_kind:     by_value
      - .offset:         108
        .size:           4
        .value_kind:     by_value
      - .offset:         112
        .size:           4
        .value_kind:     by_value
      - .offset:         116
        .size:           4
        .value_kind:     by_value
      - .address_space:  global
        .offset:         120
        .size:           8
        .value_kind:     global_buffer
      - .offset:         128
        .size:           4
        .value_kind:     hidden_block_count_x
      - .offset:         132
        .size:           4
        .value_kind:     hidden_block_count_y
      - .offset:         136
        .size:           4
        .value_kind:     hidden_block_count_z
      - .offset:         140
        .size:           2
        .value_kind:     hidden_group_size_x
      - .offset:         142
        .size:           2
        .value_kind:     hidden_group_size_y
      - .offset:         144
        .size:           2
        .value_kind:     hidden_group_size_z
      - .offset:         146
        .size:           2
        .value_kind:     hidden_remainder_x
      - .offset:         148
        .size:           2
        .value_kind:     hidden_remainder_y
      - .offset:         150
        .size:           2
        .value_kind:     hidden_remainder_z
      - .offset:         168
        .size:           8
        .value_kind:     hidden_global_offset_x
      - .offset:         176
        .size:           8
        .value_kind:     hidden_global_offset_y
      - .offset:         184
        .size:           8
        .value_kind:     hidden_global_offset_z
      - .offset:         192
        .size:           2
        .value_kind:     hidden_grid_dims
    .group_segment_fixed_size: 0
    .kernarg_segment_align: 8
    .kernarg_segment_size: 384
    .language:       OpenCL C
    .language_version:
      - 2
      - 0
    .max_flat_workgroup_size: 1024
    .name:           _ZN4vllm38concat_and_cache_mla_rope_fused_kernelIfN3c108BFloat16ELb1EffLNS_18Fp8KVCacheDataTypeE0EEEvPKlPT_S7_PKS6_PKT0_illlliPT3_S5_iiiiPKf
    .private_segment_fixed_size: 0
    .sgpr_count:     51
    .sgpr_spill_count: 0
    .symbol:         _ZN4vllm38concat_and_cache_mla_rope_fused_kernelIfN3c108BFloat16ELb1EffLNS_18Fp8KVCacheDataTypeE0EEEvPKlPT_S7_PKS6_PKT0_illlliPT3_S5_iiiiPKf.kd
    .uniform_work_group_size: 1
    .uses_dynamic_stack: false
    .vgpr_count:     20
    .vgpr_spill_count: 0
    .wavefront_size: 64
  - .agpr_count:     0
    .args:
      - .actual_access:  read_only
        .address_space:  global
        .offset:         0
        .size:           8
        .value_kind:     global_buffer
      - .address_space:  global
        .offset:         8
        .size:           8
        .value_kind:     global_buffer
      - .address_space:  global
        .offset:         16
        .size:           8
        .value_kind:     global_buffer
      - .actual_access:  read_only
        .address_space:  global
        .offset:         24
        .size:           8
        .value_kind:     global_buffer
      - .actual_access:  read_only
        .address_space:  global
        .offset:         32
        .size:           8
        .value_kind:     global_buffer
      - .offset:         40
        .size:           4
        .value_kind:     by_value
      - .offset:         48
        .size:           8
        .value_kind:     by_value
      - .offset:         56
        .size:           8
        .value_kind:     by_value
      - .offset:         64
        .size:           8
        .value_kind:     by_value
      - .offset:         72
        .size:           8
        .value_kind:     by_value
      - .offset:         80
        .size:           4
        .value_kind:     by_value
      - .actual_access:  write_only
        .address_space:  global
        .offset:         88
        .size:           8
        .value_kind:     global_buffer
      - .actual_access:  read_only
        .address_space:  global
        .offset:         96
        .size:           8
        .value_kind:     global_buffer
      - .offset:         104
        .size:           4
        .value_kind:     by_value
      - .offset:         108
        .size:           4
        .value_kind:     by_value
      - .offset:         112
        .size:           4
        .value_kind:     by_value
      - .offset:         116
        .size:           4
        .value_kind:     by_value
      - .address_space:  global
        .offset:         120
        .size:           8
        .value_kind:     global_buffer
      - .offset:         128
        .size:           4
        .value_kind:     hidden_block_count_x
      - .offset:         132
        .size:           4
        .value_kind:     hidden_block_count_y
      - .offset:         136
        .size:           4
        .value_kind:     hidden_block_count_z
      - .offset:         140
        .size:           2
        .value_kind:     hidden_group_size_x
      - .offset:         142
        .size:           2
        .value_kind:     hidden_group_size_y
      - .offset:         144
        .size:           2
        .value_kind:     hidden_group_size_z
      - .offset:         146
        .size:           2
        .value_kind:     hidden_remainder_x
      - .offset:         148
        .size:           2
        .value_kind:     hidden_remainder_y
      - .offset:         150
        .size:           2
        .value_kind:     hidden_remainder_z
      - .offset:         168
        .size:           8
        .value_kind:     hidden_global_offset_x
      - .offset:         176
        .size:           8
        .value_kind:     hidden_global_offset_y
      - .offset:         184
        .size:           8
        .value_kind:     hidden_global_offset_z
      - .offset:         192
        .size:           2
        .value_kind:     hidden_grid_dims
    .group_segment_fixed_size: 0
    .kernarg_segment_align: 8
    .kernarg_segment_size: 384
    .language:       OpenCL C
    .language_version:
      - 2
      - 0
    .max_flat_workgroup_size: 1024
    .name:           _ZN4vllm38concat_and_cache_mla_rope_fused_kernelIfN3c108BFloat16ELb0EffLNS_18Fp8KVCacheDataTypeE0EEEvPKlPT_S7_PKS6_PKT0_illlliPT3_S5_iiiiPKf
    .private_segment_fixed_size: 0
    .sgpr_count:     47
    .sgpr_spill_count: 0
    .symbol:         _ZN4vllm38concat_and_cache_mla_rope_fused_kernelIfN3c108BFloat16ELb0EffLNS_18Fp8KVCacheDataTypeE0EEEvPKlPT_S7_PKS6_PKT0_illlliPT3_S5_iiiiPKf.kd
    .uniform_work_group_size: 1
    .uses_dynamic_stack: false
    .vgpr_count:     22
    .vgpr_spill_count: 0
    .wavefront_size: 64
  - .agpr_count:     0
    .args:
      - .actual_access:  read_only
        .address_space:  global
        .offset:         0
        .size:           8
        .value_kind:     global_buffer
      - .address_space:  global
        .offset:         8
        .size:           8
        .value_kind:     global_buffer
      - .address_space:  global
        .offset:         16
        .size:           8
        .value_kind:     global_buffer
      - .actual_access:  read_only
        .address_space:  global
        .offset:         24
        .size:           8
        .value_kind:     global_buffer
      - .actual_access:  read_only
        .address_space:  global
        .offset:         32
        .size:           8
        .value_kind:     global_buffer
      - .offset:         40
        .size:           4
        .value_kind:     by_value
      - .offset:         48
        .size:           8
        .value_kind:     by_value
      - .offset:         56
        .size:           8
        .value_kind:     by_value
      - .offset:         64
        .size:           8
        .value_kind:     by_value
      - .offset:         72
        .size:           8
        .value_kind:     by_value
      - .offset:         80
        .size:           4
        .value_kind:     by_value
      - .actual_access:  write_only
        .address_space:  global
        .offset:         88
        .size:           8
        .value_kind:     global_buffer
      - .actual_access:  read_only
        .address_space:  global
        .offset:         96
        .size:           8
        .value_kind:     global_buffer
      - .offset:         104
        .size:           4
        .value_kind:     by_value
      - .offset:         108
        .size:           4
        .value_kind:     by_value
      - .offset:         112
        .size:           4
        .value_kind:     by_value
      - .offset:         116
        .size:           4
        .value_kind:     by_value
      - .address_space:  global
        .offset:         120
        .size:           8
        .value_kind:     global_buffer
      - .offset:         128
        .size:           4
        .value_kind:     hidden_block_count_x
      - .offset:         132
        .size:           4
        .value_kind:     hidden_block_count_y
      - .offset:         136
        .size:           4
        .value_kind:     hidden_block_count_z
      - .offset:         140
        .size:           2
        .value_kind:     hidden_group_size_x
      - .offset:         142
        .size:           2
        .value_kind:     hidden_group_size_y
      - .offset:         144
        .size:           2
        .value_kind:     hidden_group_size_z
      - .offset:         146
        .size:           2
        .value_kind:     hidden_remainder_x
      - .offset:         148
        .size:           2
        .value_kind:     hidden_remainder_y
      - .offset:         150
        .size:           2
        .value_kind:     hidden_remainder_z
      - .offset:         168
        .size:           8
        .value_kind:     hidden_global_offset_x
      - .offset:         176
        .size:           8
        .value_kind:     hidden_global_offset_y
      - .offset:         184
        .size:           8
        .value_kind:     hidden_global_offset_z
      - .offset:         192
        .size:           2
        .value_kind:     hidden_grid_dims
    .group_segment_fixed_size: 4096
    .kernarg_segment_align: 8
    .kernarg_segment_size: 384
    .language:       OpenCL C
    .language_version:
      - 2
      - 0
    .max_flat_workgroup_size: 1024
    .name:           _ZN4vllm38concat_and_cache_mla_rope_fused_kernelIN3c104HalfEfLb1EffLNS_18Fp8KVCacheDataTypeE0EEEvPKlPT_S7_PKS6_PKT0_illlliPT3_S5_iiiiPKf
    .private_segment_fixed_size: 0
    .sgpr_count:     52
    .sgpr_spill_count: 0
    .symbol:         _ZN4vllm38concat_and_cache_mla_rope_fused_kernelIN3c104HalfEfLb1EffLNS_18Fp8KVCacheDataTypeE0EEEvPKlPT_S7_PKS6_PKT0_illlliPT3_S5_iiiiPKf.kd
    .uniform_work_group_size: 1
    .uses_dynamic_stack: false
    .vgpr_count:     20
    .vgpr_spill_count: 0
    .wavefront_size: 64
  - .agpr_count:     0
    .args:
      - .actual_access:  read_only
        .address_space:  global
        .offset:         0
        .size:           8
        .value_kind:     global_buffer
      - .address_space:  global
        .offset:         8
        .size:           8
        .value_kind:     global_buffer
      - .address_space:  global
        .offset:         16
        .size:           8
        .value_kind:     global_buffer
      - .actual_access:  read_only
        .address_space:  global
        .offset:         24
        .size:           8
        .value_kind:     global_buffer
      - .actual_access:  read_only
        .address_space:  global
        .offset:         32
        .size:           8
        .value_kind:     global_buffer
      - .offset:         40
        .size:           4
        .value_kind:     by_value
      - .offset:         48
        .size:           8
        .value_kind:     by_value
      - .offset:         56
        .size:           8
        .value_kind:     by_value
      - .offset:         64
        .size:           8
        .value_kind:     by_value
      - .offset:         72
        .size:           8
        .value_kind:     by_value
      - .offset:         80
        .size:           4
        .value_kind:     by_value
      - .actual_access:  write_only
        .address_space:  global
        .offset:         88
        .size:           8
        .value_kind:     global_buffer
      - .actual_access:  read_only
        .address_space:  global
        .offset:         96
        .size:           8
        .value_kind:     global_buffer
      - .offset:         104
        .size:           4
        .value_kind:     by_value
      - .offset:         108
        .size:           4
        .value_kind:     by_value
      - .offset:         112
        .size:           4
        .value_kind:     by_value
      - .offset:         116
        .size:           4
        .value_kind:     by_value
      - .address_space:  global
        .offset:         120
        .size:           8
        .value_kind:     global_buffer
      - .offset:         128
        .size:           4
        .value_kind:     hidden_block_count_x
      - .offset:         132
        .size:           4
        .value_kind:     hidden_block_count_y
      - .offset:         136
        .size:           4
        .value_kind:     hidden_block_count_z
      - .offset:         140
        .size:           2
        .value_kind:     hidden_group_size_x
      - .offset:         142
        .size:           2
        .value_kind:     hidden_group_size_y
      - .offset:         144
        .size:           2
        .value_kind:     hidden_group_size_z
      - .offset:         146
        .size:           2
        .value_kind:     hidden_remainder_x
      - .offset:         148
        .size:           2
        .value_kind:     hidden_remainder_y
      - .offset:         150
        .size:           2
        .value_kind:     hidden_remainder_z
      - .offset:         168
        .size:           8
        .value_kind:     hidden_global_offset_x
      - .offset:         176
        .size:           8
        .value_kind:     hidden_global_offset_y
      - .offset:         184
        .size:           8
        .value_kind:     hidden_global_offset_z
      - .offset:         192
        .size:           2
        .value_kind:     hidden_grid_dims
    .group_segment_fixed_size: 4096
    .kernarg_segment_align: 8
    .kernarg_segment_size: 384
    .language:       OpenCL C
    .language_version:
      - 2
      - 0
    .max_flat_workgroup_size: 1024
    .name:           _ZN4vllm38concat_and_cache_mla_rope_fused_kernelIN3c104HalfEfLb0EffLNS_18Fp8KVCacheDataTypeE0EEEvPKlPT_S7_PKS6_PKT0_illlliPT3_S5_iiiiPKf
    .private_segment_fixed_size: 0
    .sgpr_count:     49
    .sgpr_spill_count: 0
    .symbol:         _ZN4vllm38concat_and_cache_mla_rope_fused_kernelIN3c104HalfEfLb0EffLNS_18Fp8KVCacheDataTypeE0EEEvPKlPT_S7_PKS6_PKT0_illlliPT3_S5_iiiiPKf.kd
    .uniform_work_group_size: 1
    .uses_dynamic_stack: false
    .vgpr_count:     22
    .vgpr_spill_count: 0
    .wavefront_size: 64
  - .agpr_count:     0
    .args:
      - .actual_access:  read_only
        .address_space:  global
        .offset:         0
        .size:           8
        .value_kind:     global_buffer
      - .address_space:  global
        .offset:         8
        .size:           8
        .value_kind:     global_buffer
      - .address_space:  global
        .offset:         16
        .size:           8
        .value_kind:     global_buffer
      - .actual_access:  read_only
        .address_space:  global
        .offset:         24
        .size:           8
        .value_kind:     global_buffer
      - .actual_access:  read_only
        .address_space:  global
        .offset:         32
        .size:           8
        .value_kind:     global_buffer
      - .offset:         40
        .size:           4
        .value_kind:     by_value
      - .offset:         48
        .size:           8
        .value_kind:     by_value
      - .offset:         56
        .size:           8
        .value_kind:     by_value
      - .offset:         64
        .size:           8
        .value_kind:     by_value
      - .offset:         72
        .size:           8
        .value_kind:     by_value
      - .offset:         80
        .size:           4
        .value_kind:     by_value
      - .actual_access:  write_only
        .address_space:  global
        .offset:         88
        .size:           8
        .value_kind:     global_buffer
      - .actual_access:  read_only
        .address_space:  global
        .offset:         96
        .size:           8
        .value_kind:     global_buffer
      - .offset:         104
        .size:           4
        .value_kind:     by_value
      - .offset:         108
        .size:           4
        .value_kind:     by_value
      - .offset:         112
        .size:           4
        .value_kind:     by_value
      - .offset:         116
        .size:           4
        .value_kind:     by_value
      - .address_space:  global
        .offset:         120
        .size:           8
        .value_kind:     global_buffer
      - .offset:         128
        .size:           4
        .value_kind:     hidden_block_count_x
      - .offset:         132
        .size:           4
        .value_kind:     hidden_block_count_y
      - .offset:         136
        .size:           4
        .value_kind:     hidden_block_count_z
      - .offset:         140
        .size:           2
        .value_kind:     hidden_group_size_x
      - .offset:         142
        .size:           2
        .value_kind:     hidden_group_size_y
      - .offset:         144
        .size:           2
        .value_kind:     hidden_group_size_z
      - .offset:         146
        .size:           2
        .value_kind:     hidden_remainder_x
      - .offset:         148
        .size:           2
        .value_kind:     hidden_remainder_y
      - .offset:         150
        .size:           2
        .value_kind:     hidden_remainder_z
      - .offset:         168
        .size:           8
        .value_kind:     hidden_global_offset_x
      - .offset:         176
        .size:           8
        .value_kind:     hidden_global_offset_y
      - .offset:         184
        .size:           8
        .value_kind:     hidden_global_offset_z
      - .offset:         192
        .size:           2
        .value_kind:     hidden_grid_dims
    .group_segment_fixed_size: 4096
    .kernarg_segment_align: 8
    .kernarg_segment_size: 384
    .language:       OpenCL C
    .language_version:
      - 2
      - 0
    .max_flat_workgroup_size: 1024
    .name:           _ZN4vllm38concat_and_cache_mla_rope_fused_kernelIN3c104HalfES2_Lb1EffLNS_18Fp8KVCacheDataTypeE0EEEvPKlPT_S7_PKS6_PKT0_illlliPT3_S5_iiiiPKf
    .private_segment_fixed_size: 0
    .sgpr_count:     54
    .sgpr_spill_count: 0
    .symbol:         _ZN4vllm38concat_and_cache_mla_rope_fused_kernelIN3c104HalfES2_Lb1EffLNS_18Fp8KVCacheDataTypeE0EEEvPKlPT_S7_PKS6_PKT0_illlliPT3_S5_iiiiPKf.kd
    .uniform_work_group_size: 1
    .uses_dynamic_stack: false
    .vgpr_count:     21
    .vgpr_spill_count: 0
    .wavefront_size: 64
  - .agpr_count:     0
    .args:
      - .actual_access:  read_only
        .address_space:  global
        .offset:         0
        .size:           8
        .value_kind:     global_buffer
      - .address_space:  global
        .offset:         8
        .size:           8
        .value_kind:     global_buffer
      - .address_space:  global
        .offset:         16
        .size:           8
        .value_kind:     global_buffer
      - .actual_access:  read_only
        .address_space:  global
        .offset:         24
        .size:           8
        .value_kind:     global_buffer
      - .actual_access:  read_only
        .address_space:  global
        .offset:         32
        .size:           8
        .value_kind:     global_buffer
      - .offset:         40
        .size:           4
        .value_kind:     by_value
      - .offset:         48
        .size:           8
        .value_kind:     by_value
      - .offset:         56
        .size:           8
        .value_kind:     by_value
      - .offset:         64
        .size:           8
        .value_kind:     by_value
      - .offset:         72
        .size:           8
        .value_kind:     by_value
      - .offset:         80
        .size:           4
        .value_kind:     by_value
      - .actual_access:  write_only
        .address_space:  global
        .offset:         88
        .size:           8
        .value_kind:     global_buffer
      - .actual_access:  read_only
        .address_space:  global
        .offset:         96
        .size:           8
        .value_kind:     global_buffer
      - .offset:         104
        .size:           4
        .value_kind:     by_value
      - .offset:         108
        .size:           4
        .value_kind:     by_value
      - .offset:         112
        .size:           4
        .value_kind:     by_value
      - .offset:         116
        .size:           4
        .value_kind:     by_value
      - .address_space:  global
        .offset:         120
        .size:           8
        .value_kind:     global_buffer
      - .offset:         128
        .size:           4
        .value_kind:     hidden_block_count_x
      - .offset:         132
        .size:           4
        .value_kind:     hidden_block_count_y
      - .offset:         136
        .size:           4
        .value_kind:     hidden_block_count_z
      - .offset:         140
        .size:           2
        .value_kind:     hidden_group_size_x
      - .offset:         142
        .size:           2
        .value_kind:     hidden_group_size_y
      - .offset:         144
        .size:           2
        .value_kind:     hidden_group_size_z
      - .offset:         146
        .size:           2
        .value_kind:     hidden_remainder_x
      - .offset:         148
        .size:           2
        .value_kind:     hidden_remainder_y
      - .offset:         150
        .size:           2
        .value_kind:     hidden_remainder_z
      - .offset:         168
        .size:           8
        .value_kind:     hidden_global_offset_x
      - .offset:         176
        .size:           8
        .value_kind:     hidden_global_offset_y
      - .offset:         184
        .size:           8
        .value_kind:     hidden_global_offset_z
      - .offset:         192
        .size:           2
        .value_kind:     hidden_grid_dims
    .group_segment_fixed_size: 4096
    .kernarg_segment_align: 8
    .kernarg_segment_size: 384
    .language:       OpenCL C
    .language_version:
      - 2
      - 0
    .max_flat_workgroup_size: 1024
    .name:           _ZN4vllm38concat_and_cache_mla_rope_fused_kernelIN3c104HalfES2_Lb0EffLNS_18Fp8KVCacheDataTypeE0EEEvPKlPT_S7_PKS6_PKT0_illlliPT3_S5_iiiiPKf
    .private_segment_fixed_size: 0
    .sgpr_count:     49
    .sgpr_spill_count: 0
    .symbol:         _ZN4vllm38concat_and_cache_mla_rope_fused_kernelIN3c104HalfES2_Lb0EffLNS_18Fp8KVCacheDataTypeE0EEEvPKlPT_S7_PKS6_PKT0_illlliPT3_S5_iiiiPKf.kd
    .uniform_work_group_size: 1
    .uses_dynamic_stack: false
    .vgpr_count:     19
    .vgpr_spill_count: 0
    .wavefront_size: 64
  - .agpr_count:     0
    .args:
      - .actual_access:  read_only
        .address_space:  global
        .offset:         0
        .size:           8
        .value_kind:     global_buffer
      - .address_space:  global
        .offset:         8
        .size:           8
        .value_kind:     global_buffer
      - .address_space:  global
        .offset:         16
        .size:           8
        .value_kind:     global_buffer
      - .actual_access:  read_only
        .address_space:  global
        .offset:         24
        .size:           8
        .value_kind:     global_buffer
      - .actual_access:  read_only
        .address_space:  global
        .offset:         32
        .size:           8
        .value_kind:     global_buffer
      - .offset:         40
        .size:           4
        .value_kind:     by_value
      - .offset:         48
        .size:           8
        .value_kind:     by_value
      - .offset:         56
        .size:           8
        .value_kind:     by_value
      - .offset:         64
        .size:           8
        .value_kind:     by_value
      - .offset:         72
        .size:           8
        .value_kind:     by_value
      - .offset:         80
        .size:           4
        .value_kind:     by_value
      - .actual_access:  write_only
        .address_space:  global
        .offset:         88
        .size:           8
        .value_kind:     global_buffer
      - .actual_access:  read_only
        .address_space:  global
        .offset:         96
        .size:           8
        .value_kind:     global_buffer
      - .offset:         104
        .size:           4
        .value_kind:     by_value
      - .offset:         108
        .size:           4
        .value_kind:     by_value
      - .offset:         112
        .size:           4
        .value_kind:     by_value
      - .offset:         116
        .size:           4
        .value_kind:     by_value
      - .address_space:  global
        .offset:         120
        .size:           8
        .value_kind:     global_buffer
      - .offset:         128
        .size:           4
        .value_kind:     hidden_block_count_x
      - .offset:         132
        .size:           4
        .value_kind:     hidden_block_count_y
      - .offset:         136
        .size:           4
        .value_kind:     hidden_block_count_z
      - .offset:         140
        .size:           2
        .value_kind:     hidden_group_size_x
      - .offset:         142
        .size:           2
        .value_kind:     hidden_group_size_y
      - .offset:         144
        .size:           2
        .value_kind:     hidden_group_size_z
      - .offset:         146
        .size:           2
        .value_kind:     hidden_remainder_x
      - .offset:         148
        .size:           2
        .value_kind:     hidden_remainder_y
      - .offset:         150
        .size:           2
        .value_kind:     hidden_remainder_z
      - .offset:         168
        .size:           8
        .value_kind:     hidden_global_offset_x
      - .offset:         176
        .size:           8
        .value_kind:     hidden_global_offset_y
      - .offset:         184
        .size:           8
        .value_kind:     hidden_global_offset_z
      - .offset:         192
        .size:           2
        .value_kind:     hidden_grid_dims
    .group_segment_fixed_size: 4096
    .kernarg_segment_align: 8
    .kernarg_segment_size: 384
    .language:       OpenCL C
    .language_version:
      - 2
      - 0
    .max_flat_workgroup_size: 1024
    .name:           _ZN4vllm38concat_and_cache_mla_rope_fused_kernelIN3c104HalfENS1_8BFloat16ELb1EffLNS_18Fp8KVCacheDataTypeE0EEEvPKlPT_S8_PKS7_PKT0_illlliPT3_S6_iiiiPKf
    .private_segment_fixed_size: 0
    .sgpr_count:     54
    .sgpr_spill_count: 0
    .symbol:         _ZN4vllm38concat_and_cache_mla_rope_fused_kernelIN3c104HalfENS1_8BFloat16ELb1EffLNS_18Fp8KVCacheDataTypeE0EEEvPKlPT_S8_PKS7_PKT0_illlliPT3_S6_iiiiPKf.kd
    .uniform_work_group_size: 1
    .uses_dynamic_stack: false
    .vgpr_count:     21
    .vgpr_spill_count: 0
    .wavefront_size: 64
  - .agpr_count:     0
    .args:
      - .actual_access:  read_only
        .address_space:  global
        .offset:         0
        .size:           8
        .value_kind:     global_buffer
      - .address_space:  global
        .offset:         8
        .size:           8
        .value_kind:     global_buffer
      - .address_space:  global
        .offset:         16
        .size:           8
        .value_kind:     global_buffer
      - .actual_access:  read_only
        .address_space:  global
        .offset:         24
        .size:           8
        .value_kind:     global_buffer
      - .actual_access:  read_only
        .address_space:  global
        .offset:         32
        .size:           8
        .value_kind:     global_buffer
      - .offset:         40
        .size:           4
        .value_kind:     by_value
      - .offset:         48
        .size:           8
        .value_kind:     by_value
      - .offset:         56
        .size:           8
        .value_kind:     by_value
      - .offset:         64
        .size:           8
        .value_kind:     by_value
      - .offset:         72
        .size:           8
        .value_kind:     by_value
      - .offset:         80
        .size:           4
        .value_kind:     by_value
      - .actual_access:  write_only
        .address_space:  global
        .offset:         88
        .size:           8
        .value_kind:     global_buffer
      - .actual_access:  read_only
        .address_space:  global
        .offset:         96
        .size:           8
        .value_kind:     global_buffer
      - .offset:         104
        .size:           4
        .value_kind:     by_value
      - .offset:         108
        .size:           4
        .value_kind:     by_value
      - .offset:         112
        .size:           4
        .value_kind:     by_value
      - .offset:         116
        .size:           4
        .value_kind:     by_value
      - .address_space:  global
        .offset:         120
        .size:           8
        .value_kind:     global_buffer
      - .offset:         128
        .size:           4
        .value_kind:     hidden_block_count_x
      - .offset:         132
        .size:           4
        .value_kind:     hidden_block_count_y
      - .offset:         136
        .size:           4
        .value_kind:     hidden_block_count_z
      - .offset:         140
        .size:           2
        .value_kind:     hidden_group_size_x
      - .offset:         142
        .size:           2
        .value_kind:     hidden_group_size_y
      - .offset:         144
        .size:           2
        .value_kind:     hidden_group_size_z
      - .offset:         146
        .size:           2
        .value_kind:     hidden_remainder_x
      - .offset:         148
        .size:           2
        .value_kind:     hidden_remainder_y
      - .offset:         150
        .size:           2
        .value_kind:     hidden_remainder_z
      - .offset:         168
        .size:           8
        .value_kind:     hidden_global_offset_x
      - .offset:         176
        .size:           8
        .value_kind:     hidden_global_offset_y
      - .offset:         184
        .size:           8
        .value_kind:     hidden_global_offset_z
      - .offset:         192
        .size:           2
        .value_kind:     hidden_grid_dims
    .group_segment_fixed_size: 4096
    .kernarg_segment_align: 8
    .kernarg_segment_size: 384
    .language:       OpenCL C
    .language_version:
      - 2
      - 0
    .max_flat_workgroup_size: 1024
    .name:           _ZN4vllm38concat_and_cache_mla_rope_fused_kernelIN3c104HalfENS1_8BFloat16ELb0EffLNS_18Fp8KVCacheDataTypeE0EEEvPKlPT_S8_PKS7_PKT0_illlliPT3_S6_iiiiPKf
    .private_segment_fixed_size: 0
    .sgpr_count:     49
    .sgpr_spill_count: 0
    .symbol:         _ZN4vllm38concat_and_cache_mla_rope_fused_kernelIN3c104HalfENS1_8BFloat16ELb0EffLNS_18Fp8KVCacheDataTypeE0EEEvPKlPT_S8_PKS7_PKT0_illlliPT3_S6_iiiiPKf.kd
    .uniform_work_group_size: 1
    .uses_dynamic_stack: false
    .vgpr_count:     19
    .vgpr_spill_count: 0
    .wavefront_size: 64
  - .agpr_count:     0
    .args:
      - .actual_access:  read_only
        .address_space:  global
        .offset:         0
        .size:           8
        .value_kind:     global_buffer
      - .address_space:  global
        .offset:         8
        .size:           8
        .value_kind:     global_buffer
      - .address_space:  global
        .offset:         16
        .size:           8
        .value_kind:     global_buffer
      - .actual_access:  read_only
        .address_space:  global
        .offset:         24
        .size:           8
        .value_kind:     global_buffer
      - .actual_access:  read_only
        .address_space:  global
        .offset:         32
        .size:           8
        .value_kind:     global_buffer
      - .offset:         40
        .size:           4
        .value_kind:     by_value
      - .offset:         48
        .size:           8
        .value_kind:     by_value
      - .offset:         56
        .size:           8
        .value_kind:     by_value
      - .offset:         64
        .size:           8
        .value_kind:     by_value
      - .offset:         72
        .size:           8
        .value_kind:     by_value
      - .offset:         80
        .size:           4
        .value_kind:     by_value
      - .actual_access:  write_only
        .address_space:  global
        .offset:         88
        .size:           8
        .value_kind:     global_buffer
      - .actual_access:  read_only
        .address_space:  global
        .offset:         96
        .size:           8
        .value_kind:     global_buffer
      - .offset:         104
        .size:           4
        .value_kind:     by_value
      - .offset:         108
        .size:           4
        .value_kind:     by_value
      - .offset:         112
        .size:           4
        .value_kind:     by_value
      - .offset:         116
        .size:           4
        .value_kind:     by_value
      - .address_space:  global
        .offset:         120
        .size:           8
        .value_kind:     global_buffer
      - .offset:         128
        .size:           4
        .value_kind:     hidden_block_count_x
      - .offset:         132
        .size:           4
        .value_kind:     hidden_block_count_y
      - .offset:         136
        .size:           4
        .value_kind:     hidden_block_count_z
      - .offset:         140
        .size:           2
        .value_kind:     hidden_group_size_x
      - .offset:         142
        .size:           2
        .value_kind:     hidden_group_size_y
      - .offset:         144
        .size:           2
        .value_kind:     hidden_group_size_z
      - .offset:         146
        .size:           2
        .value_kind:     hidden_remainder_x
      - .offset:         148
        .size:           2
        .value_kind:     hidden_remainder_y
      - .offset:         150
        .size:           2
        .value_kind:     hidden_remainder_z
      - .offset:         168
        .size:           8
        .value_kind:     hidden_global_offset_x
      - .offset:         176
        .size:           8
        .value_kind:     hidden_global_offset_y
      - .offset:         184
        .size:           8
        .value_kind:     hidden_global_offset_z
      - .offset:         192
        .size:           2
        .value_kind:     hidden_grid_dims
    .group_segment_fixed_size: 4096
    .kernarg_segment_align: 8
    .kernarg_segment_size: 384
    .language:       OpenCL C
    .language_version:
      - 2
      - 0
    .max_flat_workgroup_size: 1024
    .name:           _ZN4vllm38concat_and_cache_mla_rope_fused_kernelIN3c108BFloat16EfLb1EffLNS_18Fp8KVCacheDataTypeE0EEEvPKlPT_S7_PKS6_PKT0_illlliPT3_S5_iiiiPKf
    .private_segment_fixed_size: 0
    .sgpr_count:     52
    .sgpr_spill_count: 0
    .symbol:         _ZN4vllm38concat_and_cache_mla_rope_fused_kernelIN3c108BFloat16EfLb1EffLNS_18Fp8KVCacheDataTypeE0EEEvPKlPT_S7_PKS6_PKT0_illlliPT3_S5_iiiiPKf.kd
    .uniform_work_group_size: 1
    .uses_dynamic_stack: false
    .vgpr_count:     25
    .vgpr_spill_count: 0
    .wavefront_size: 64
  - .agpr_count:     0
    .args:
      - .actual_access:  read_only
        .address_space:  global
        .offset:         0
        .size:           8
        .value_kind:     global_buffer
      - .address_space:  global
        .offset:         8
        .size:           8
        .value_kind:     global_buffer
      - .address_space:  global
        .offset:         16
        .size:           8
        .value_kind:     global_buffer
      - .actual_access:  read_only
        .address_space:  global
        .offset:         24
        .size:           8
        .value_kind:     global_buffer
      - .actual_access:  read_only
        .address_space:  global
        .offset:         32
        .size:           8
        .value_kind:     global_buffer
      - .offset:         40
        .size:           4
        .value_kind:     by_value
      - .offset:         48
        .size:           8
        .value_kind:     by_value
      - .offset:         56
        .size:           8
        .value_kind:     by_value
      - .offset:         64
        .size:           8
        .value_kind:     by_value
      - .offset:         72
        .size:           8
        .value_kind:     by_value
      - .offset:         80
        .size:           4
        .value_kind:     by_value
      - .actual_access:  write_only
        .address_space:  global
        .offset:         88
        .size:           8
        .value_kind:     global_buffer
      - .actual_access:  read_only
        .address_space:  global
        .offset:         96
        .size:           8
        .value_kind:     global_buffer
      - .offset:         104
        .size:           4
        .value_kind:     by_value
      - .offset:         108
        .size:           4
        .value_kind:     by_value
      - .offset:         112
        .size:           4
        .value_kind:     by_value
      - .offset:         116
        .size:           4
        .value_kind:     by_value
      - .address_space:  global
        .offset:         120
        .size:           8
        .value_kind:     global_buffer
      - .offset:         128
        .size:           4
        .value_kind:     hidden_block_count_x
      - .offset:         132
        .size:           4
        .value_kind:     hidden_block_count_y
      - .offset:         136
        .size:           4
        .value_kind:     hidden_block_count_z
      - .offset:         140
        .size:           2
        .value_kind:     hidden_group_size_x
      - .offset:         142
        .size:           2
        .value_kind:     hidden_group_size_y
      - .offset:         144
        .size:           2
        .value_kind:     hidden_group_size_z
      - .offset:         146
        .size:           2
        .value_kind:     hidden_remainder_x
      - .offset:         148
        .size:           2
        .value_kind:     hidden_remainder_y
      - .offset:         150
        .size:           2
        .value_kind:     hidden_remainder_z
      - .offset:         168
        .size:           8
        .value_kind:     hidden_global_offset_x
      - .offset:         176
        .size:           8
        .value_kind:     hidden_global_offset_y
      - .offset:         184
        .size:           8
        .value_kind:     hidden_global_offset_z
      - .offset:         192
        .size:           2
        .value_kind:     hidden_grid_dims
    .group_segment_fixed_size: 4096
    .kernarg_segment_align: 8
    .kernarg_segment_size: 384
    .language:       OpenCL C
    .language_version:
      - 2
      - 0
    .max_flat_workgroup_size: 1024
    .name:           _ZN4vllm38concat_and_cache_mla_rope_fused_kernelIN3c108BFloat16EfLb0EffLNS_18Fp8KVCacheDataTypeE0EEEvPKlPT_S7_PKS6_PKT0_illlliPT3_S5_iiiiPKf
    .private_segment_fixed_size: 0
    .sgpr_count:     49
    .sgpr_spill_count: 0
    .symbol:         _ZN4vllm38concat_and_cache_mla_rope_fused_kernelIN3c108BFloat16EfLb0EffLNS_18Fp8KVCacheDataTypeE0EEEvPKlPT_S7_PKS6_PKT0_illlliPT3_S5_iiiiPKf.kd
    .uniform_work_group_size: 1
    .uses_dynamic_stack: false
    .vgpr_count:     25
    .vgpr_spill_count: 0
    .wavefront_size: 64
  - .agpr_count:     0
    .args:
      - .actual_access:  read_only
        .address_space:  global
        .offset:         0
        .size:           8
        .value_kind:     global_buffer
      - .address_space:  global
        .offset:         8
        .size:           8
        .value_kind:     global_buffer
      - .address_space:  global
        .offset:         16
        .size:           8
        .value_kind:     global_buffer
      - .actual_access:  read_only
        .address_space:  global
        .offset:         24
        .size:           8
        .value_kind:     global_buffer
      - .actual_access:  read_only
        .address_space:  global
        .offset:         32
        .size:           8
        .value_kind:     global_buffer
      - .offset:         40
        .size:           4
        .value_kind:     by_value
      - .offset:         48
        .size:           8
        .value_kind:     by_value
      - .offset:         56
        .size:           8
        .value_kind:     by_value
      - .offset:         64
        .size:           8
        .value_kind:     by_value
      - .offset:         72
        .size:           8
        .value_kind:     by_value
      - .offset:         80
        .size:           4
        .value_kind:     by_value
      - .actual_access:  write_only
        .address_space:  global
        .offset:         88
        .size:           8
        .value_kind:     global_buffer
      - .actual_access:  read_only
        .address_space:  global
        .offset:         96
        .size:           8
        .value_kind:     global_buffer
      - .offset:         104
        .size:           4
        .value_kind:     by_value
      - .offset:         108
        .size:           4
        .value_kind:     by_value
      - .offset:         112
        .size:           4
        .value_kind:     by_value
      - .offset:         116
        .size:           4
        .value_kind:     by_value
      - .address_space:  global
        .offset:         120
        .size:           8
        .value_kind:     global_buffer
      - .offset:         128
        .size:           4
        .value_kind:     hidden_block_count_x
      - .offset:         132
        .size:           4
        .value_kind:     hidden_block_count_y
      - .offset:         136
        .size:           4
        .value_kind:     hidden_block_count_z
      - .offset:         140
        .size:           2
        .value_kind:     hidden_group_size_x
      - .offset:         142
        .size:           2
        .value_kind:     hidden_group_size_y
      - .offset:         144
        .size:           2
        .value_kind:     hidden_group_size_z
      - .offset:         146
        .size:           2
        .value_kind:     hidden_remainder_x
      - .offset:         148
        .size:           2
        .value_kind:     hidden_remainder_y
      - .offset:         150
        .size:           2
        .value_kind:     hidden_remainder_z
      - .offset:         168
        .size:           8
        .value_kind:     hidden_global_offset_x
      - .offset:         176
        .size:           8
        .value_kind:     hidden_global_offset_y
      - .offset:         184
        .size:           8
        .value_kind:     hidden_global_offset_z
      - .offset:         192
        .size:           2
        .value_kind:     hidden_grid_dims
    .group_segment_fixed_size: 4096
    .kernarg_segment_align: 8
    .kernarg_segment_size: 384
    .language:       OpenCL C
    .language_version:
      - 2
      - 0
    .max_flat_workgroup_size: 1024
    .name:           _ZN4vllm38concat_and_cache_mla_rope_fused_kernelIN3c108BFloat16ENS1_4HalfELb1EffLNS_18Fp8KVCacheDataTypeE0EEEvPKlPT_S8_PKS7_PKT0_illlliPT3_S6_iiiiPKf
    .private_segment_fixed_size: 0
    .sgpr_count:     53
    .sgpr_spill_count: 0
    .symbol:         _ZN4vllm38concat_and_cache_mla_rope_fused_kernelIN3c108BFloat16ENS1_4HalfELb1EffLNS_18Fp8KVCacheDataTypeE0EEEvPKlPT_S8_PKS7_PKT0_illlliPT3_S6_iiiiPKf.kd
    .uniform_work_group_size: 1
    .uses_dynamic_stack: false
    .vgpr_count:     27
    .vgpr_spill_count: 0
    .wavefront_size: 64
  - .agpr_count:     0
    .args:
      - .actual_access:  read_only
        .address_space:  global
        .offset:         0
        .size:           8
        .value_kind:     global_buffer
      - .address_space:  global
        .offset:         8
        .size:           8
        .value_kind:     global_buffer
      - .address_space:  global
        .offset:         16
        .size:           8
        .value_kind:     global_buffer
      - .actual_access:  read_only
        .address_space:  global
        .offset:         24
        .size:           8
        .value_kind:     global_buffer
      - .actual_access:  read_only
        .address_space:  global
        .offset:         32
        .size:           8
        .value_kind:     global_buffer
      - .offset:         40
        .size:           4
        .value_kind:     by_value
      - .offset:         48
        .size:           8
        .value_kind:     by_value
      - .offset:         56
        .size:           8
        .value_kind:     by_value
      - .offset:         64
        .size:           8
        .value_kind:     by_value
      - .offset:         72
        .size:           8
        .value_kind:     by_value
      - .offset:         80
        .size:           4
        .value_kind:     by_value
      - .actual_access:  write_only
        .address_space:  global
        .offset:         88
        .size:           8
        .value_kind:     global_buffer
      - .actual_access:  read_only
        .address_space:  global
        .offset:         96
        .size:           8
        .value_kind:     global_buffer
      - .offset:         104
        .size:           4
        .value_kind:     by_value
      - .offset:         108
        .size:           4
        .value_kind:     by_value
      - .offset:         112
        .size:           4
        .value_kind:     by_value
      - .offset:         116
        .size:           4
        .value_kind:     by_value
      - .address_space:  global
        .offset:         120
        .size:           8
        .value_kind:     global_buffer
      - .offset:         128
        .size:           4
        .value_kind:     hidden_block_count_x
      - .offset:         132
        .size:           4
        .value_kind:     hidden_block_count_y
      - .offset:         136
        .size:           4
        .value_kind:     hidden_block_count_z
      - .offset:         140
        .size:           2
        .value_kind:     hidden_group_size_x
      - .offset:         142
        .size:           2
        .value_kind:     hidden_group_size_y
      - .offset:         144
        .size:           2
        .value_kind:     hidden_group_size_z
      - .offset:         146
        .size:           2
        .value_kind:     hidden_remainder_x
      - .offset:         148
        .size:           2
        .value_kind:     hidden_remainder_y
      - .offset:         150
        .size:           2
        .value_kind:     hidden_remainder_z
      - .offset:         168
        .size:           8
        .value_kind:     hidden_global_offset_x
      - .offset:         176
        .size:           8
        .value_kind:     hidden_global_offset_y
      - .offset:         184
        .size:           8
        .value_kind:     hidden_global_offset_z
      - .offset:         192
        .size:           2
        .value_kind:     hidden_grid_dims
    .group_segment_fixed_size: 4096
    .kernarg_segment_align: 8
    .kernarg_segment_size: 384
    .language:       OpenCL C
    .language_version:
      - 2
      - 0
    .max_flat_workgroup_size: 1024
    .name:           _ZN4vllm38concat_and_cache_mla_rope_fused_kernelIN3c108BFloat16ENS1_4HalfELb0EffLNS_18Fp8KVCacheDataTypeE0EEEvPKlPT_S8_PKS7_PKT0_illlliPT3_S6_iiiiPKf
    .private_segment_fixed_size: 0
    .sgpr_count:     49
    .sgpr_spill_count: 0
    .symbol:         _ZN4vllm38concat_and_cache_mla_rope_fused_kernelIN3c108BFloat16ENS1_4HalfELb0EffLNS_18Fp8KVCacheDataTypeE0EEEvPKlPT_S8_PKS7_PKT0_illlliPT3_S6_iiiiPKf.kd
    .uniform_work_group_size: 1
    .uses_dynamic_stack: false
    .vgpr_count:     24
    .vgpr_spill_count: 0
    .wavefront_size: 64
  - .agpr_count:     0
    .args:
      - .actual_access:  read_only
        .address_space:  global
        .offset:         0
        .size:           8
        .value_kind:     global_buffer
      - .address_space:  global
        .offset:         8
        .size:           8
        .value_kind:     global_buffer
      - .address_space:  global
        .offset:         16
        .size:           8
        .value_kind:     global_buffer
      - .actual_access:  read_only
        .address_space:  global
        .offset:         24
        .size:           8
        .value_kind:     global_buffer
      - .actual_access:  read_only
        .address_space:  global
        .offset:         32
        .size:           8
        .value_kind:     global_buffer
      - .offset:         40
        .size:           4
        .value_kind:     by_value
      - .offset:         48
        .size:           8
        .value_kind:     by_value
      - .offset:         56
        .size:           8
        .value_kind:     by_value
      - .offset:         64
        .size:           8
        .value_kind:     by_value
      - .offset:         72
        .size:           8
        .value_kind:     by_value
      - .offset:         80
        .size:           4
        .value_kind:     by_value
      - .actual_access:  write_only
        .address_space:  global
        .offset:         88
        .size:           8
        .value_kind:     global_buffer
      - .actual_access:  read_only
        .address_space:  global
        .offset:         96
        .size:           8
        .value_kind:     global_buffer
      - .offset:         104
        .size:           4
        .value_kind:     by_value
      - .offset:         108
        .size:           4
        .value_kind:     by_value
      - .offset:         112
        .size:           4
        .value_kind:     by_value
      - .offset:         116
        .size:           4
        .value_kind:     by_value
      - .address_space:  global
        .offset:         120
        .size:           8
        .value_kind:     global_buffer
      - .offset:         128
        .size:           4
        .value_kind:     hidden_block_count_x
      - .offset:         132
        .size:           4
        .value_kind:     hidden_block_count_y
      - .offset:         136
        .size:           4
        .value_kind:     hidden_block_count_z
      - .offset:         140
        .size:           2
        .value_kind:     hidden_group_size_x
      - .offset:         142
        .size:           2
        .value_kind:     hidden_group_size_y
      - .offset:         144
        .size:           2
        .value_kind:     hidden_group_size_z
      - .offset:         146
        .size:           2
        .value_kind:     hidden_remainder_x
      - .offset:         148
        .size:           2
        .value_kind:     hidden_remainder_y
      - .offset:         150
        .size:           2
        .value_kind:     hidden_remainder_z
      - .offset:         168
        .size:           8
        .value_kind:     hidden_global_offset_x
      - .offset:         176
        .size:           8
        .value_kind:     hidden_global_offset_y
      - .offset:         184
        .size:           8
        .value_kind:     hidden_global_offset_z
      - .offset:         192
        .size:           2
        .value_kind:     hidden_grid_dims
    .group_segment_fixed_size: 4096
    .kernarg_segment_align: 8
    .kernarg_segment_size: 384
    .language:       OpenCL C
    .language_version:
      - 2
      - 0
    .max_flat_workgroup_size: 1024
    .name:           _ZN4vllm38concat_and_cache_mla_rope_fused_kernelIN3c108BFloat16ES2_Lb1EffLNS_18Fp8KVCacheDataTypeE0EEEvPKlPT_S7_PKS6_PKT0_illlliPT3_S5_iiiiPKf
    .private_segment_fixed_size: 0
    .sgpr_count:     53
    .sgpr_spill_count: 0
    .symbol:         _ZN4vllm38concat_and_cache_mla_rope_fused_kernelIN3c108BFloat16ES2_Lb1EffLNS_18Fp8KVCacheDataTypeE0EEEvPKlPT_S7_PKS6_PKT0_illlliPT3_S5_iiiiPKf.kd
    .uniform_work_group_size: 1
    .uses_dynamic_stack: false
    .vgpr_count:     25
    .vgpr_spill_count: 0
    .wavefront_size: 64
  - .agpr_count:     0
    .args:
      - .actual_access:  read_only
        .address_space:  global
        .offset:         0
        .size:           8
        .value_kind:     global_buffer
      - .address_space:  global
        .offset:         8
        .size:           8
        .value_kind:     global_buffer
      - .address_space:  global
        .offset:         16
        .size:           8
        .value_kind:     global_buffer
      - .actual_access:  read_only
        .address_space:  global
        .offset:         24
        .size:           8
        .value_kind:     global_buffer
      - .actual_access:  read_only
        .address_space:  global
        .offset:         32
        .size:           8
        .value_kind:     global_buffer
      - .offset:         40
        .size:           4
        .value_kind:     by_value
      - .offset:         48
        .size:           8
        .value_kind:     by_value
      - .offset:         56
        .size:           8
        .value_kind:     by_value
      - .offset:         64
        .size:           8
        .value_kind:     by_value
      - .offset:         72
        .size:           8
        .value_kind:     by_value
      - .offset:         80
        .size:           4
        .value_kind:     by_value
      - .actual_access:  write_only
        .address_space:  global
        .offset:         88
        .size:           8
        .value_kind:     global_buffer
      - .actual_access:  read_only
        .address_space:  global
        .offset:         96
        .size:           8
        .value_kind:     global_buffer
      - .offset:         104
        .size:           4
        .value_kind:     by_value
      - .offset:         108
        .size:           4
        .value_kind:     by_value
      - .offset:         112
        .size:           4
        .value_kind:     by_value
      - .offset:         116
        .size:           4
        .value_kind:     by_value
      - .address_space:  global
        .offset:         120
        .size:           8
        .value_kind:     global_buffer
      - .offset:         128
        .size:           4
        .value_kind:     hidden_block_count_x
      - .offset:         132
        .size:           4
        .value_kind:     hidden_block_count_y
      - .offset:         136
        .size:           4
        .value_kind:     hidden_block_count_z
      - .offset:         140
        .size:           2
        .value_kind:     hidden_group_size_x
      - .offset:         142
        .size:           2
        .value_kind:     hidden_group_size_y
      - .offset:         144
        .size:           2
        .value_kind:     hidden_group_size_z
      - .offset:         146
        .size:           2
        .value_kind:     hidden_remainder_x
      - .offset:         148
        .size:           2
        .value_kind:     hidden_remainder_y
      - .offset:         150
        .size:           2
        .value_kind:     hidden_remainder_z
      - .offset:         168
        .size:           8
        .value_kind:     hidden_global_offset_x
      - .offset:         176
        .size:           8
        .value_kind:     hidden_global_offset_y
      - .offset:         184
        .size:           8
        .value_kind:     hidden_global_offset_z
      - .offset:         192
        .size:           2
        .value_kind:     hidden_grid_dims
    .group_segment_fixed_size: 4096
    .kernarg_segment_align: 8
    .kernarg_segment_size: 384
    .language:       OpenCL C
    .language_version:
      - 2
      - 0
    .max_flat_workgroup_size: 1024
    .name:           _ZN4vllm38concat_and_cache_mla_rope_fused_kernelIN3c108BFloat16ES2_Lb0EffLNS_18Fp8KVCacheDataTypeE0EEEvPKlPT_S7_PKS6_PKT0_illlliPT3_S5_iiiiPKf
    .private_segment_fixed_size: 0
    .sgpr_count:     49
    .sgpr_spill_count: 0
    .symbol:         _ZN4vllm38concat_and_cache_mla_rope_fused_kernelIN3c108BFloat16ES2_Lb0EffLNS_18Fp8KVCacheDataTypeE0EEEvPKlPT_S7_PKS6_PKT0_illlliPT3_S5_iiiiPKf.kd
    .uniform_work_group_size: 1
    .uses_dynamic_stack: false
    .vgpr_count:     24
    .vgpr_spill_count: 0
    .wavefront_size: 64
  - .agpr_count:     0
    .args:
      - .actual_access:  read_only
        .address_space:  global
        .offset:         0
        .size:           8
        .value_kind:     global_buffer
      - .address_space:  global
        .offset:         8
        .size:           8
        .value_kind:     global_buffer
      - .address_space:  global
        .offset:         16
        .size:           8
        .value_kind:     global_buffer
      - .actual_access:  read_only
        .address_space:  global
        .offset:         24
        .size:           8
        .value_kind:     global_buffer
      - .actual_access:  read_only
        .address_space:  global
        .offset:         32
        .size:           8
        .value_kind:     global_buffer
      - .offset:         40
        .size:           4
        .value_kind:     by_value
      - .offset:         48
        .size:           8
        .value_kind:     by_value
      - .offset:         56
        .size:           8
        .value_kind:     by_value
      - .offset:         64
        .size:           8
        .value_kind:     by_value
      - .offset:         72
        .size:           8
        .value_kind:     by_value
      - .offset:         80
        .size:           4
        .value_kind:     by_value
      - .actual_access:  write_only
        .address_space:  global
        .offset:         88
        .size:           8
        .value_kind:     global_buffer
      - .actual_access:  read_only
        .address_space:  global
        .offset:         96
        .size:           8
        .value_kind:     global_buffer
      - .offset:         104
        .size:           4
        .value_kind:     by_value
      - .offset:         108
        .size:           4
        .value_kind:     by_value
      - .offset:         112
        .size:           4
        .value_kind:     by_value
      - .offset:         116
        .size:           4
        .value_kind:     by_value
      - .address_space:  global
        .offset:         120
        .size:           8
        .value_kind:     global_buffer
      - .offset:         128
        .size:           4
        .value_kind:     hidden_block_count_x
      - .offset:         132
        .size:           4
        .value_kind:     hidden_block_count_y
      - .offset:         136
        .size:           4
        .value_kind:     hidden_block_count_z
      - .offset:         140
        .size:           2
        .value_kind:     hidden_group_size_x
      - .offset:         142
        .size:           2
        .value_kind:     hidden_group_size_y
      - .offset:         144
        .size:           2
        .value_kind:     hidden_group_size_z
      - .offset:         146
        .size:           2
        .value_kind:     hidden_remainder_x
      - .offset:         148
        .size:           2
        .value_kind:     hidden_remainder_y
      - .offset:         150
        .size:           2
        .value_kind:     hidden_remainder_z
      - .offset:         168
        .size:           8
        .value_kind:     hidden_global_offset_x
      - .offset:         176
        .size:           8
        .value_kind:     hidden_global_offset_y
      - .offset:         184
        .size:           8
        .value_kind:     hidden_global_offset_z
      - .offset:         192
        .size:           2
        .value_kind:     hidden_grid_dims
    .group_segment_fixed_size: 0
    .kernarg_segment_align: 8
    .kernarg_segment_size: 384
    .language:       OpenCL C
    .language_version:
      - 2
      - 0
    .max_flat_workgroup_size: 1024
    .name:           _ZN4vllm38concat_and_cache_mla_rope_fused_kernelIffLb1EttLNS_18Fp8KVCacheDataTypeE0EEEvPKlPT_S5_PKS4_PKT0_illlliPT3_S3_iiiiPKf
    .private_segment_fixed_size: 0
    .sgpr_count:     54
    .sgpr_spill_count: 0
    .symbol:         _ZN4vllm38concat_and_cache_mla_rope_fused_kernelIffLb1EttLNS_18Fp8KVCacheDataTypeE0EEEvPKlPT_S5_PKS4_PKT0_illlliPT3_S3_iiiiPKf.kd
    .uniform_work_group_size: 1
    .uses_dynamic_stack: false
    .vgpr_count:     19
    .vgpr_spill_count: 0
    .wavefront_size: 64
  - .agpr_count:     0
    .args:
      - .actual_access:  read_only
        .address_space:  global
        .offset:         0
        .size:           8
        .value_kind:     global_buffer
      - .address_space:  global
        .offset:         8
        .size:           8
        .value_kind:     global_buffer
      - .address_space:  global
        .offset:         16
        .size:           8
        .value_kind:     global_buffer
      - .actual_access:  read_only
        .address_space:  global
        .offset:         24
        .size:           8
        .value_kind:     global_buffer
      - .actual_access:  read_only
        .address_space:  global
        .offset:         32
        .size:           8
        .value_kind:     global_buffer
      - .offset:         40
        .size:           4
        .value_kind:     by_value
      - .offset:         48
        .size:           8
        .value_kind:     by_value
      - .offset:         56
        .size:           8
        .value_kind:     by_value
      - .offset:         64
        .size:           8
        .value_kind:     by_value
      - .offset:         72
        .size:           8
        .value_kind:     by_value
      - .offset:         80
        .size:           4
        .value_kind:     by_value
      - .actual_access:  write_only
        .address_space:  global
        .offset:         88
        .size:           8
        .value_kind:     global_buffer
      - .actual_access:  read_only
        .address_space:  global
        .offset:         96
        .size:           8
        .value_kind:     global_buffer
      - .offset:         104
        .size:           4
        .value_kind:     by_value
      - .offset:         108
        .size:           4
        .value_kind:     by_value
      - .offset:         112
        .size:           4
        .value_kind:     by_value
      - .offset:         116
        .size:           4
        .value_kind:     by_value
      - .address_space:  global
        .offset:         120
        .size:           8
        .value_kind:     global_buffer
      - .offset:         128
        .size:           4
        .value_kind:     hidden_block_count_x
      - .offset:         132
        .size:           4
        .value_kind:     hidden_block_count_y
      - .offset:         136
        .size:           4
        .value_kind:     hidden_block_count_z
      - .offset:         140
        .size:           2
        .value_kind:     hidden_group_size_x
      - .offset:         142
        .size:           2
        .value_kind:     hidden_group_size_y
      - .offset:         144
        .size:           2
        .value_kind:     hidden_group_size_z
      - .offset:         146
        .size:           2
        .value_kind:     hidden_remainder_x
      - .offset:         148
        .size:           2
        .value_kind:     hidden_remainder_y
      - .offset:         150
        .size:           2
        .value_kind:     hidden_remainder_z
      - .offset:         168
        .size:           8
        .value_kind:     hidden_global_offset_x
      - .offset:         176
        .size:           8
        .value_kind:     hidden_global_offset_y
      - .offset:         184
        .size:           8
        .value_kind:     hidden_global_offset_z
      - .offset:         192
        .size:           2
        .value_kind:     hidden_grid_dims
    .group_segment_fixed_size: 0
    .kernarg_segment_align: 8
    .kernarg_segment_size: 384
    .language:       OpenCL C
    .language_version:
      - 2
      - 0
    .max_flat_workgroup_size: 1024
    .name:           _ZN4vllm38concat_and_cache_mla_rope_fused_kernelIffLb0EttLNS_18Fp8KVCacheDataTypeE0EEEvPKlPT_S5_PKS4_PKT0_illlliPT3_S3_iiiiPKf
    .private_segment_fixed_size: 0
    .sgpr_count:     47
    .sgpr_spill_count: 0
    .symbol:         _ZN4vllm38concat_and_cache_mla_rope_fused_kernelIffLb0EttLNS_18Fp8KVCacheDataTypeE0EEEvPKlPT_S5_PKS4_PKT0_illlliPT3_S3_iiiiPKf.kd
    .uniform_work_group_size: 1
    .uses_dynamic_stack: false
    .vgpr_count:     20
    .vgpr_spill_count: 0
    .wavefront_size: 64
  - .agpr_count:     0
    .args:
      - .actual_access:  read_only
        .address_space:  global
        .offset:         0
        .size:           8
        .value_kind:     global_buffer
      - .address_space:  global
        .offset:         8
        .size:           8
        .value_kind:     global_buffer
      - .address_space:  global
        .offset:         16
        .size:           8
        .value_kind:     global_buffer
      - .actual_access:  read_only
        .address_space:  global
        .offset:         24
        .size:           8
        .value_kind:     global_buffer
      - .actual_access:  read_only
        .address_space:  global
        .offset:         32
        .size:           8
        .value_kind:     global_buffer
      - .offset:         40
        .size:           4
        .value_kind:     by_value
      - .offset:         48
        .size:           8
        .value_kind:     by_value
      - .offset:         56
        .size:           8
        .value_kind:     by_value
      - .offset:         64
        .size:           8
        .value_kind:     by_value
      - .offset:         72
        .size:           8
        .value_kind:     by_value
      - .offset:         80
        .size:           4
        .value_kind:     by_value
      - .actual_access:  write_only
        .address_space:  global
        .offset:         88
        .size:           8
        .value_kind:     global_buffer
      - .actual_access:  read_only
        .address_space:  global
        .offset:         96
        .size:           8
        .value_kind:     global_buffer
      - .offset:         104
        .size:           4
        .value_kind:     by_value
      - .offset:         108
        .size:           4
        .value_kind:     by_value
      - .offset:         112
        .size:           4
        .value_kind:     by_value
      - .offset:         116
        .size:           4
        .value_kind:     by_value
      - .address_space:  global
        .offset:         120
        .size:           8
        .value_kind:     global_buffer
      - .offset:         128
        .size:           4
        .value_kind:     hidden_block_count_x
      - .offset:         132
        .size:           4
        .value_kind:     hidden_block_count_y
      - .offset:         136
        .size:           4
        .value_kind:     hidden_block_count_z
      - .offset:         140
        .size:           2
        .value_kind:     hidden_group_size_x
      - .offset:         142
        .size:           2
        .value_kind:     hidden_group_size_y
      - .offset:         144
        .size:           2
        .value_kind:     hidden_group_size_z
      - .offset:         146
        .size:           2
        .value_kind:     hidden_remainder_x
      - .offset:         148
        .size:           2
        .value_kind:     hidden_remainder_y
      - .offset:         150
        .size:           2
        .value_kind:     hidden_remainder_z
      - .offset:         168
        .size:           8
        .value_kind:     hidden_global_offset_x
      - .offset:         176
        .size:           8
        .value_kind:     hidden_global_offset_y
      - .offset:         184
        .size:           8
        .value_kind:     hidden_global_offset_z
      - .offset:         192
        .size:           2
        .value_kind:     hidden_grid_dims
    .group_segment_fixed_size: 0
    .kernarg_segment_align: 8
    .kernarg_segment_size: 384
    .language:       OpenCL C
    .language_version:
      - 2
      - 0
    .max_flat_workgroup_size: 1024
    .name:           _ZN4vllm38concat_and_cache_mla_rope_fused_kernelIfN3c104HalfELb1EttLNS_18Fp8KVCacheDataTypeE0EEEvPKlPT_S7_PKS6_PKT0_illlliPT3_S5_iiiiPKf
    .private_segment_fixed_size: 0
    .sgpr_count:     50
    .sgpr_spill_count: 0
    .symbol:         _ZN4vllm38concat_and_cache_mla_rope_fused_kernelIfN3c104HalfELb1EttLNS_18Fp8KVCacheDataTypeE0EEEvPKlPT_S7_PKS6_PKT0_illlliPT3_S5_iiiiPKf.kd
    .uniform_work_group_size: 1
    .uses_dynamic_stack: false
    .vgpr_count:     19
    .vgpr_spill_count: 0
    .wavefront_size: 64
  - .agpr_count:     0
    .args:
      - .actual_access:  read_only
        .address_space:  global
        .offset:         0
        .size:           8
        .value_kind:     global_buffer
      - .address_space:  global
        .offset:         8
        .size:           8
        .value_kind:     global_buffer
      - .address_space:  global
        .offset:         16
        .size:           8
        .value_kind:     global_buffer
      - .actual_access:  read_only
        .address_space:  global
        .offset:         24
        .size:           8
        .value_kind:     global_buffer
      - .actual_access:  read_only
        .address_space:  global
        .offset:         32
        .size:           8
        .value_kind:     global_buffer
      - .offset:         40
        .size:           4
        .value_kind:     by_value
      - .offset:         48
        .size:           8
        .value_kind:     by_value
      - .offset:         56
        .size:           8
        .value_kind:     by_value
      - .offset:         64
        .size:           8
        .value_kind:     by_value
      - .offset:         72
        .size:           8
        .value_kind:     by_value
      - .offset:         80
        .size:           4
        .value_kind:     by_value
      - .actual_access:  write_only
        .address_space:  global
        .offset:         88
        .size:           8
        .value_kind:     global_buffer
      - .actual_access:  read_only
        .address_space:  global
        .offset:         96
        .size:           8
        .value_kind:     global_buffer
      - .offset:         104
        .size:           4
        .value_kind:     by_value
      - .offset:         108
        .size:           4
        .value_kind:     by_value
      - .offset:         112
        .size:           4
        .value_kind:     by_value
      - .offset:         116
        .size:           4
        .value_kind:     by_value
      - .address_space:  global
        .offset:         120
        .size:           8
        .value_kind:     global_buffer
      - .offset:         128
        .size:           4
        .value_kind:     hidden_block_count_x
      - .offset:         132
        .size:           4
        .value_kind:     hidden_block_count_y
      - .offset:         136
        .size:           4
        .value_kind:     hidden_block_count_z
      - .offset:         140
        .size:           2
        .value_kind:     hidden_group_size_x
      - .offset:         142
        .size:           2
        .value_kind:     hidden_group_size_y
      - .offset:         144
        .size:           2
        .value_kind:     hidden_group_size_z
      - .offset:         146
        .size:           2
        .value_kind:     hidden_remainder_x
      - .offset:         148
        .size:           2
        .value_kind:     hidden_remainder_y
      - .offset:         150
        .size:           2
        .value_kind:     hidden_remainder_z
      - .offset:         168
        .size:           8
        .value_kind:     hidden_global_offset_x
      - .offset:         176
        .size:           8
        .value_kind:     hidden_global_offset_y
      - .offset:         184
        .size:           8
        .value_kind:     hidden_global_offset_z
      - .offset:         192
        .size:           2
        .value_kind:     hidden_grid_dims
    .group_segment_fixed_size: 0
    .kernarg_segment_align: 8
    .kernarg_segment_size: 384
    .language:       OpenCL C
    .language_version:
      - 2
      - 0
    .max_flat_workgroup_size: 1024
    .name:           _ZN4vllm38concat_and_cache_mla_rope_fused_kernelIfN3c104HalfELb0EttLNS_18Fp8KVCacheDataTypeE0EEEvPKlPT_S7_PKS6_PKT0_illlliPT3_S5_iiiiPKf
    .private_segment_fixed_size: 0
    .sgpr_count:     47
    .sgpr_spill_count: 0
    .symbol:         _ZN4vllm38concat_and_cache_mla_rope_fused_kernelIfN3c104HalfELb0EttLNS_18Fp8KVCacheDataTypeE0EEEvPKlPT_S7_PKS6_PKT0_illlliPT3_S5_iiiiPKf.kd
    .uniform_work_group_size: 1
    .uses_dynamic_stack: false
    .vgpr_count:     20
    .vgpr_spill_count: 0
    .wavefront_size: 64
  - .agpr_count:     0
    .args:
      - .actual_access:  read_only
        .address_space:  global
        .offset:         0
        .size:           8
        .value_kind:     global_buffer
      - .address_space:  global
        .offset:         8
        .size:           8
        .value_kind:     global_buffer
      - .address_space:  global
        .offset:         16
        .size:           8
        .value_kind:     global_buffer
      - .actual_access:  read_only
        .address_space:  global
        .offset:         24
        .size:           8
        .value_kind:     global_buffer
      - .actual_access:  read_only
        .address_space:  global
        .offset:         32
        .size:           8
        .value_kind:     global_buffer
      - .offset:         40
        .size:           4
        .value_kind:     by_value
      - .offset:         48
        .size:           8
        .value_kind:     by_value
      - .offset:         56
        .size:           8
        .value_kind:     by_value
      - .offset:         64
        .size:           8
        .value_kind:     by_value
      - .offset:         72
        .size:           8
        .value_kind:     by_value
      - .offset:         80
        .size:           4
        .value_kind:     by_value
      - .actual_access:  write_only
        .address_space:  global
        .offset:         88
        .size:           8
        .value_kind:     global_buffer
      - .actual_access:  read_only
        .address_space:  global
        .offset:         96
        .size:           8
        .value_kind:     global_buffer
      - .offset:         104
        .size:           4
        .value_kind:     by_value
      - .offset:         108
        .size:           4
        .value_kind:     by_value
      - .offset:         112
        .size:           4
        .value_kind:     by_value
      - .offset:         116
        .size:           4
        .value_kind:     by_value
      - .address_space:  global
        .offset:         120
        .size:           8
        .value_kind:     global_buffer
      - .offset:         128
        .size:           4
        .value_kind:     hidden_block_count_x
      - .offset:         132
        .size:           4
        .value_kind:     hidden_block_count_y
      - .offset:         136
        .size:           4
        .value_kind:     hidden_block_count_z
      - .offset:         140
        .size:           2
        .value_kind:     hidden_group_size_x
      - .offset:         142
        .size:           2
        .value_kind:     hidden_group_size_y
      - .offset:         144
        .size:           2
        .value_kind:     hidden_group_size_z
      - .offset:         146
        .size:           2
        .value_kind:     hidden_remainder_x
      - .offset:         148
        .size:           2
        .value_kind:     hidden_remainder_y
      - .offset:         150
        .size:           2
        .value_kind:     hidden_remainder_z
      - .offset:         168
        .size:           8
        .value_kind:     hidden_global_offset_x
      - .offset:         176
        .size:           8
        .value_kind:     hidden_global_offset_y
      - .offset:         184
        .size:           8
        .value_kind:     hidden_global_offset_z
      - .offset:         192
        .size:           2
        .value_kind:     hidden_grid_dims
    .group_segment_fixed_size: 0
    .kernarg_segment_align: 8
    .kernarg_segment_size: 384
    .language:       OpenCL C
    .language_version:
      - 2
      - 0
    .max_flat_workgroup_size: 1024
    .name:           _ZN4vllm38concat_and_cache_mla_rope_fused_kernelIfN3c108BFloat16ELb1EttLNS_18Fp8KVCacheDataTypeE0EEEvPKlPT_S7_PKS6_PKT0_illlliPT3_S5_iiiiPKf
    .private_segment_fixed_size: 0
    .sgpr_count:     50
    .sgpr_spill_count: 0
    .symbol:         _ZN4vllm38concat_and_cache_mla_rope_fused_kernelIfN3c108BFloat16ELb1EttLNS_18Fp8KVCacheDataTypeE0EEEvPKlPT_S7_PKS6_PKT0_illlliPT3_S5_iiiiPKf.kd
    .uniform_work_group_size: 1
    .uses_dynamic_stack: false
    .vgpr_count:     18
    .vgpr_spill_count: 0
    .wavefront_size: 64
  - .agpr_count:     0
    .args:
      - .actual_access:  read_only
        .address_space:  global
        .offset:         0
        .size:           8
        .value_kind:     global_buffer
      - .address_space:  global
        .offset:         8
        .size:           8
        .value_kind:     global_buffer
      - .address_space:  global
        .offset:         16
        .size:           8
        .value_kind:     global_buffer
      - .actual_access:  read_only
        .address_space:  global
        .offset:         24
        .size:           8
        .value_kind:     global_buffer
      - .actual_access:  read_only
        .address_space:  global
        .offset:         32
        .size:           8
        .value_kind:     global_buffer
      - .offset:         40
        .size:           4
        .value_kind:     by_value
      - .offset:         48
        .size:           8
        .value_kind:     by_value
      - .offset:         56
        .size:           8
        .value_kind:     by_value
      - .offset:         64
        .size:           8
        .value_kind:     by_value
      - .offset:         72
        .size:           8
        .value_kind:     by_value
      - .offset:         80
        .size:           4
        .value_kind:     by_value
      - .actual_access:  write_only
        .address_space:  global
        .offset:         88
        .size:           8
        .value_kind:     global_buffer
      - .actual_access:  read_only
        .address_space:  global
        .offset:         96
        .size:           8
        .value_kind:     global_buffer
      - .offset:         104
        .size:           4
        .value_kind:     by_value
      - .offset:         108
        .size:           4
        .value_kind:     by_value
      - .offset:         112
        .size:           4
        .value_kind:     by_value
      - .offset:         116
        .size:           4
        .value_kind:     by_value
      - .address_space:  global
        .offset:         120
        .size:           8
        .value_kind:     global_buffer
      - .offset:         128
        .size:           4
        .value_kind:     hidden_block_count_x
      - .offset:         132
        .size:           4
        .value_kind:     hidden_block_count_y
      - .offset:         136
        .size:           4
        .value_kind:     hidden_block_count_z
      - .offset:         140
        .size:           2
        .value_kind:     hidden_group_size_x
      - .offset:         142
        .size:           2
        .value_kind:     hidden_group_size_y
      - .offset:         144
        .size:           2
        .value_kind:     hidden_group_size_z
      - .offset:         146
        .size:           2
        .value_kind:     hidden_remainder_x
      - .offset:         148
        .size:           2
        .value_kind:     hidden_remainder_y
      - .offset:         150
        .size:           2
        .value_kind:     hidden_remainder_z
      - .offset:         168
        .size:           8
        .value_kind:     hidden_global_offset_x
      - .offset:         176
        .size:           8
        .value_kind:     hidden_global_offset_y
      - .offset:         184
        .size:           8
        .value_kind:     hidden_global_offset_z
      - .offset:         192
        .size:           2
        .value_kind:     hidden_grid_dims
    .group_segment_fixed_size: 0
    .kernarg_segment_align: 8
    .kernarg_segment_size: 384
    .language:       OpenCL C
    .language_version:
      - 2
      - 0
    .max_flat_workgroup_size: 1024
    .name:           _ZN4vllm38concat_and_cache_mla_rope_fused_kernelIfN3c108BFloat16ELb0EttLNS_18Fp8KVCacheDataTypeE0EEEvPKlPT_S7_PKS6_PKT0_illlliPT3_S5_iiiiPKf
    .private_segment_fixed_size: 0
    .sgpr_count:     47
    .sgpr_spill_count: 0
    .symbol:         _ZN4vllm38concat_and_cache_mla_rope_fused_kernelIfN3c108BFloat16ELb0EttLNS_18Fp8KVCacheDataTypeE0EEEvPKlPT_S7_PKS6_PKT0_illlliPT3_S5_iiiiPKf.kd
    .uniform_work_group_size: 1
    .uses_dynamic_stack: false
    .vgpr_count:     20
    .vgpr_spill_count: 0
    .wavefront_size: 64
  - .agpr_count:     0
    .args:
      - .actual_access:  read_only
        .address_space:  global
        .offset:         0
        .size:           8
        .value_kind:     global_buffer
      - .address_space:  global
        .offset:         8
        .size:           8
        .value_kind:     global_buffer
      - .address_space:  global
        .offset:         16
        .size:           8
        .value_kind:     global_buffer
      - .actual_access:  read_only
        .address_space:  global
        .offset:         24
        .size:           8
        .value_kind:     global_buffer
      - .actual_access:  read_only
        .address_space:  global
        .offset:         32
        .size:           8
        .value_kind:     global_buffer
      - .offset:         40
        .size:           4
        .value_kind:     by_value
      - .offset:         48
        .size:           8
        .value_kind:     by_value
      - .offset:         56
        .size:           8
        .value_kind:     by_value
      - .offset:         64
        .size:           8
        .value_kind:     by_value
      - .offset:         72
        .size:           8
        .value_kind:     by_value
      - .offset:         80
        .size:           4
        .value_kind:     by_value
      - .actual_access:  write_only
        .address_space:  global
        .offset:         88
        .size:           8
        .value_kind:     global_buffer
      - .actual_access:  read_only
        .address_space:  global
        .offset:         96
        .size:           8
        .value_kind:     global_buffer
      - .offset:         104
        .size:           4
        .value_kind:     by_value
      - .offset:         108
        .size:           4
        .value_kind:     by_value
      - .offset:         112
        .size:           4
        .value_kind:     by_value
      - .offset:         116
        .size:           4
        .value_kind:     by_value
      - .address_space:  global
        .offset:         120
        .size:           8
        .value_kind:     global_buffer
      - .offset:         128
        .size:           4
        .value_kind:     hidden_block_count_x
      - .offset:         132
        .size:           4
        .value_kind:     hidden_block_count_y
      - .offset:         136
        .size:           4
        .value_kind:     hidden_block_count_z
      - .offset:         140
        .size:           2
        .value_kind:     hidden_group_size_x
      - .offset:         142
        .size:           2
        .value_kind:     hidden_group_size_y
      - .offset:         144
        .size:           2
        .value_kind:     hidden_group_size_z
      - .offset:         146
        .size:           2
        .value_kind:     hidden_remainder_x
      - .offset:         148
        .size:           2
        .value_kind:     hidden_remainder_y
      - .offset:         150
        .size:           2
        .value_kind:     hidden_remainder_z
      - .offset:         168
        .size:           8
        .value_kind:     hidden_global_offset_x
      - .offset:         176
        .size:           8
        .value_kind:     hidden_global_offset_y
      - .offset:         184
        .size:           8
        .value_kind:     hidden_global_offset_z
      - .offset:         192
        .size:           2
        .value_kind:     hidden_grid_dims
    .group_segment_fixed_size: 0
    .kernarg_segment_align: 8
    .kernarg_segment_size: 384
    .language:       OpenCL C
    .language_version:
      - 2
      - 0
    .max_flat_workgroup_size: 1024
    .name:           _ZN4vllm38concat_and_cache_mla_rope_fused_kernelIN3c104HalfEfLb1EttLNS_18Fp8KVCacheDataTypeE0EEEvPKlPT_S7_PKS6_PKT0_illlliPT3_S5_iiiiPKf
    .private_segment_fixed_size: 0
    .sgpr_count:     51
    .sgpr_spill_count: 0
    .symbol:         _ZN4vllm38concat_and_cache_mla_rope_fused_kernelIN3c104HalfEfLb1EttLNS_18Fp8KVCacheDataTypeE0EEEvPKlPT_S7_PKS6_PKT0_illlliPT3_S5_iiiiPKf.kd
    .uniform_work_group_size: 1
    .uses_dynamic_stack: false
    .vgpr_count:     20
    .vgpr_spill_count: 0
    .wavefront_size: 64
  - .agpr_count:     0
    .args:
      - .actual_access:  read_only
        .address_space:  global
        .offset:         0
        .size:           8
        .value_kind:     global_buffer
      - .address_space:  global
        .offset:         8
        .size:           8
        .value_kind:     global_buffer
      - .address_space:  global
        .offset:         16
        .size:           8
        .value_kind:     global_buffer
      - .actual_access:  read_only
        .address_space:  global
        .offset:         24
        .size:           8
        .value_kind:     global_buffer
      - .actual_access:  read_only
        .address_space:  global
        .offset:         32
        .size:           8
        .value_kind:     global_buffer
      - .offset:         40
        .size:           4
        .value_kind:     by_value
      - .offset:         48
        .size:           8
        .value_kind:     by_value
      - .offset:         56
        .size:           8
        .value_kind:     by_value
      - .offset:         64
        .size:           8
        .value_kind:     by_value
      - .offset:         72
        .size:           8
        .value_kind:     by_value
      - .offset:         80
        .size:           4
        .value_kind:     by_value
      - .actual_access:  write_only
        .address_space:  global
        .offset:         88
        .size:           8
        .value_kind:     global_buffer
      - .actual_access:  read_only
        .address_space:  global
        .offset:         96
        .size:           8
        .value_kind:     global_buffer
      - .offset:         104
        .size:           4
        .value_kind:     by_value
      - .offset:         108
        .size:           4
        .value_kind:     by_value
      - .offset:         112
        .size:           4
        .value_kind:     by_value
      - .offset:         116
        .size:           4
        .value_kind:     by_value
      - .address_space:  global
        .offset:         120
        .size:           8
        .value_kind:     global_buffer
      - .offset:         128
        .size:           4
        .value_kind:     hidden_block_count_x
      - .offset:         132
        .size:           4
        .value_kind:     hidden_block_count_y
      - .offset:         136
        .size:           4
        .value_kind:     hidden_block_count_z
      - .offset:         140
        .size:           2
        .value_kind:     hidden_group_size_x
      - .offset:         142
        .size:           2
        .value_kind:     hidden_group_size_y
      - .offset:         144
        .size:           2
        .value_kind:     hidden_group_size_z
      - .offset:         146
        .size:           2
        .value_kind:     hidden_remainder_x
      - .offset:         148
        .size:           2
        .value_kind:     hidden_remainder_y
      - .offset:         150
        .size:           2
        .value_kind:     hidden_remainder_z
      - .offset:         168
        .size:           8
        .value_kind:     hidden_global_offset_x
      - .offset:         176
        .size:           8
        .value_kind:     hidden_global_offset_y
      - .offset:         184
        .size:           8
        .value_kind:     hidden_global_offset_z
      - .offset:         192
        .size:           2
        .value_kind:     hidden_grid_dims
    .group_segment_fixed_size: 0
    .kernarg_segment_align: 8
    .kernarg_segment_size: 384
    .language:       OpenCL C
    .language_version:
      - 2
      - 0
    .max_flat_workgroup_size: 1024
    .name:           _ZN4vllm38concat_and_cache_mla_rope_fused_kernelIN3c104HalfEfLb0EttLNS_18Fp8KVCacheDataTypeE0EEEvPKlPT_S7_PKS6_PKT0_illlliPT3_S5_iiiiPKf
    .private_segment_fixed_size: 0
    .sgpr_count:     47
    .sgpr_spill_count: 0
    .symbol:         _ZN4vllm38concat_and_cache_mla_rope_fused_kernelIN3c104HalfEfLb0EttLNS_18Fp8KVCacheDataTypeE0EEEvPKlPT_S7_PKS6_PKT0_illlliPT3_S5_iiiiPKf.kd
    .uniform_work_group_size: 1
    .uses_dynamic_stack: false
    .vgpr_count:     20
    .vgpr_spill_count: 0
    .wavefront_size: 64
  - .agpr_count:     0
    .args:
      - .actual_access:  read_only
        .address_space:  global
        .offset:         0
        .size:           8
        .value_kind:     global_buffer
      - .address_space:  global
        .offset:         8
        .size:           8
        .value_kind:     global_buffer
      - .address_space:  global
        .offset:         16
        .size:           8
        .value_kind:     global_buffer
      - .actual_access:  read_only
        .address_space:  global
        .offset:         24
        .size:           8
        .value_kind:     global_buffer
      - .actual_access:  read_only
        .address_space:  global
        .offset:         32
        .size:           8
        .value_kind:     global_buffer
      - .offset:         40
        .size:           4
        .value_kind:     by_value
      - .offset:         48
        .size:           8
        .value_kind:     by_value
      - .offset:         56
        .size:           8
        .value_kind:     by_value
      - .offset:         64
        .size:           8
        .value_kind:     by_value
      - .offset:         72
        .size:           8
        .value_kind:     by_value
      - .offset:         80
        .size:           4
        .value_kind:     by_value
      - .actual_access:  write_only
        .address_space:  global
        .offset:         88
        .size:           8
        .value_kind:     global_buffer
      - .actual_access:  read_only
        .address_space:  global
        .offset:         96
        .size:           8
        .value_kind:     global_buffer
      - .offset:         104
        .size:           4
        .value_kind:     by_value
      - .offset:         108
        .size:           4
        .value_kind:     by_value
      - .offset:         112
        .size:           4
        .value_kind:     by_value
      - .offset:         116
        .size:           4
        .value_kind:     by_value
      - .address_space:  global
        .offset:         120
        .size:           8
        .value_kind:     global_buffer
      - .offset:         128
        .size:           4
        .value_kind:     hidden_block_count_x
      - .offset:         132
        .size:           4
        .value_kind:     hidden_block_count_y
      - .offset:         136
        .size:           4
        .value_kind:     hidden_block_count_z
      - .offset:         140
        .size:           2
        .value_kind:     hidden_group_size_x
      - .offset:         142
        .size:           2
        .value_kind:     hidden_group_size_y
      - .offset:         144
        .size:           2
        .value_kind:     hidden_group_size_z
      - .offset:         146
        .size:           2
        .value_kind:     hidden_remainder_x
      - .offset:         148
        .size:           2
        .value_kind:     hidden_remainder_y
      - .offset:         150
        .size:           2
        .value_kind:     hidden_remainder_z
      - .offset:         168
        .size:           8
        .value_kind:     hidden_global_offset_x
      - .offset:         176
        .size:           8
        .value_kind:     hidden_global_offset_y
      - .offset:         184
        .size:           8
        .value_kind:     hidden_global_offset_z
      - .offset:         192
        .size:           2
        .value_kind:     hidden_grid_dims
    .group_segment_fixed_size: 0
    .kernarg_segment_align: 8
    .kernarg_segment_size: 384
    .language:       OpenCL C
    .language_version:
      - 2
      - 0
    .max_flat_workgroup_size: 1024
    .name:           _ZN4vllm38concat_and_cache_mla_rope_fused_kernelIN3c104HalfES2_Lb1EttLNS_18Fp8KVCacheDataTypeE0EEEvPKlPT_S7_PKS6_PKT0_illlliPT3_S5_iiiiPKf
    .private_segment_fixed_size: 0
    .sgpr_count:     51
    .sgpr_spill_count: 0
    .symbol:         _ZN4vllm38concat_and_cache_mla_rope_fused_kernelIN3c104HalfES2_Lb1EttLNS_18Fp8KVCacheDataTypeE0EEEvPKlPT_S7_PKS6_PKT0_illlliPT3_S5_iiiiPKf.kd
    .uniform_work_group_size: 1
    .uses_dynamic_stack: false
    .vgpr_count:     16
    .vgpr_spill_count: 0
    .wavefront_size: 64
  - .agpr_count:     0
    .args:
      - .actual_access:  read_only
        .address_space:  global
        .offset:         0
        .size:           8
        .value_kind:     global_buffer
      - .address_space:  global
        .offset:         8
        .size:           8
        .value_kind:     global_buffer
      - .address_space:  global
        .offset:         16
        .size:           8
        .value_kind:     global_buffer
      - .actual_access:  read_only
        .address_space:  global
        .offset:         24
        .size:           8
        .value_kind:     global_buffer
      - .actual_access:  read_only
        .address_space:  global
        .offset:         32
        .size:           8
        .value_kind:     global_buffer
      - .offset:         40
        .size:           4
        .value_kind:     by_value
      - .offset:         48
        .size:           8
        .value_kind:     by_value
      - .offset:         56
        .size:           8
        .value_kind:     by_value
      - .offset:         64
        .size:           8
        .value_kind:     by_value
      - .offset:         72
        .size:           8
        .value_kind:     by_value
      - .offset:         80
        .size:           4
        .value_kind:     by_value
      - .actual_access:  write_only
        .address_space:  global
        .offset:         88
        .size:           8
        .value_kind:     global_buffer
      - .actual_access:  read_only
        .address_space:  global
        .offset:         96
        .size:           8
        .value_kind:     global_buffer
      - .offset:         104
        .size:           4
        .value_kind:     by_value
      - .offset:         108
        .size:           4
        .value_kind:     by_value
      - .offset:         112
        .size:           4
        .value_kind:     by_value
      - .offset:         116
        .size:           4
        .value_kind:     by_value
      - .address_space:  global
        .offset:         120
        .size:           8
        .value_kind:     global_buffer
      - .offset:         128
        .size:           4
        .value_kind:     hidden_block_count_x
      - .offset:         132
        .size:           4
        .value_kind:     hidden_block_count_y
      - .offset:         136
        .size:           4
        .value_kind:     hidden_block_count_z
      - .offset:         140
        .size:           2
        .value_kind:     hidden_group_size_x
      - .offset:         142
        .size:           2
        .value_kind:     hidden_group_size_y
      - .offset:         144
        .size:           2
        .value_kind:     hidden_group_size_z
      - .offset:         146
        .size:           2
        .value_kind:     hidden_remainder_x
      - .offset:         148
        .size:           2
        .value_kind:     hidden_remainder_y
      - .offset:         150
        .size:           2
        .value_kind:     hidden_remainder_z
      - .offset:         168
        .size:           8
        .value_kind:     hidden_global_offset_x
      - .offset:         176
        .size:           8
        .value_kind:     hidden_global_offset_y
      - .offset:         184
        .size:           8
        .value_kind:     hidden_global_offset_z
      - .offset:         192
        .size:           2
        .value_kind:     hidden_grid_dims
    .group_segment_fixed_size: 0
    .kernarg_segment_align: 8
    .kernarg_segment_size: 384
    .language:       OpenCL C
    .language_version:
      - 2
      - 0
    .max_flat_workgroup_size: 1024
    .name:           _ZN4vllm38concat_and_cache_mla_rope_fused_kernelIN3c104HalfES2_Lb0EttLNS_18Fp8KVCacheDataTypeE0EEEvPKlPT_S7_PKS6_PKT0_illlliPT3_S5_iiiiPKf
    .private_segment_fixed_size: 0
    .sgpr_count:     47
    .sgpr_spill_count: 0
    .symbol:         _ZN4vllm38concat_and_cache_mla_rope_fused_kernelIN3c104HalfES2_Lb0EttLNS_18Fp8KVCacheDataTypeE0EEEvPKlPT_S7_PKS6_PKT0_illlliPT3_S5_iiiiPKf.kd
    .uniform_work_group_size: 1
    .uses_dynamic_stack: false
    .vgpr_count:     19
    .vgpr_spill_count: 0
    .wavefront_size: 64
  - .agpr_count:     0
    .args:
      - .actual_access:  read_only
        .address_space:  global
        .offset:         0
        .size:           8
        .value_kind:     global_buffer
      - .address_space:  global
        .offset:         8
        .size:           8
        .value_kind:     global_buffer
      - .address_space:  global
        .offset:         16
        .size:           8
        .value_kind:     global_buffer
      - .actual_access:  read_only
        .address_space:  global
        .offset:         24
        .size:           8
        .value_kind:     global_buffer
      - .actual_access:  read_only
        .address_space:  global
        .offset:         32
        .size:           8
        .value_kind:     global_buffer
      - .offset:         40
        .size:           4
        .value_kind:     by_value
      - .offset:         48
        .size:           8
        .value_kind:     by_value
      - .offset:         56
        .size:           8
        .value_kind:     by_value
      - .offset:         64
        .size:           8
        .value_kind:     by_value
      - .offset:         72
        .size:           8
        .value_kind:     by_value
      - .offset:         80
        .size:           4
        .value_kind:     by_value
      - .actual_access:  write_only
        .address_space:  global
        .offset:         88
        .size:           8
        .value_kind:     global_buffer
      - .actual_access:  read_only
        .address_space:  global
        .offset:         96
        .size:           8
        .value_kind:     global_buffer
      - .offset:         104
        .size:           4
        .value_kind:     by_value
      - .offset:         108
        .size:           4
        .value_kind:     by_value
      - .offset:         112
        .size:           4
        .value_kind:     by_value
      - .offset:         116
        .size:           4
        .value_kind:     by_value
      - .address_space:  global
        .offset:         120
        .size:           8
        .value_kind:     global_buffer
      - .offset:         128
        .size:           4
        .value_kind:     hidden_block_count_x
      - .offset:         132
        .size:           4
        .value_kind:     hidden_block_count_y
      - .offset:         136
        .size:           4
        .value_kind:     hidden_block_count_z
      - .offset:         140
        .size:           2
        .value_kind:     hidden_group_size_x
      - .offset:         142
        .size:           2
        .value_kind:     hidden_group_size_y
      - .offset:         144
        .size:           2
        .value_kind:     hidden_group_size_z
      - .offset:         146
        .size:           2
        .value_kind:     hidden_remainder_x
      - .offset:         148
        .size:           2
        .value_kind:     hidden_remainder_y
      - .offset:         150
        .size:           2
        .value_kind:     hidden_remainder_z
      - .offset:         168
        .size:           8
        .value_kind:     hidden_global_offset_x
      - .offset:         176
        .size:           8
        .value_kind:     hidden_global_offset_y
      - .offset:         184
        .size:           8
        .value_kind:     hidden_global_offset_z
      - .offset:         192
        .size:           2
        .value_kind:     hidden_grid_dims
    .group_segment_fixed_size: 0
    .kernarg_segment_align: 8
    .kernarg_segment_size: 384
    .language:       OpenCL C
    .language_version:
      - 2
      - 0
    .max_flat_workgroup_size: 1024
    .name:           _ZN4vllm38concat_and_cache_mla_rope_fused_kernelIN3c104HalfENS1_8BFloat16ELb1EttLNS_18Fp8KVCacheDataTypeE0EEEvPKlPT_S8_PKS7_PKT0_illlliPT3_S6_iiiiPKf
    .private_segment_fixed_size: 0
    .sgpr_count:     51
    .sgpr_spill_count: 0
    .symbol:         _ZN4vllm38concat_and_cache_mla_rope_fused_kernelIN3c104HalfENS1_8BFloat16ELb1EttLNS_18Fp8KVCacheDataTypeE0EEEvPKlPT_S8_PKS7_PKT0_illlliPT3_S6_iiiiPKf.kd
    .uniform_work_group_size: 1
    .uses_dynamic_stack: false
    .vgpr_count:     16
    .vgpr_spill_count: 0
    .wavefront_size: 64
  - .agpr_count:     0
    .args:
      - .actual_access:  read_only
        .address_space:  global
        .offset:         0
        .size:           8
        .value_kind:     global_buffer
      - .address_space:  global
        .offset:         8
        .size:           8
        .value_kind:     global_buffer
      - .address_space:  global
        .offset:         16
        .size:           8
        .value_kind:     global_buffer
      - .actual_access:  read_only
        .address_space:  global
        .offset:         24
        .size:           8
        .value_kind:     global_buffer
      - .actual_access:  read_only
        .address_space:  global
        .offset:         32
        .size:           8
        .value_kind:     global_buffer
      - .offset:         40
        .size:           4
        .value_kind:     by_value
      - .offset:         48
        .size:           8
        .value_kind:     by_value
      - .offset:         56
        .size:           8
        .value_kind:     by_value
      - .offset:         64
        .size:           8
        .value_kind:     by_value
      - .offset:         72
        .size:           8
        .value_kind:     by_value
      - .offset:         80
        .size:           4
        .value_kind:     by_value
      - .actual_access:  write_only
        .address_space:  global
        .offset:         88
        .size:           8
        .value_kind:     global_buffer
      - .actual_access:  read_only
        .address_space:  global
        .offset:         96
        .size:           8
        .value_kind:     global_buffer
      - .offset:         104
        .size:           4
        .value_kind:     by_value
      - .offset:         108
        .size:           4
        .value_kind:     by_value
      - .offset:         112
        .size:           4
        .value_kind:     by_value
      - .offset:         116
        .size:           4
        .value_kind:     by_value
      - .address_space:  global
        .offset:         120
        .size:           8
        .value_kind:     global_buffer
      - .offset:         128
        .size:           4
        .value_kind:     hidden_block_count_x
      - .offset:         132
        .size:           4
        .value_kind:     hidden_block_count_y
      - .offset:         136
        .size:           4
        .value_kind:     hidden_block_count_z
      - .offset:         140
        .size:           2
        .value_kind:     hidden_group_size_x
      - .offset:         142
        .size:           2
        .value_kind:     hidden_group_size_y
      - .offset:         144
        .size:           2
        .value_kind:     hidden_group_size_z
      - .offset:         146
        .size:           2
        .value_kind:     hidden_remainder_x
      - .offset:         148
        .size:           2
        .value_kind:     hidden_remainder_y
      - .offset:         150
        .size:           2
        .value_kind:     hidden_remainder_z
      - .offset:         168
        .size:           8
        .value_kind:     hidden_global_offset_x
      - .offset:         176
        .size:           8
        .value_kind:     hidden_global_offset_y
      - .offset:         184
        .size:           8
        .value_kind:     hidden_global_offset_z
      - .offset:         192
        .size:           2
        .value_kind:     hidden_grid_dims
    .group_segment_fixed_size: 0
    .kernarg_segment_align: 8
    .kernarg_segment_size: 384
    .language:       OpenCL C
    .language_version:
      - 2
      - 0
    .max_flat_workgroup_size: 1024
    .name:           _ZN4vllm38concat_and_cache_mla_rope_fused_kernelIN3c104HalfENS1_8BFloat16ELb0EttLNS_18Fp8KVCacheDataTypeE0EEEvPKlPT_S8_PKS7_PKT0_illlliPT3_S6_iiiiPKf
    .private_segment_fixed_size: 0
    .sgpr_count:     47
    .sgpr_spill_count: 0
    .symbol:         _ZN4vllm38concat_and_cache_mla_rope_fused_kernelIN3c104HalfENS1_8BFloat16ELb0EttLNS_18Fp8KVCacheDataTypeE0EEEvPKlPT_S8_PKS7_PKT0_illlliPT3_S6_iiiiPKf.kd
    .uniform_work_group_size: 1
    .uses_dynamic_stack: false
    .vgpr_count:     19
    .vgpr_spill_count: 0
    .wavefront_size: 64
  - .agpr_count:     0
    .args:
      - .actual_access:  read_only
        .address_space:  global
        .offset:         0
        .size:           8
        .value_kind:     global_buffer
      - .address_space:  global
        .offset:         8
        .size:           8
        .value_kind:     global_buffer
      - .address_space:  global
        .offset:         16
        .size:           8
        .value_kind:     global_buffer
      - .actual_access:  read_only
        .address_space:  global
        .offset:         24
        .size:           8
        .value_kind:     global_buffer
      - .actual_access:  read_only
        .address_space:  global
        .offset:         32
        .size:           8
        .value_kind:     global_buffer
      - .offset:         40
        .size:           4
        .value_kind:     by_value
      - .offset:         48
        .size:           8
        .value_kind:     by_value
      - .offset:         56
        .size:           8
        .value_kind:     by_value
      - .offset:         64
        .size:           8
        .value_kind:     by_value
      - .offset:         72
        .size:           8
        .value_kind:     by_value
      - .offset:         80
        .size:           4
        .value_kind:     by_value
      - .actual_access:  write_only
        .address_space:  global
        .offset:         88
        .size:           8
        .value_kind:     global_buffer
      - .actual_access:  read_only
        .address_space:  global
        .offset:         96
        .size:           8
        .value_kind:     global_buffer
      - .offset:         104
        .size:           4
        .value_kind:     by_value
      - .offset:         108
        .size:           4
        .value_kind:     by_value
      - .offset:         112
        .size:           4
        .value_kind:     by_value
      - .offset:         116
        .size:           4
        .value_kind:     by_value
      - .address_space:  global
        .offset:         120
        .size:           8
        .value_kind:     global_buffer
      - .offset:         128
        .size:           4
        .value_kind:     hidden_block_count_x
      - .offset:         132
        .size:           4
        .value_kind:     hidden_block_count_y
      - .offset:         136
        .size:           4
        .value_kind:     hidden_block_count_z
      - .offset:         140
        .size:           2
        .value_kind:     hidden_group_size_x
      - .offset:         142
        .size:           2
        .value_kind:     hidden_group_size_y
      - .offset:         144
        .size:           2
        .value_kind:     hidden_group_size_z
      - .offset:         146
        .size:           2
        .value_kind:     hidden_remainder_x
      - .offset:         148
        .size:           2
        .value_kind:     hidden_remainder_y
      - .offset:         150
        .size:           2
        .value_kind:     hidden_remainder_z
      - .offset:         168
        .size:           8
        .value_kind:     hidden_global_offset_x
      - .offset:         176
        .size:           8
        .value_kind:     hidden_global_offset_y
      - .offset:         184
        .size:           8
        .value_kind:     hidden_global_offset_z
      - .offset:         192
        .size:           2
        .value_kind:     hidden_grid_dims
    .group_segment_fixed_size: 0
    .kernarg_segment_align: 8
    .kernarg_segment_size: 384
    .language:       OpenCL C
    .language_version:
      - 2
      - 0
    .max_flat_workgroup_size: 1024
    .name:           _ZN4vllm38concat_and_cache_mla_rope_fused_kernelIN3c108BFloat16EfLb1EttLNS_18Fp8KVCacheDataTypeE0EEEvPKlPT_S7_PKS6_PKT0_illlliPT3_S5_iiiiPKf
    .private_segment_fixed_size: 0
    .sgpr_count:     51
    .sgpr_spill_count: 0
    .symbol:         _ZN4vllm38concat_and_cache_mla_rope_fused_kernelIN3c108BFloat16EfLb1EttLNS_18Fp8KVCacheDataTypeE0EEEvPKlPT_S7_PKS6_PKT0_illlliPT3_S5_iiiiPKf.kd
    .uniform_work_group_size: 1
    .uses_dynamic_stack: false
    .vgpr_count:     25
    .vgpr_spill_count: 0
    .wavefront_size: 64
  - .agpr_count:     0
    .args:
      - .actual_access:  read_only
        .address_space:  global
        .offset:         0
        .size:           8
        .value_kind:     global_buffer
      - .address_space:  global
        .offset:         8
        .size:           8
        .value_kind:     global_buffer
      - .address_space:  global
        .offset:         16
        .size:           8
        .value_kind:     global_buffer
      - .actual_access:  read_only
        .address_space:  global
        .offset:         24
        .size:           8
        .value_kind:     global_buffer
      - .actual_access:  read_only
        .address_space:  global
        .offset:         32
        .size:           8
        .value_kind:     global_buffer
      - .offset:         40
        .size:           4
        .value_kind:     by_value
      - .offset:         48
        .size:           8
        .value_kind:     by_value
      - .offset:         56
        .size:           8
        .value_kind:     by_value
      - .offset:         64
        .size:           8
        .value_kind:     by_value
      - .offset:         72
        .size:           8
        .value_kind:     by_value
      - .offset:         80
        .size:           4
        .value_kind:     by_value
      - .actual_access:  write_only
        .address_space:  global
        .offset:         88
        .size:           8
        .value_kind:     global_buffer
      - .actual_access:  read_only
        .address_space:  global
        .offset:         96
        .size:           8
        .value_kind:     global_buffer
      - .offset:         104
        .size:           4
        .value_kind:     by_value
      - .offset:         108
        .size:           4
        .value_kind:     by_value
      - .offset:         112
        .size:           4
        .value_kind:     by_value
      - .offset:         116
        .size:           4
        .value_kind:     by_value
      - .address_space:  global
        .offset:         120
        .size:           8
        .value_kind:     global_buffer
      - .offset:         128
        .size:           4
        .value_kind:     hidden_block_count_x
      - .offset:         132
        .size:           4
        .value_kind:     hidden_block_count_y
      - .offset:         136
        .size:           4
        .value_kind:     hidden_block_count_z
      - .offset:         140
        .size:           2
        .value_kind:     hidden_group_size_x
      - .offset:         142
        .size:           2
        .value_kind:     hidden_group_size_y
      - .offset:         144
        .size:           2
        .value_kind:     hidden_group_size_z
      - .offset:         146
        .size:           2
        .value_kind:     hidden_remainder_x
      - .offset:         148
        .size:           2
        .value_kind:     hidden_remainder_y
      - .offset:         150
        .size:           2
        .value_kind:     hidden_remainder_z
      - .offset:         168
        .size:           8
        .value_kind:     hidden_global_offset_x
      - .offset:         176
        .size:           8
        .value_kind:     hidden_global_offset_y
      - .offset:         184
        .size:           8
        .value_kind:     hidden_global_offset_z
      - .offset:         192
        .size:           2
        .value_kind:     hidden_grid_dims
    .group_segment_fixed_size: 0
    .kernarg_segment_align: 8
    .kernarg_segment_size: 384
    .language:       OpenCL C
    .language_version:
      - 2
      - 0
    .max_flat_workgroup_size: 1024
    .name:           _ZN4vllm38concat_and_cache_mla_rope_fused_kernelIN3c108BFloat16EfLb0EttLNS_18Fp8KVCacheDataTypeE0EEEvPKlPT_S7_PKS6_PKT0_illlliPT3_S5_iiiiPKf
    .private_segment_fixed_size: 0
    .sgpr_count:     47
    .sgpr_spill_count: 0
    .symbol:         _ZN4vllm38concat_and_cache_mla_rope_fused_kernelIN3c108BFloat16EfLb0EttLNS_18Fp8KVCacheDataTypeE0EEEvPKlPT_S7_PKS6_PKT0_illlliPT3_S5_iiiiPKf.kd
    .uniform_work_group_size: 1
    .uses_dynamic_stack: false
    .vgpr_count:     24
    .vgpr_spill_count: 0
    .wavefront_size: 64
  - .agpr_count:     0
    .args:
      - .actual_access:  read_only
        .address_space:  global
        .offset:         0
        .size:           8
        .value_kind:     global_buffer
      - .address_space:  global
        .offset:         8
        .size:           8
        .value_kind:     global_buffer
      - .address_space:  global
        .offset:         16
        .size:           8
        .value_kind:     global_buffer
      - .actual_access:  read_only
        .address_space:  global
        .offset:         24
        .size:           8
        .value_kind:     global_buffer
      - .actual_access:  read_only
        .address_space:  global
        .offset:         32
        .size:           8
        .value_kind:     global_buffer
      - .offset:         40
        .size:           4
        .value_kind:     by_value
      - .offset:         48
        .size:           8
        .value_kind:     by_value
      - .offset:         56
        .size:           8
        .value_kind:     by_value
      - .offset:         64
        .size:           8
        .value_kind:     by_value
      - .offset:         72
        .size:           8
        .value_kind:     by_value
      - .offset:         80
        .size:           4
        .value_kind:     by_value
      - .actual_access:  write_only
        .address_space:  global
        .offset:         88
        .size:           8
        .value_kind:     global_buffer
      - .actual_access:  read_only
        .address_space:  global
        .offset:         96
        .size:           8
        .value_kind:     global_buffer
      - .offset:         104
        .size:           4
        .value_kind:     by_value
      - .offset:         108
        .size:           4
        .value_kind:     by_value
      - .offset:         112
        .size:           4
        .value_kind:     by_value
      - .offset:         116
        .size:           4
        .value_kind:     by_value
      - .address_space:  global
        .offset:         120
        .size:           8
        .value_kind:     global_buffer
      - .offset:         128
        .size:           4
        .value_kind:     hidden_block_count_x
      - .offset:         132
        .size:           4
        .value_kind:     hidden_block_count_y
      - .offset:         136
        .size:           4
        .value_kind:     hidden_block_count_z
      - .offset:         140
        .size:           2
        .value_kind:     hidden_group_size_x
      - .offset:         142
        .size:           2
        .value_kind:     hidden_group_size_y
      - .offset:         144
        .size:           2
        .value_kind:     hidden_group_size_z
      - .offset:         146
        .size:           2
        .value_kind:     hidden_remainder_x
      - .offset:         148
        .size:           2
        .value_kind:     hidden_remainder_y
      - .offset:         150
        .size:           2
        .value_kind:     hidden_remainder_z
      - .offset:         168
        .size:           8
        .value_kind:     hidden_global_offset_x
      - .offset:         176
        .size:           8
        .value_kind:     hidden_global_offset_y
      - .offset:         184
        .size:           8
        .value_kind:     hidden_global_offset_z
      - .offset:         192
        .size:           2
        .value_kind:     hidden_grid_dims
    .group_segment_fixed_size: 0
    .kernarg_segment_align: 8
    .kernarg_segment_size: 384
    .language:       OpenCL C
    .language_version:
      - 2
      - 0
    .max_flat_workgroup_size: 1024
    .name:           _ZN4vllm38concat_and_cache_mla_rope_fused_kernelIN3c108BFloat16ENS1_4HalfELb1EttLNS_18Fp8KVCacheDataTypeE0EEEvPKlPT_S8_PKS7_PKT0_illlliPT3_S6_iiiiPKf
    .private_segment_fixed_size: 0
    .sgpr_count:     51
    .sgpr_spill_count: 0
    .symbol:         _ZN4vllm38concat_and_cache_mla_rope_fused_kernelIN3c108BFloat16ENS1_4HalfELb1EttLNS_18Fp8KVCacheDataTypeE0EEEvPKlPT_S8_PKS7_PKT0_illlliPT3_S6_iiiiPKf.kd
    .uniform_work_group_size: 1
    .uses_dynamic_stack: false
    .vgpr_count:     23
    .vgpr_spill_count: 0
    .wavefront_size: 64
  - .agpr_count:     0
    .args:
      - .actual_access:  read_only
        .address_space:  global
        .offset:         0
        .size:           8
        .value_kind:     global_buffer
      - .address_space:  global
        .offset:         8
        .size:           8
        .value_kind:     global_buffer
      - .address_space:  global
        .offset:         16
        .size:           8
        .value_kind:     global_buffer
      - .actual_access:  read_only
        .address_space:  global
        .offset:         24
        .size:           8
        .value_kind:     global_buffer
      - .actual_access:  read_only
        .address_space:  global
        .offset:         32
        .size:           8
        .value_kind:     global_buffer
      - .offset:         40
        .size:           4
        .value_kind:     by_value
      - .offset:         48
        .size:           8
        .value_kind:     by_value
      - .offset:         56
        .size:           8
        .value_kind:     by_value
      - .offset:         64
        .size:           8
        .value_kind:     by_value
      - .offset:         72
        .size:           8
        .value_kind:     by_value
      - .offset:         80
        .size:           4
        .value_kind:     by_value
      - .actual_access:  write_only
        .address_space:  global
        .offset:         88
        .size:           8
        .value_kind:     global_buffer
      - .actual_access:  read_only
        .address_space:  global
        .offset:         96
        .size:           8
        .value_kind:     global_buffer
      - .offset:         104
        .size:           4
        .value_kind:     by_value
      - .offset:         108
        .size:           4
        .value_kind:     by_value
      - .offset:         112
        .size:           4
        .value_kind:     by_value
      - .offset:         116
        .size:           4
        .value_kind:     by_value
      - .address_space:  global
        .offset:         120
        .size:           8
        .value_kind:     global_buffer
      - .offset:         128
        .size:           4
        .value_kind:     hidden_block_count_x
      - .offset:         132
        .size:           4
        .value_kind:     hidden_block_count_y
      - .offset:         136
        .size:           4
        .value_kind:     hidden_block_count_z
      - .offset:         140
        .size:           2
        .value_kind:     hidden_group_size_x
      - .offset:         142
        .size:           2
        .value_kind:     hidden_group_size_y
      - .offset:         144
        .size:           2
        .value_kind:     hidden_group_size_z
      - .offset:         146
        .size:           2
        .value_kind:     hidden_remainder_x
      - .offset:         148
        .size:           2
        .value_kind:     hidden_remainder_y
      - .offset:         150
        .size:           2
        .value_kind:     hidden_remainder_z
      - .offset:         168
        .size:           8
        .value_kind:     hidden_global_offset_x
      - .offset:         176
        .size:           8
        .value_kind:     hidden_global_offset_y
      - .offset:         184
        .size:           8
        .value_kind:     hidden_global_offset_z
      - .offset:         192
        .size:           2
        .value_kind:     hidden_grid_dims
    .group_segment_fixed_size: 0
    .kernarg_segment_align: 8
    .kernarg_segment_size: 384
    .language:       OpenCL C
    .language_version:
      - 2
      - 0
    .max_flat_workgroup_size: 1024
    .name:           _ZN4vllm38concat_and_cache_mla_rope_fused_kernelIN3c108BFloat16ENS1_4HalfELb0EttLNS_18Fp8KVCacheDataTypeE0EEEvPKlPT_S8_PKS7_PKT0_illlliPT3_S6_iiiiPKf
    .private_segment_fixed_size: 0
    .sgpr_count:     47
    .sgpr_spill_count: 0
    .symbol:         _ZN4vllm38concat_and_cache_mla_rope_fused_kernelIN3c108BFloat16ENS1_4HalfELb0EttLNS_18Fp8KVCacheDataTypeE0EEEvPKlPT_S8_PKS7_PKT0_illlliPT3_S6_iiiiPKf.kd
    .uniform_work_group_size: 1
    .uses_dynamic_stack: false
    .vgpr_count:     24
    .vgpr_spill_count: 0
    .wavefront_size: 64
  - .agpr_count:     0
    .args:
      - .actual_access:  read_only
        .address_space:  global
        .offset:         0
        .size:           8
        .value_kind:     global_buffer
      - .address_space:  global
        .offset:         8
        .size:           8
        .value_kind:     global_buffer
      - .address_space:  global
        .offset:         16
        .size:           8
        .value_kind:     global_buffer
      - .actual_access:  read_only
        .address_space:  global
        .offset:         24
        .size:           8
        .value_kind:     global_buffer
      - .actual_access:  read_only
        .address_space:  global
        .offset:         32
        .size:           8
        .value_kind:     global_buffer
      - .offset:         40
        .size:           4
        .value_kind:     by_value
      - .offset:         48
        .size:           8
        .value_kind:     by_value
      - .offset:         56
        .size:           8
        .value_kind:     by_value
      - .offset:         64
        .size:           8
        .value_kind:     by_value
      - .offset:         72
        .size:           8
        .value_kind:     by_value
      - .offset:         80
        .size:           4
        .value_kind:     by_value
      - .actual_access:  write_only
        .address_space:  global
        .offset:         88
        .size:           8
        .value_kind:     global_buffer
      - .actual_access:  read_only
        .address_space:  global
        .offset:         96
        .size:           8
        .value_kind:     global_buffer
      - .offset:         104
        .size:           4
        .value_kind:     by_value
      - .offset:         108
        .size:           4
        .value_kind:     by_value
      - .offset:         112
        .size:           4
        .value_kind:     by_value
      - .offset:         116
        .size:           4
        .value_kind:     by_value
      - .address_space:  global
        .offset:         120
        .size:           8
        .value_kind:     global_buffer
      - .offset:         128
        .size:           4
        .value_kind:     hidden_block_count_x
      - .offset:         132
        .size:           4
        .value_kind:     hidden_block_count_y
      - .offset:         136
        .size:           4
        .value_kind:     hidden_block_count_z
      - .offset:         140
        .size:           2
        .value_kind:     hidden_group_size_x
      - .offset:         142
        .size:           2
        .value_kind:     hidden_group_size_y
      - .offset:         144
        .size:           2
        .value_kind:     hidden_group_size_z
      - .offset:         146
        .size:           2
        .value_kind:     hidden_remainder_x
      - .offset:         148
        .size:           2
        .value_kind:     hidden_remainder_y
      - .offset:         150
        .size:           2
        .value_kind:     hidden_remainder_z
      - .offset:         168
        .size:           8
        .value_kind:     hidden_global_offset_x
      - .offset:         176
        .size:           8
        .value_kind:     hidden_global_offset_y
      - .offset:         184
        .size:           8
        .value_kind:     hidden_global_offset_z
      - .offset:         192
        .size:           2
        .value_kind:     hidden_grid_dims
    .group_segment_fixed_size: 0
    .kernarg_segment_align: 8
    .kernarg_segment_size: 384
    .language:       OpenCL C
    .language_version:
      - 2
      - 0
    .max_flat_workgroup_size: 1024
    .name:           _ZN4vllm38concat_and_cache_mla_rope_fused_kernelIN3c108BFloat16ES2_Lb1EttLNS_18Fp8KVCacheDataTypeE0EEEvPKlPT_S7_PKS6_PKT0_illlliPT3_S5_iiiiPKf
    .private_segment_fixed_size: 0
    .sgpr_count:     51
    .sgpr_spill_count: 0
    .symbol:         _ZN4vllm38concat_and_cache_mla_rope_fused_kernelIN3c108BFloat16ES2_Lb1EttLNS_18Fp8KVCacheDataTypeE0EEEvPKlPT_S7_PKS6_PKT0_illlliPT3_S5_iiiiPKf.kd
    .uniform_work_group_size: 1
    .uses_dynamic_stack: false
    .vgpr_count:     21
    .vgpr_spill_count: 0
    .wavefront_size: 64
  - .agpr_count:     0
    .args:
      - .actual_access:  read_only
        .address_space:  global
        .offset:         0
        .size:           8
        .value_kind:     global_buffer
      - .address_space:  global
        .offset:         8
        .size:           8
        .value_kind:     global_buffer
      - .address_space:  global
        .offset:         16
        .size:           8
        .value_kind:     global_buffer
      - .actual_access:  read_only
        .address_space:  global
        .offset:         24
        .size:           8
        .value_kind:     global_buffer
      - .actual_access:  read_only
        .address_space:  global
        .offset:         32
        .size:           8
        .value_kind:     global_buffer
      - .offset:         40
        .size:           4
        .value_kind:     by_value
      - .offset:         48
        .size:           8
        .value_kind:     by_value
      - .offset:         56
        .size:           8
        .value_kind:     by_value
      - .offset:         64
        .size:           8
        .value_kind:     by_value
      - .offset:         72
        .size:           8
        .value_kind:     by_value
      - .offset:         80
        .size:           4
        .value_kind:     by_value
      - .actual_access:  write_only
        .address_space:  global
        .offset:         88
        .size:           8
        .value_kind:     global_buffer
      - .actual_access:  read_only
        .address_space:  global
        .offset:         96
        .size:           8
        .value_kind:     global_buffer
      - .offset:         104
        .size:           4
        .value_kind:     by_value
      - .offset:         108
        .size:           4
        .value_kind:     by_value
      - .offset:         112
        .size:           4
        .value_kind:     by_value
      - .offset:         116
        .size:           4
        .value_kind:     by_value
      - .address_space:  global
        .offset:         120
        .size:           8
        .value_kind:     global_buffer
      - .offset:         128
        .size:           4
        .value_kind:     hidden_block_count_x
      - .offset:         132
        .size:           4
        .value_kind:     hidden_block_count_y
      - .offset:         136
        .size:           4
        .value_kind:     hidden_block_count_z
      - .offset:         140
        .size:           2
        .value_kind:     hidden_group_size_x
      - .offset:         142
        .size:           2
        .value_kind:     hidden_group_size_y
      - .offset:         144
        .size:           2
        .value_kind:     hidden_group_size_z
      - .offset:         146
        .size:           2
        .value_kind:     hidden_remainder_x
      - .offset:         148
        .size:           2
        .value_kind:     hidden_remainder_y
      - .offset:         150
        .size:           2
        .value_kind:     hidden_remainder_z
      - .offset:         168
        .size:           8
        .value_kind:     hidden_global_offset_x
      - .offset:         176
        .size:           8
        .value_kind:     hidden_global_offset_y
      - .offset:         184
        .size:           8
        .value_kind:     hidden_global_offset_z
      - .offset:         192
        .size:           2
        .value_kind:     hidden_grid_dims
    .group_segment_fixed_size: 0
    .kernarg_segment_align: 8
    .kernarg_segment_size: 384
    .language:       OpenCL C
    .language_version:
      - 2
      - 0
    .max_flat_workgroup_size: 1024
    .name:           _ZN4vllm38concat_and_cache_mla_rope_fused_kernelIN3c108BFloat16ES2_Lb0EttLNS_18Fp8KVCacheDataTypeE0EEEvPKlPT_S7_PKS6_PKT0_illlliPT3_S5_iiiiPKf
    .private_segment_fixed_size: 0
    .sgpr_count:     47
    .sgpr_spill_count: 0
    .symbol:         _ZN4vllm38concat_and_cache_mla_rope_fused_kernelIN3c108BFloat16ES2_Lb0EttLNS_18Fp8KVCacheDataTypeE0EEEvPKlPT_S7_PKS6_PKT0_illlliPT3_S5_iiiiPKf.kd
    .uniform_work_group_size: 1
    .uses_dynamic_stack: false
    .vgpr_count:     24
    .vgpr_spill_count: 0
    .wavefront_size: 64
  - .agpr_count:     0
    .args:
      - .actual_access:  read_only
        .address_space:  global
        .offset:         0
        .size:           8
        .value_kind:     global_buffer
      - .address_space:  global
        .offset:         8
        .size:           8
        .value_kind:     global_buffer
      - .address_space:  global
        .offset:         16
        .size:           8
        .value_kind:     global_buffer
      - .actual_access:  read_only
        .address_space:  global
        .offset:         24
        .size:           8
        .value_kind:     global_buffer
      - .actual_access:  read_only
        .address_space:  global
        .offset:         32
        .size:           8
        .value_kind:     global_buffer
      - .offset:         40
        .size:           4
        .value_kind:     by_value
      - .offset:         48
        .size:           8
        .value_kind:     by_value
      - .offset:         56
        .size:           8
        .value_kind:     by_value
      - .offset:         64
        .size:           8
        .value_kind:     by_value
      - .offset:         72
        .size:           8
        .value_kind:     by_value
      - .offset:         80
        .size:           4
        .value_kind:     by_value
      - .actual_access:  write_only
        .address_space:  global
        .offset:         88
        .size:           8
        .value_kind:     global_buffer
      - .actual_access:  read_only
        .address_space:  global
        .offset:         96
        .size:           8
        .value_kind:     global_buffer
      - .offset:         104
        .size:           4
        .value_kind:     by_value
      - .offset:         108
        .size:           4
        .value_kind:     by_value
      - .offset:         112
        .size:           4
        .value_kind:     by_value
      - .offset:         116
        .size:           4
        .value_kind:     by_value
      - .address_space:  global
        .offset:         120
        .size:           8
        .value_kind:     global_buffer
      - .offset:         128
        .size:           4
        .value_kind:     hidden_block_count_x
      - .offset:         132
        .size:           4
        .value_kind:     hidden_block_count_y
      - .offset:         136
        .size:           4
        .value_kind:     hidden_block_count_z
      - .offset:         140
        .size:           2
        .value_kind:     hidden_group_size_x
      - .offset:         142
        .size:           2
        .value_kind:     hidden_group_size_y
      - .offset:         144
        .size:           2
        .value_kind:     hidden_group_size_z
      - .offset:         146
        .size:           2
        .value_kind:     hidden_remainder_x
      - .offset:         148
        .size:           2
        .value_kind:     hidden_remainder_y
      - .offset:         150
        .size:           2
        .value_kind:     hidden_remainder_z
      - .offset:         168
        .size:           8
        .value_kind:     hidden_global_offset_x
      - .offset:         176
        .size:           8
        .value_kind:     hidden_global_offset_y
      - .offset:         184
        .size:           8
        .value_kind:     hidden_global_offset_z
      - .offset:         192
        .size:           2
        .value_kind:     hidden_grid_dims
    .group_segment_fixed_size: 0
    .kernarg_segment_align: 8
    .kernarg_segment_size: 384
    .language:       OpenCL C
    .language_version:
      - 2
      - 0
    .max_flat_workgroup_size: 1024
    .name:           _ZN4vllm38concat_and_cache_mla_rope_fused_kernelIffLb1E14__hip_bfloat16S1_LNS_18Fp8KVCacheDataTypeE0EEEvPKlPT_S6_PKS5_PKT0_illlliPT3_S4_iiiiPKf
    .private_segment_fixed_size: 0
    .sgpr_count:     54
    .sgpr_spill_count: 0
    .symbol:         _ZN4vllm38concat_and_cache_mla_rope_fused_kernelIffLb1E14__hip_bfloat16S1_LNS_18Fp8KVCacheDataTypeE0EEEvPKlPT_S6_PKS5_PKT0_illlliPT3_S4_iiiiPKf.kd
    .uniform_work_group_size: 1
    .uses_dynamic_stack: false
    .vgpr_count:     19
    .vgpr_spill_count: 0
    .wavefront_size: 64
  - .agpr_count:     0
    .args:
      - .actual_access:  read_only
        .address_space:  global
        .offset:         0
        .size:           8
        .value_kind:     global_buffer
      - .address_space:  global
        .offset:         8
        .size:           8
        .value_kind:     global_buffer
      - .address_space:  global
        .offset:         16
        .size:           8
        .value_kind:     global_buffer
      - .actual_access:  read_only
        .address_space:  global
        .offset:         24
        .size:           8
        .value_kind:     global_buffer
      - .actual_access:  read_only
        .address_space:  global
        .offset:         32
        .size:           8
        .value_kind:     global_buffer
      - .offset:         40
        .size:           4
        .value_kind:     by_value
      - .offset:         48
        .size:           8
        .value_kind:     by_value
      - .offset:         56
        .size:           8
        .value_kind:     by_value
      - .offset:         64
        .size:           8
        .value_kind:     by_value
      - .offset:         72
        .size:           8
        .value_kind:     by_value
      - .offset:         80
        .size:           4
        .value_kind:     by_value
      - .actual_access:  write_only
        .address_space:  global
        .offset:         88
        .size:           8
        .value_kind:     global_buffer
      - .actual_access:  read_only
        .address_space:  global
        .offset:         96
        .size:           8
        .value_kind:     global_buffer
      - .offset:         104
        .size:           4
        .value_kind:     by_value
      - .offset:         108
        .size:           4
        .value_kind:     by_value
      - .offset:         112
        .size:           4
        .value_kind:     by_value
      - .offset:         116
        .size:           4
        .value_kind:     by_value
      - .address_space:  global
        .offset:         120
        .size:           8
        .value_kind:     global_buffer
      - .offset:         128
        .size:           4
        .value_kind:     hidden_block_count_x
      - .offset:         132
        .size:           4
        .value_kind:     hidden_block_count_y
      - .offset:         136
        .size:           4
        .value_kind:     hidden_block_count_z
      - .offset:         140
        .size:           2
        .value_kind:     hidden_group_size_x
      - .offset:         142
        .size:           2
        .value_kind:     hidden_group_size_y
      - .offset:         144
        .size:           2
        .value_kind:     hidden_group_size_z
      - .offset:         146
        .size:           2
        .value_kind:     hidden_remainder_x
      - .offset:         148
        .size:           2
        .value_kind:     hidden_remainder_y
      - .offset:         150
        .size:           2
        .value_kind:     hidden_remainder_z
      - .offset:         168
        .size:           8
        .value_kind:     hidden_global_offset_x
      - .offset:         176
        .size:           8
        .value_kind:     hidden_global_offset_y
      - .offset:         184
        .size:           8
        .value_kind:     hidden_global_offset_z
      - .offset:         192
        .size:           2
        .value_kind:     hidden_grid_dims
    .group_segment_fixed_size: 0
    .kernarg_segment_align: 8
    .kernarg_segment_size: 384
    .language:       OpenCL C
    .language_version:
      - 2
      - 0
    .max_flat_workgroup_size: 1024
    .name:           _ZN4vllm38concat_and_cache_mla_rope_fused_kernelIffLb0E14__hip_bfloat16S1_LNS_18Fp8KVCacheDataTypeE0EEEvPKlPT_S6_PKS5_PKT0_illlliPT3_S4_iiiiPKf
    .private_segment_fixed_size: 0
    .sgpr_count:     47
    .sgpr_spill_count: 0
    .symbol:         _ZN4vllm38concat_and_cache_mla_rope_fused_kernelIffLb0E14__hip_bfloat16S1_LNS_18Fp8KVCacheDataTypeE0EEEvPKlPT_S6_PKS5_PKT0_illlliPT3_S4_iiiiPKf.kd
    .uniform_work_group_size: 1
    .uses_dynamic_stack: false
    .vgpr_count:     20
    .vgpr_spill_count: 0
    .wavefront_size: 64
  - .agpr_count:     0
    .args:
      - .actual_access:  read_only
        .address_space:  global
        .offset:         0
        .size:           8
        .value_kind:     global_buffer
      - .address_space:  global
        .offset:         8
        .size:           8
        .value_kind:     global_buffer
      - .address_space:  global
        .offset:         16
        .size:           8
        .value_kind:     global_buffer
      - .actual_access:  read_only
        .address_space:  global
        .offset:         24
        .size:           8
        .value_kind:     global_buffer
      - .actual_access:  read_only
        .address_space:  global
        .offset:         32
        .size:           8
        .value_kind:     global_buffer
      - .offset:         40
        .size:           4
        .value_kind:     by_value
      - .offset:         48
        .size:           8
        .value_kind:     by_value
      - .offset:         56
        .size:           8
        .value_kind:     by_value
      - .offset:         64
        .size:           8
        .value_kind:     by_value
      - .offset:         72
        .size:           8
        .value_kind:     by_value
      - .offset:         80
        .size:           4
        .value_kind:     by_value
      - .actual_access:  write_only
        .address_space:  global
        .offset:         88
        .size:           8
        .value_kind:     global_buffer
      - .actual_access:  read_only
        .address_space:  global
        .offset:         96
        .size:           8
        .value_kind:     global_buffer
      - .offset:         104
        .size:           4
        .value_kind:     by_value
      - .offset:         108
        .size:           4
        .value_kind:     by_value
      - .offset:         112
        .size:           4
        .value_kind:     by_value
      - .offset:         116
        .size:           4
        .value_kind:     by_value
      - .address_space:  global
        .offset:         120
        .size:           8
        .value_kind:     global_buffer
      - .offset:         128
        .size:           4
        .value_kind:     hidden_block_count_x
      - .offset:         132
        .size:           4
        .value_kind:     hidden_block_count_y
      - .offset:         136
        .size:           4
        .value_kind:     hidden_block_count_z
      - .offset:         140
        .size:           2
        .value_kind:     hidden_group_size_x
      - .offset:         142
        .size:           2
        .value_kind:     hidden_group_size_y
      - .offset:         144
        .size:           2
        .value_kind:     hidden_group_size_z
      - .offset:         146
        .size:           2
        .value_kind:     hidden_remainder_x
      - .offset:         148
        .size:           2
        .value_kind:     hidden_remainder_y
      - .offset:         150
        .size:           2
        .value_kind:     hidden_remainder_z
      - .offset:         168
        .size:           8
        .value_kind:     hidden_global_offset_x
      - .offset:         176
        .size:           8
        .value_kind:     hidden_global_offset_y
      - .offset:         184
        .size:           8
        .value_kind:     hidden_global_offset_z
      - .offset:         192
        .size:           2
        .value_kind:     hidden_grid_dims
    .group_segment_fixed_size: 0
    .kernarg_segment_align: 8
    .kernarg_segment_size: 384
    .language:       OpenCL C
    .language_version:
      - 2
      - 0
    .max_flat_workgroup_size: 1024
    .name:           _ZN4vllm38concat_and_cache_mla_rope_fused_kernelIfN3c104HalfELb1E14__hip_bfloat16S3_LNS_18Fp8KVCacheDataTypeE0EEEvPKlPT_S8_PKS7_PKT0_illlliPT3_S6_iiiiPKf
    .private_segment_fixed_size: 0
    .sgpr_count:     50
    .sgpr_spill_count: 0
    .symbol:         _ZN4vllm38concat_and_cache_mla_rope_fused_kernelIfN3c104HalfELb1E14__hip_bfloat16S3_LNS_18Fp8KVCacheDataTypeE0EEEvPKlPT_S8_PKS7_PKT0_illlliPT3_S6_iiiiPKf.kd
    .uniform_work_group_size: 1
    .uses_dynamic_stack: false
    .vgpr_count:     19
    .vgpr_spill_count: 0
    .wavefront_size: 64
  - .agpr_count:     0
    .args:
      - .actual_access:  read_only
        .address_space:  global
        .offset:         0
        .size:           8
        .value_kind:     global_buffer
      - .address_space:  global
        .offset:         8
        .size:           8
        .value_kind:     global_buffer
      - .address_space:  global
        .offset:         16
        .size:           8
        .value_kind:     global_buffer
      - .actual_access:  read_only
        .address_space:  global
        .offset:         24
        .size:           8
        .value_kind:     global_buffer
      - .actual_access:  read_only
        .address_space:  global
        .offset:         32
        .size:           8
        .value_kind:     global_buffer
      - .offset:         40
        .size:           4
        .value_kind:     by_value
      - .offset:         48
        .size:           8
        .value_kind:     by_value
      - .offset:         56
        .size:           8
        .value_kind:     by_value
      - .offset:         64
        .size:           8
        .value_kind:     by_value
      - .offset:         72
        .size:           8
        .value_kind:     by_value
      - .offset:         80
        .size:           4
        .value_kind:     by_value
      - .actual_access:  write_only
        .address_space:  global
        .offset:         88
        .size:           8
        .value_kind:     global_buffer
      - .actual_access:  read_only
        .address_space:  global
        .offset:         96
        .size:           8
        .value_kind:     global_buffer
      - .offset:         104
        .size:           4
        .value_kind:     by_value
      - .offset:         108
        .size:           4
        .value_kind:     by_value
      - .offset:         112
        .size:           4
        .value_kind:     by_value
      - .offset:         116
        .size:           4
        .value_kind:     by_value
      - .address_space:  global
        .offset:         120
        .size:           8
        .value_kind:     global_buffer
      - .offset:         128
        .size:           4
        .value_kind:     hidden_block_count_x
      - .offset:         132
        .size:           4
        .value_kind:     hidden_block_count_y
      - .offset:         136
        .size:           4
        .value_kind:     hidden_block_count_z
      - .offset:         140
        .size:           2
        .value_kind:     hidden_group_size_x
      - .offset:         142
        .size:           2
        .value_kind:     hidden_group_size_y
      - .offset:         144
        .size:           2
        .value_kind:     hidden_group_size_z
      - .offset:         146
        .size:           2
        .value_kind:     hidden_remainder_x
      - .offset:         148
        .size:           2
        .value_kind:     hidden_remainder_y
      - .offset:         150
        .size:           2
        .value_kind:     hidden_remainder_z
      - .offset:         168
        .size:           8
        .value_kind:     hidden_global_offset_x
      - .offset:         176
        .size:           8
        .value_kind:     hidden_global_offset_y
      - .offset:         184
        .size:           8
        .value_kind:     hidden_global_offset_z
      - .offset:         192
        .size:           2
        .value_kind:     hidden_grid_dims
    .group_segment_fixed_size: 0
    .kernarg_segment_align: 8
    .kernarg_segment_size: 384
    .language:       OpenCL C
    .language_version:
      - 2
      - 0
    .max_flat_workgroup_size: 1024
    .name:           _ZN4vllm38concat_and_cache_mla_rope_fused_kernelIfN3c104HalfELb0E14__hip_bfloat16S3_LNS_18Fp8KVCacheDataTypeE0EEEvPKlPT_S8_PKS7_PKT0_illlliPT3_S6_iiiiPKf
    .private_segment_fixed_size: 0
    .sgpr_count:     47
    .sgpr_spill_count: 0
    .symbol:         _ZN4vllm38concat_and_cache_mla_rope_fused_kernelIfN3c104HalfELb0E14__hip_bfloat16S3_LNS_18Fp8KVCacheDataTypeE0EEEvPKlPT_S8_PKS7_PKT0_illlliPT3_S6_iiiiPKf.kd
    .uniform_work_group_size: 1
    .uses_dynamic_stack: false
    .vgpr_count:     20
    .vgpr_spill_count: 0
    .wavefront_size: 64
  - .agpr_count:     0
    .args:
      - .actual_access:  read_only
        .address_space:  global
        .offset:         0
        .size:           8
        .value_kind:     global_buffer
      - .address_space:  global
        .offset:         8
        .size:           8
        .value_kind:     global_buffer
      - .address_space:  global
        .offset:         16
        .size:           8
        .value_kind:     global_buffer
      - .actual_access:  read_only
        .address_space:  global
        .offset:         24
        .size:           8
        .value_kind:     global_buffer
      - .actual_access:  read_only
        .address_space:  global
        .offset:         32
        .size:           8
        .value_kind:     global_buffer
      - .offset:         40
        .size:           4
        .value_kind:     by_value
      - .offset:         48
        .size:           8
        .value_kind:     by_value
      - .offset:         56
        .size:           8
        .value_kind:     by_value
      - .offset:         64
        .size:           8
        .value_kind:     by_value
      - .offset:         72
        .size:           8
        .value_kind:     by_value
      - .offset:         80
        .size:           4
        .value_kind:     by_value
      - .actual_access:  write_only
        .address_space:  global
        .offset:         88
        .size:           8
        .value_kind:     global_buffer
      - .actual_access:  read_only
        .address_space:  global
        .offset:         96
        .size:           8
        .value_kind:     global_buffer
      - .offset:         104
        .size:           4
        .value_kind:     by_value
      - .offset:         108
        .size:           4
        .value_kind:     by_value
      - .offset:         112
        .size:           4
        .value_kind:     by_value
      - .offset:         116
        .size:           4
        .value_kind:     by_value
      - .address_space:  global
        .offset:         120
        .size:           8
        .value_kind:     global_buffer
      - .offset:         128
        .size:           4
        .value_kind:     hidden_block_count_x
      - .offset:         132
        .size:           4
        .value_kind:     hidden_block_count_y
      - .offset:         136
        .size:           4
        .value_kind:     hidden_block_count_z
      - .offset:         140
        .size:           2
        .value_kind:     hidden_group_size_x
      - .offset:         142
        .size:           2
        .value_kind:     hidden_group_size_y
      - .offset:         144
        .size:           2
        .value_kind:     hidden_group_size_z
      - .offset:         146
        .size:           2
        .value_kind:     hidden_remainder_x
      - .offset:         148
        .size:           2
        .value_kind:     hidden_remainder_y
      - .offset:         150
        .size:           2
        .value_kind:     hidden_remainder_z
      - .offset:         168
        .size:           8
        .value_kind:     hidden_global_offset_x
      - .offset:         176
        .size:           8
        .value_kind:     hidden_global_offset_y
      - .offset:         184
        .size:           8
        .value_kind:     hidden_global_offset_z
      - .offset:         192
        .size:           2
        .value_kind:     hidden_grid_dims
    .group_segment_fixed_size: 0
    .kernarg_segment_align: 8
    .kernarg_segment_size: 384
    .language:       OpenCL C
    .language_version:
      - 2
      - 0
    .max_flat_workgroup_size: 1024
    .name:           _ZN4vllm38concat_and_cache_mla_rope_fused_kernelIfN3c108BFloat16ELb1E14__hip_bfloat16S3_LNS_18Fp8KVCacheDataTypeE0EEEvPKlPT_S8_PKS7_PKT0_illlliPT3_S6_iiiiPKf
    .private_segment_fixed_size: 0
    .sgpr_count:     50
    .sgpr_spill_count: 0
    .symbol:         _ZN4vllm38concat_and_cache_mla_rope_fused_kernelIfN3c108BFloat16ELb1E14__hip_bfloat16S3_LNS_18Fp8KVCacheDataTypeE0EEEvPKlPT_S8_PKS7_PKT0_illlliPT3_S6_iiiiPKf.kd
    .uniform_work_group_size: 1
    .uses_dynamic_stack: false
    .vgpr_count:     18
    .vgpr_spill_count: 0
    .wavefront_size: 64
  - .agpr_count:     0
    .args:
      - .actual_access:  read_only
        .address_space:  global
        .offset:         0
        .size:           8
        .value_kind:     global_buffer
      - .address_space:  global
        .offset:         8
        .size:           8
        .value_kind:     global_buffer
      - .address_space:  global
        .offset:         16
        .size:           8
        .value_kind:     global_buffer
      - .actual_access:  read_only
        .address_space:  global
        .offset:         24
        .size:           8
        .value_kind:     global_buffer
      - .actual_access:  read_only
        .address_space:  global
        .offset:         32
        .size:           8
        .value_kind:     global_buffer
      - .offset:         40
        .size:           4
        .value_kind:     by_value
      - .offset:         48
        .size:           8
        .value_kind:     by_value
      - .offset:         56
        .size:           8
        .value_kind:     by_value
      - .offset:         64
        .size:           8
        .value_kind:     by_value
      - .offset:         72
        .size:           8
        .value_kind:     by_value
      - .offset:         80
        .size:           4
        .value_kind:     by_value
      - .actual_access:  write_only
        .address_space:  global
        .offset:         88
        .size:           8
        .value_kind:     global_buffer
      - .actual_access:  read_only
        .address_space:  global
        .offset:         96
        .size:           8
        .value_kind:     global_buffer
      - .offset:         104
        .size:           4
        .value_kind:     by_value
      - .offset:         108
        .size:           4
        .value_kind:     by_value
      - .offset:         112
        .size:           4
        .value_kind:     by_value
      - .offset:         116
        .size:           4
        .value_kind:     by_value
      - .address_space:  global
        .offset:         120
        .size:           8
        .value_kind:     global_buffer
      - .offset:         128
        .size:           4
        .value_kind:     hidden_block_count_x
      - .offset:         132
        .size:           4
        .value_kind:     hidden_block_count_y
      - .offset:         136
        .size:           4
        .value_kind:     hidden_block_count_z
      - .offset:         140
        .size:           2
        .value_kind:     hidden_group_size_x
      - .offset:         142
        .size:           2
        .value_kind:     hidden_group_size_y
      - .offset:         144
        .size:           2
        .value_kind:     hidden_group_size_z
      - .offset:         146
        .size:           2
        .value_kind:     hidden_remainder_x
      - .offset:         148
        .size:           2
        .value_kind:     hidden_remainder_y
      - .offset:         150
        .size:           2
        .value_kind:     hidden_remainder_z
      - .offset:         168
        .size:           8
        .value_kind:     hidden_global_offset_x
      - .offset:         176
        .size:           8
        .value_kind:     hidden_global_offset_y
      - .offset:         184
        .size:           8
        .value_kind:     hidden_global_offset_z
      - .offset:         192
        .size:           2
        .value_kind:     hidden_grid_dims
    .group_segment_fixed_size: 0
    .kernarg_segment_align: 8
    .kernarg_segment_size: 384
    .language:       OpenCL C
    .language_version:
      - 2
      - 0
    .max_flat_workgroup_size: 1024
    .name:           _ZN4vllm38concat_and_cache_mla_rope_fused_kernelIfN3c108BFloat16ELb0E14__hip_bfloat16S3_LNS_18Fp8KVCacheDataTypeE0EEEvPKlPT_S8_PKS7_PKT0_illlliPT3_S6_iiiiPKf
    .private_segment_fixed_size: 0
    .sgpr_count:     47
    .sgpr_spill_count: 0
    .symbol:         _ZN4vllm38concat_and_cache_mla_rope_fused_kernelIfN3c108BFloat16ELb0E14__hip_bfloat16S3_LNS_18Fp8KVCacheDataTypeE0EEEvPKlPT_S8_PKS7_PKT0_illlliPT3_S6_iiiiPKf.kd
    .uniform_work_group_size: 1
    .uses_dynamic_stack: false
    .vgpr_count:     20
    .vgpr_spill_count: 0
    .wavefront_size: 64
  - .agpr_count:     0
    .args:
      - .actual_access:  read_only
        .address_space:  global
        .offset:         0
        .size:           8
        .value_kind:     global_buffer
      - .address_space:  global
        .offset:         8
        .size:           8
        .value_kind:     global_buffer
      - .address_space:  global
        .offset:         16
        .size:           8
        .value_kind:     global_buffer
      - .actual_access:  read_only
        .address_space:  global
        .offset:         24
        .size:           8
        .value_kind:     global_buffer
      - .actual_access:  read_only
        .address_space:  global
        .offset:         32
        .size:           8
        .value_kind:     global_buffer
      - .offset:         40
        .size:           4
        .value_kind:     by_value
      - .offset:         48
        .size:           8
        .value_kind:     by_value
      - .offset:         56
        .size:           8
        .value_kind:     by_value
      - .offset:         64
        .size:           8
        .value_kind:     by_value
      - .offset:         72
        .size:           8
        .value_kind:     by_value
      - .offset:         80
        .size:           4
        .value_kind:     by_value
      - .actual_access:  write_only
        .address_space:  global
        .offset:         88
        .size:           8
        .value_kind:     global_buffer
      - .actual_access:  read_only
        .address_space:  global
        .offset:         96
        .size:           8
        .value_kind:     global_buffer
      - .offset:         104
        .size:           4
        .value_kind:     by_value
      - .offset:         108
        .size:           4
        .value_kind:     by_value
      - .offset:         112
        .size:           4
        .value_kind:     by_value
      - .offset:         116
        .size:           4
        .value_kind:     by_value
      - .address_space:  global
        .offset:         120
        .size:           8
        .value_kind:     global_buffer
      - .offset:         128
        .size:           4
        .value_kind:     hidden_block_count_x
      - .offset:         132
        .size:           4
        .value_kind:     hidden_block_count_y
      - .offset:         136
        .size:           4
        .value_kind:     hidden_block_count_z
      - .offset:         140
        .size:           2
        .value_kind:     hidden_group_size_x
      - .offset:         142
        .size:           2
        .value_kind:     hidden_group_size_y
      - .offset:         144
        .size:           2
        .value_kind:     hidden_group_size_z
      - .offset:         146
        .size:           2
        .value_kind:     hidden_remainder_x
      - .offset:         148
        .size:           2
        .value_kind:     hidden_remainder_y
      - .offset:         150
        .size:           2
        .value_kind:     hidden_remainder_z
      - .offset:         168
        .size:           8
        .value_kind:     hidden_global_offset_x
      - .offset:         176
        .size:           8
        .value_kind:     hidden_global_offset_y
      - .offset:         184
        .size:           8
        .value_kind:     hidden_global_offset_z
      - .offset:         192
        .size:           2
        .value_kind:     hidden_grid_dims
    .group_segment_fixed_size: 0
    .kernarg_segment_align: 8
    .kernarg_segment_size: 384
    .language:       OpenCL C
    .language_version:
      - 2
      - 0
    .max_flat_workgroup_size: 1024
    .name:           _ZN4vllm38concat_and_cache_mla_rope_fused_kernelIN3c104HalfEfLb1E14__hip_bfloat16S3_LNS_18Fp8KVCacheDataTypeE0EEEvPKlPT_S8_PKS7_PKT0_illlliPT3_S6_iiiiPKf
    .private_segment_fixed_size: 0
    .sgpr_count:     51
    .sgpr_spill_count: 0
    .symbol:         _ZN4vllm38concat_and_cache_mla_rope_fused_kernelIN3c104HalfEfLb1E14__hip_bfloat16S3_LNS_18Fp8KVCacheDataTypeE0EEEvPKlPT_S8_PKS7_PKT0_illlliPT3_S6_iiiiPKf.kd
    .uniform_work_group_size: 1
    .uses_dynamic_stack: false
    .vgpr_count:     20
    .vgpr_spill_count: 0
    .wavefront_size: 64
  - .agpr_count:     0
    .args:
      - .actual_access:  read_only
        .address_space:  global
        .offset:         0
        .size:           8
        .value_kind:     global_buffer
      - .address_space:  global
        .offset:         8
        .size:           8
        .value_kind:     global_buffer
      - .address_space:  global
        .offset:         16
        .size:           8
        .value_kind:     global_buffer
      - .actual_access:  read_only
        .address_space:  global
        .offset:         24
        .size:           8
        .value_kind:     global_buffer
      - .actual_access:  read_only
        .address_space:  global
        .offset:         32
        .size:           8
        .value_kind:     global_buffer
      - .offset:         40
        .size:           4
        .value_kind:     by_value
      - .offset:         48
        .size:           8
        .value_kind:     by_value
      - .offset:         56
        .size:           8
        .value_kind:     by_value
      - .offset:         64
        .size:           8
        .value_kind:     by_value
      - .offset:         72
        .size:           8
        .value_kind:     by_value
      - .offset:         80
        .size:           4
        .value_kind:     by_value
      - .actual_access:  write_only
        .address_space:  global
        .offset:         88
        .size:           8
        .value_kind:     global_buffer
      - .actual_access:  read_only
        .address_space:  global
        .offset:         96
        .size:           8
        .value_kind:     global_buffer
      - .offset:         104
        .size:           4
        .value_kind:     by_value
      - .offset:         108
        .size:           4
        .value_kind:     by_value
      - .offset:         112
        .size:           4
        .value_kind:     by_value
      - .offset:         116
        .size:           4
        .value_kind:     by_value
      - .address_space:  global
        .offset:         120
        .size:           8
        .value_kind:     global_buffer
      - .offset:         128
        .size:           4
        .value_kind:     hidden_block_count_x
      - .offset:         132
        .size:           4
        .value_kind:     hidden_block_count_y
      - .offset:         136
        .size:           4
        .value_kind:     hidden_block_count_z
      - .offset:         140
        .size:           2
        .value_kind:     hidden_group_size_x
      - .offset:         142
        .size:           2
        .value_kind:     hidden_group_size_y
      - .offset:         144
        .size:           2
        .value_kind:     hidden_group_size_z
      - .offset:         146
        .size:           2
        .value_kind:     hidden_remainder_x
      - .offset:         148
        .size:           2
        .value_kind:     hidden_remainder_y
      - .offset:         150
        .size:           2
        .value_kind:     hidden_remainder_z
      - .offset:         168
        .size:           8
        .value_kind:     hidden_global_offset_x
      - .offset:         176
        .size:           8
        .value_kind:     hidden_global_offset_y
      - .offset:         184
        .size:           8
        .value_kind:     hidden_global_offset_z
      - .offset:         192
        .size:           2
        .value_kind:     hidden_grid_dims
    .group_segment_fixed_size: 0
    .kernarg_segment_align: 8
    .kernarg_segment_size: 384
    .language:       OpenCL C
    .language_version:
      - 2
      - 0
    .max_flat_workgroup_size: 1024
    .name:           _ZN4vllm38concat_and_cache_mla_rope_fused_kernelIN3c104HalfEfLb0E14__hip_bfloat16S3_LNS_18Fp8KVCacheDataTypeE0EEEvPKlPT_S8_PKS7_PKT0_illlliPT3_S6_iiiiPKf
    .private_segment_fixed_size: 0
    .sgpr_count:     47
    .sgpr_spill_count: 0
    .symbol:         _ZN4vllm38concat_and_cache_mla_rope_fused_kernelIN3c104HalfEfLb0E14__hip_bfloat16S3_LNS_18Fp8KVCacheDataTypeE0EEEvPKlPT_S8_PKS7_PKT0_illlliPT3_S6_iiiiPKf.kd
    .uniform_work_group_size: 1
    .uses_dynamic_stack: false
    .vgpr_count:     20
    .vgpr_spill_count: 0
    .wavefront_size: 64
  - .agpr_count:     0
    .args:
      - .actual_access:  read_only
        .address_space:  global
        .offset:         0
        .size:           8
        .value_kind:     global_buffer
      - .address_space:  global
        .offset:         8
        .size:           8
        .value_kind:     global_buffer
      - .address_space:  global
        .offset:         16
        .size:           8
        .value_kind:     global_buffer
      - .actual_access:  read_only
        .address_space:  global
        .offset:         24
        .size:           8
        .value_kind:     global_buffer
      - .actual_access:  read_only
        .address_space:  global
        .offset:         32
        .size:           8
        .value_kind:     global_buffer
      - .offset:         40
        .size:           4
        .value_kind:     by_value
      - .offset:         48
        .size:           8
        .value_kind:     by_value
      - .offset:         56
        .size:           8
        .value_kind:     by_value
      - .offset:         64
        .size:           8
        .value_kind:     by_value
      - .offset:         72
        .size:           8
        .value_kind:     by_value
      - .offset:         80
        .size:           4
        .value_kind:     by_value
      - .actual_access:  write_only
        .address_space:  global
        .offset:         88
        .size:           8
        .value_kind:     global_buffer
      - .actual_access:  read_only
        .address_space:  global
        .offset:         96
        .size:           8
        .value_kind:     global_buffer
      - .offset:         104
        .size:           4
        .value_kind:     by_value
      - .offset:         108
        .size:           4
        .value_kind:     by_value
      - .offset:         112
        .size:           4
        .value_kind:     by_value
      - .offset:         116
        .size:           4
        .value_kind:     by_value
      - .address_space:  global
        .offset:         120
        .size:           8
        .value_kind:     global_buffer
      - .offset:         128
        .size:           4
        .value_kind:     hidden_block_count_x
      - .offset:         132
        .size:           4
        .value_kind:     hidden_block_count_y
      - .offset:         136
        .size:           4
        .value_kind:     hidden_block_count_z
      - .offset:         140
        .size:           2
        .value_kind:     hidden_group_size_x
      - .offset:         142
        .size:           2
        .value_kind:     hidden_group_size_y
      - .offset:         144
        .size:           2
        .value_kind:     hidden_group_size_z
      - .offset:         146
        .size:           2
        .value_kind:     hidden_remainder_x
      - .offset:         148
        .size:           2
        .value_kind:     hidden_remainder_y
      - .offset:         150
        .size:           2
        .value_kind:     hidden_remainder_z
      - .offset:         168
        .size:           8
        .value_kind:     hidden_global_offset_x
      - .offset:         176
        .size:           8
        .value_kind:     hidden_global_offset_y
      - .offset:         184
        .size:           8
        .value_kind:     hidden_global_offset_z
      - .offset:         192
        .size:           2
        .value_kind:     hidden_grid_dims
    .group_segment_fixed_size: 0
    .kernarg_segment_align: 8
    .kernarg_segment_size: 384
    .language:       OpenCL C
    .language_version:
      - 2
      - 0
    .max_flat_workgroup_size: 1024
    .name:           _ZN4vllm38concat_and_cache_mla_rope_fused_kernelIN3c104HalfES2_Lb1E14__hip_bfloat16S3_LNS_18Fp8KVCacheDataTypeE0EEEvPKlPT_S8_PKS7_PKT0_illlliPT3_S6_iiiiPKf
    .private_segment_fixed_size: 0
    .sgpr_count:     51
    .sgpr_spill_count: 0
    .symbol:         _ZN4vllm38concat_and_cache_mla_rope_fused_kernelIN3c104HalfES2_Lb1E14__hip_bfloat16S3_LNS_18Fp8KVCacheDataTypeE0EEEvPKlPT_S8_PKS7_PKT0_illlliPT3_S6_iiiiPKf.kd
    .uniform_work_group_size: 1
    .uses_dynamic_stack: false
    .vgpr_count:     16
    .vgpr_spill_count: 0
    .wavefront_size: 64
  - .agpr_count:     0
    .args:
      - .actual_access:  read_only
        .address_space:  global
        .offset:         0
        .size:           8
        .value_kind:     global_buffer
      - .address_space:  global
        .offset:         8
        .size:           8
        .value_kind:     global_buffer
      - .address_space:  global
        .offset:         16
        .size:           8
        .value_kind:     global_buffer
      - .actual_access:  read_only
        .address_space:  global
        .offset:         24
        .size:           8
        .value_kind:     global_buffer
      - .actual_access:  read_only
        .address_space:  global
        .offset:         32
        .size:           8
        .value_kind:     global_buffer
      - .offset:         40
        .size:           4
        .value_kind:     by_value
      - .offset:         48
        .size:           8
        .value_kind:     by_value
      - .offset:         56
        .size:           8
        .value_kind:     by_value
      - .offset:         64
        .size:           8
        .value_kind:     by_value
      - .offset:         72
        .size:           8
        .value_kind:     by_value
      - .offset:         80
        .size:           4
        .value_kind:     by_value
      - .actual_access:  write_only
        .address_space:  global
        .offset:         88
        .size:           8
        .value_kind:     global_buffer
      - .actual_access:  read_only
        .address_space:  global
        .offset:         96
        .size:           8
        .value_kind:     global_buffer
      - .offset:         104
        .size:           4
        .value_kind:     by_value
      - .offset:         108
        .size:           4
        .value_kind:     by_value
      - .offset:         112
        .size:           4
        .value_kind:     by_value
      - .offset:         116
        .size:           4
        .value_kind:     by_value
      - .address_space:  global
        .offset:         120
        .size:           8
        .value_kind:     global_buffer
      - .offset:         128
        .size:           4
        .value_kind:     hidden_block_count_x
      - .offset:         132
        .size:           4
        .value_kind:     hidden_block_count_y
      - .offset:         136
        .size:           4
        .value_kind:     hidden_block_count_z
      - .offset:         140
        .size:           2
        .value_kind:     hidden_group_size_x
      - .offset:         142
        .size:           2
        .value_kind:     hidden_group_size_y
      - .offset:         144
        .size:           2
        .value_kind:     hidden_group_size_z
      - .offset:         146
        .size:           2
        .value_kind:     hidden_remainder_x
      - .offset:         148
        .size:           2
        .value_kind:     hidden_remainder_y
      - .offset:         150
        .size:           2
        .value_kind:     hidden_remainder_z
      - .offset:         168
        .size:           8
        .value_kind:     hidden_global_offset_x
      - .offset:         176
        .size:           8
        .value_kind:     hidden_global_offset_y
      - .offset:         184
        .size:           8
        .value_kind:     hidden_global_offset_z
      - .offset:         192
        .size:           2
        .value_kind:     hidden_grid_dims
    .group_segment_fixed_size: 0
    .kernarg_segment_align: 8
    .kernarg_segment_size: 384
    .language:       OpenCL C
    .language_version:
      - 2
      - 0
    .max_flat_workgroup_size: 1024
    .name:           _ZN4vllm38concat_and_cache_mla_rope_fused_kernelIN3c104HalfES2_Lb0E14__hip_bfloat16S3_LNS_18Fp8KVCacheDataTypeE0EEEvPKlPT_S8_PKS7_PKT0_illlliPT3_S6_iiiiPKf
    .private_segment_fixed_size: 0
    .sgpr_count:     47
    .sgpr_spill_count: 0
    .symbol:         _ZN4vllm38concat_and_cache_mla_rope_fused_kernelIN3c104HalfES2_Lb0E14__hip_bfloat16S3_LNS_18Fp8KVCacheDataTypeE0EEEvPKlPT_S8_PKS7_PKT0_illlliPT3_S6_iiiiPKf.kd
    .uniform_work_group_size: 1
    .uses_dynamic_stack: false
    .vgpr_count:     19
    .vgpr_spill_count: 0
    .wavefront_size: 64
  - .agpr_count:     0
    .args:
      - .actual_access:  read_only
        .address_space:  global
        .offset:         0
        .size:           8
        .value_kind:     global_buffer
      - .address_space:  global
        .offset:         8
        .size:           8
        .value_kind:     global_buffer
      - .address_space:  global
        .offset:         16
        .size:           8
        .value_kind:     global_buffer
      - .actual_access:  read_only
        .address_space:  global
        .offset:         24
        .size:           8
        .value_kind:     global_buffer
      - .actual_access:  read_only
        .address_space:  global
        .offset:         32
        .size:           8
        .value_kind:     global_buffer
      - .offset:         40
        .size:           4
        .value_kind:     by_value
      - .offset:         48
        .size:           8
        .value_kind:     by_value
      - .offset:         56
        .size:           8
        .value_kind:     by_value
      - .offset:         64
        .size:           8
        .value_kind:     by_value
      - .offset:         72
        .size:           8
        .value_kind:     by_value
      - .offset:         80
        .size:           4
        .value_kind:     by_value
      - .actual_access:  write_only
        .address_space:  global
        .offset:         88
        .size:           8
        .value_kind:     global_buffer
      - .actual_access:  read_only
        .address_space:  global
        .offset:         96
        .size:           8
        .value_kind:     global_buffer
      - .offset:         104
        .size:           4
        .value_kind:     by_value
      - .offset:         108
        .size:           4
        .value_kind:     by_value
      - .offset:         112
        .size:           4
        .value_kind:     by_value
      - .offset:         116
        .size:           4
        .value_kind:     by_value
      - .address_space:  global
        .offset:         120
        .size:           8
        .value_kind:     global_buffer
      - .offset:         128
        .size:           4
        .value_kind:     hidden_block_count_x
      - .offset:         132
        .size:           4
        .value_kind:     hidden_block_count_y
      - .offset:         136
        .size:           4
        .value_kind:     hidden_block_count_z
      - .offset:         140
        .size:           2
        .value_kind:     hidden_group_size_x
      - .offset:         142
        .size:           2
        .value_kind:     hidden_group_size_y
      - .offset:         144
        .size:           2
        .value_kind:     hidden_group_size_z
      - .offset:         146
        .size:           2
        .value_kind:     hidden_remainder_x
      - .offset:         148
        .size:           2
        .value_kind:     hidden_remainder_y
      - .offset:         150
        .size:           2
        .value_kind:     hidden_remainder_z
      - .offset:         168
        .size:           8
        .value_kind:     hidden_global_offset_x
      - .offset:         176
        .size:           8
        .value_kind:     hidden_global_offset_y
      - .offset:         184
        .size:           8
        .value_kind:     hidden_global_offset_z
      - .offset:         192
        .size:           2
        .value_kind:     hidden_grid_dims
    .group_segment_fixed_size: 0
    .kernarg_segment_align: 8
    .kernarg_segment_size: 384
    .language:       OpenCL C
    .language_version:
      - 2
      - 0
    .max_flat_workgroup_size: 1024
    .name:           _ZN4vllm38concat_and_cache_mla_rope_fused_kernelIN3c104HalfENS1_8BFloat16ELb1E14__hip_bfloat16S4_LNS_18Fp8KVCacheDataTypeE0EEEvPKlPT_S9_PKS8_PKT0_illlliPT3_S7_iiiiPKf
    .private_segment_fixed_size: 0
    .sgpr_count:     51
    .sgpr_spill_count: 0
    .symbol:         _ZN4vllm38concat_and_cache_mla_rope_fused_kernelIN3c104HalfENS1_8BFloat16ELb1E14__hip_bfloat16S4_LNS_18Fp8KVCacheDataTypeE0EEEvPKlPT_S9_PKS8_PKT0_illlliPT3_S7_iiiiPKf.kd
    .uniform_work_group_size: 1
    .uses_dynamic_stack: false
    .vgpr_count:     16
    .vgpr_spill_count: 0
    .wavefront_size: 64
  - .agpr_count:     0
    .args:
      - .actual_access:  read_only
        .address_space:  global
        .offset:         0
        .size:           8
        .value_kind:     global_buffer
      - .address_space:  global
        .offset:         8
        .size:           8
        .value_kind:     global_buffer
      - .address_space:  global
        .offset:         16
        .size:           8
        .value_kind:     global_buffer
      - .actual_access:  read_only
        .address_space:  global
        .offset:         24
        .size:           8
        .value_kind:     global_buffer
      - .actual_access:  read_only
        .address_space:  global
        .offset:         32
        .size:           8
        .value_kind:     global_buffer
      - .offset:         40
        .size:           4
        .value_kind:     by_value
      - .offset:         48
        .size:           8
        .value_kind:     by_value
      - .offset:         56
        .size:           8
        .value_kind:     by_value
      - .offset:         64
        .size:           8
        .value_kind:     by_value
      - .offset:         72
        .size:           8
        .value_kind:     by_value
      - .offset:         80
        .size:           4
        .value_kind:     by_value
      - .actual_access:  write_only
        .address_space:  global
        .offset:         88
        .size:           8
        .value_kind:     global_buffer
      - .actual_access:  read_only
        .address_space:  global
        .offset:         96
        .size:           8
        .value_kind:     global_buffer
      - .offset:         104
        .size:           4
        .value_kind:     by_value
      - .offset:         108
        .size:           4
        .value_kind:     by_value
      - .offset:         112
        .size:           4
        .value_kind:     by_value
      - .offset:         116
        .size:           4
        .value_kind:     by_value
      - .address_space:  global
        .offset:         120
        .size:           8
        .value_kind:     global_buffer
      - .offset:         128
        .size:           4
        .value_kind:     hidden_block_count_x
      - .offset:         132
        .size:           4
        .value_kind:     hidden_block_count_y
      - .offset:         136
        .size:           4
        .value_kind:     hidden_block_count_z
      - .offset:         140
        .size:           2
        .value_kind:     hidden_group_size_x
      - .offset:         142
        .size:           2
        .value_kind:     hidden_group_size_y
      - .offset:         144
        .size:           2
        .value_kind:     hidden_group_size_z
      - .offset:         146
        .size:           2
        .value_kind:     hidden_remainder_x
      - .offset:         148
        .size:           2
        .value_kind:     hidden_remainder_y
      - .offset:         150
        .size:           2
        .value_kind:     hidden_remainder_z
      - .offset:         168
        .size:           8
        .value_kind:     hidden_global_offset_x
      - .offset:         176
        .size:           8
        .value_kind:     hidden_global_offset_y
      - .offset:         184
        .size:           8
        .value_kind:     hidden_global_offset_z
      - .offset:         192
        .size:           2
        .value_kind:     hidden_grid_dims
    .group_segment_fixed_size: 0
    .kernarg_segment_align: 8
    .kernarg_segment_size: 384
    .language:       OpenCL C
    .language_version:
      - 2
      - 0
    .max_flat_workgroup_size: 1024
    .name:           _ZN4vllm38concat_and_cache_mla_rope_fused_kernelIN3c104HalfENS1_8BFloat16ELb0E14__hip_bfloat16S4_LNS_18Fp8KVCacheDataTypeE0EEEvPKlPT_S9_PKS8_PKT0_illlliPT3_S7_iiiiPKf
    .private_segment_fixed_size: 0
    .sgpr_count:     47
    .sgpr_spill_count: 0
    .symbol:         _ZN4vllm38concat_and_cache_mla_rope_fused_kernelIN3c104HalfENS1_8BFloat16ELb0E14__hip_bfloat16S4_LNS_18Fp8KVCacheDataTypeE0EEEvPKlPT_S9_PKS8_PKT0_illlliPT3_S7_iiiiPKf.kd
    .uniform_work_group_size: 1
    .uses_dynamic_stack: false
    .vgpr_count:     19
    .vgpr_spill_count: 0
    .wavefront_size: 64
  - .agpr_count:     0
    .args:
      - .actual_access:  read_only
        .address_space:  global
        .offset:         0
        .size:           8
        .value_kind:     global_buffer
      - .address_space:  global
        .offset:         8
        .size:           8
        .value_kind:     global_buffer
      - .address_space:  global
        .offset:         16
        .size:           8
        .value_kind:     global_buffer
      - .actual_access:  read_only
        .address_space:  global
        .offset:         24
        .size:           8
        .value_kind:     global_buffer
      - .actual_access:  read_only
        .address_space:  global
        .offset:         32
        .size:           8
        .value_kind:     global_buffer
      - .offset:         40
        .size:           4
        .value_kind:     by_value
      - .offset:         48
        .size:           8
        .value_kind:     by_value
      - .offset:         56
        .size:           8
        .value_kind:     by_value
      - .offset:         64
        .size:           8
        .value_kind:     by_value
      - .offset:         72
        .size:           8
        .value_kind:     by_value
      - .offset:         80
        .size:           4
        .value_kind:     by_value
      - .actual_access:  write_only
        .address_space:  global
        .offset:         88
        .size:           8
        .value_kind:     global_buffer
      - .actual_access:  read_only
        .address_space:  global
        .offset:         96
        .size:           8
        .value_kind:     global_buffer
      - .offset:         104
        .size:           4
        .value_kind:     by_value
      - .offset:         108
        .size:           4
        .value_kind:     by_value
      - .offset:         112
        .size:           4
        .value_kind:     by_value
      - .offset:         116
        .size:           4
        .value_kind:     by_value
      - .address_space:  global
        .offset:         120
        .size:           8
        .value_kind:     global_buffer
      - .offset:         128
        .size:           4
        .value_kind:     hidden_block_count_x
      - .offset:         132
        .size:           4
        .value_kind:     hidden_block_count_y
      - .offset:         136
        .size:           4
        .value_kind:     hidden_block_count_z
      - .offset:         140
        .size:           2
        .value_kind:     hidden_group_size_x
      - .offset:         142
        .size:           2
        .value_kind:     hidden_group_size_y
      - .offset:         144
        .size:           2
        .value_kind:     hidden_group_size_z
      - .offset:         146
        .size:           2
        .value_kind:     hidden_remainder_x
      - .offset:         148
        .size:           2
        .value_kind:     hidden_remainder_y
      - .offset:         150
        .size:           2
        .value_kind:     hidden_remainder_z
      - .offset:         168
        .size:           8
        .value_kind:     hidden_global_offset_x
      - .offset:         176
        .size:           8
        .value_kind:     hidden_global_offset_y
      - .offset:         184
        .size:           8
        .value_kind:     hidden_global_offset_z
      - .offset:         192
        .size:           2
        .value_kind:     hidden_grid_dims
    .group_segment_fixed_size: 0
    .kernarg_segment_align: 8
    .kernarg_segment_size: 384
    .language:       OpenCL C
    .language_version:
      - 2
      - 0
    .max_flat_workgroup_size: 1024
    .name:           _ZN4vllm38concat_and_cache_mla_rope_fused_kernelIN3c108BFloat16EfLb1E14__hip_bfloat16S3_LNS_18Fp8KVCacheDataTypeE0EEEvPKlPT_S8_PKS7_PKT0_illlliPT3_S6_iiiiPKf
    .private_segment_fixed_size: 0
    .sgpr_count:     51
    .sgpr_spill_count: 0
    .symbol:         _ZN4vllm38concat_and_cache_mla_rope_fused_kernelIN3c108BFloat16EfLb1E14__hip_bfloat16S3_LNS_18Fp8KVCacheDataTypeE0EEEvPKlPT_S8_PKS7_PKT0_illlliPT3_S6_iiiiPKf.kd
    .uniform_work_group_size: 1
    .uses_dynamic_stack: false
    .vgpr_count:     25
    .vgpr_spill_count: 0
    .wavefront_size: 64
  - .agpr_count:     0
    .args:
      - .actual_access:  read_only
        .address_space:  global
        .offset:         0
        .size:           8
        .value_kind:     global_buffer
      - .address_space:  global
        .offset:         8
        .size:           8
        .value_kind:     global_buffer
      - .address_space:  global
        .offset:         16
        .size:           8
        .value_kind:     global_buffer
      - .actual_access:  read_only
        .address_space:  global
        .offset:         24
        .size:           8
        .value_kind:     global_buffer
      - .actual_access:  read_only
        .address_space:  global
        .offset:         32
        .size:           8
        .value_kind:     global_buffer
      - .offset:         40
        .size:           4
        .value_kind:     by_value
      - .offset:         48
        .size:           8
        .value_kind:     by_value
      - .offset:         56
        .size:           8
        .value_kind:     by_value
      - .offset:         64
        .size:           8
        .value_kind:     by_value
      - .offset:         72
        .size:           8
        .value_kind:     by_value
      - .offset:         80
        .size:           4
        .value_kind:     by_value
      - .actual_access:  write_only
        .address_space:  global
        .offset:         88
        .size:           8
        .value_kind:     global_buffer
      - .actual_access:  read_only
        .address_space:  global
        .offset:         96
        .size:           8
        .value_kind:     global_buffer
      - .offset:         104
        .size:           4
        .value_kind:     by_value
      - .offset:         108
        .size:           4
        .value_kind:     by_value
      - .offset:         112
        .size:           4
        .value_kind:     by_value
      - .offset:         116
        .size:           4
        .value_kind:     by_value
      - .address_space:  global
        .offset:         120
        .size:           8
        .value_kind:     global_buffer
      - .offset:         128
        .size:           4
        .value_kind:     hidden_block_count_x
      - .offset:         132
        .size:           4
        .value_kind:     hidden_block_count_y
      - .offset:         136
        .size:           4
        .value_kind:     hidden_block_count_z
      - .offset:         140
        .size:           2
        .value_kind:     hidden_group_size_x
      - .offset:         142
        .size:           2
        .value_kind:     hidden_group_size_y
      - .offset:         144
        .size:           2
        .value_kind:     hidden_group_size_z
      - .offset:         146
        .size:           2
        .value_kind:     hidden_remainder_x
      - .offset:         148
        .size:           2
        .value_kind:     hidden_remainder_y
      - .offset:         150
        .size:           2
        .value_kind:     hidden_remainder_z
      - .offset:         168
        .size:           8
        .value_kind:     hidden_global_offset_x
      - .offset:         176
        .size:           8
        .value_kind:     hidden_global_offset_y
      - .offset:         184
        .size:           8
        .value_kind:     hidden_global_offset_z
      - .offset:         192
        .size:           2
        .value_kind:     hidden_grid_dims
    .group_segment_fixed_size: 0
    .kernarg_segment_align: 8
    .kernarg_segment_size: 384
    .language:       OpenCL C
    .language_version:
      - 2
      - 0
    .max_flat_workgroup_size: 1024
    .name:           _ZN4vllm38concat_and_cache_mla_rope_fused_kernelIN3c108BFloat16EfLb0E14__hip_bfloat16S3_LNS_18Fp8KVCacheDataTypeE0EEEvPKlPT_S8_PKS7_PKT0_illlliPT3_S6_iiiiPKf
    .private_segment_fixed_size: 0
    .sgpr_count:     47
    .sgpr_spill_count: 0
    .symbol:         _ZN4vllm38concat_and_cache_mla_rope_fused_kernelIN3c108BFloat16EfLb0E14__hip_bfloat16S3_LNS_18Fp8KVCacheDataTypeE0EEEvPKlPT_S8_PKS7_PKT0_illlliPT3_S6_iiiiPKf.kd
    .uniform_work_group_size: 1
    .uses_dynamic_stack: false
    .vgpr_count:     24
    .vgpr_spill_count: 0
    .wavefront_size: 64
  - .agpr_count:     0
    .args:
      - .actual_access:  read_only
        .address_space:  global
        .offset:         0
        .size:           8
        .value_kind:     global_buffer
      - .address_space:  global
        .offset:         8
        .size:           8
        .value_kind:     global_buffer
      - .address_space:  global
        .offset:         16
        .size:           8
        .value_kind:     global_buffer
      - .actual_access:  read_only
        .address_space:  global
        .offset:         24
        .size:           8
        .value_kind:     global_buffer
      - .actual_access:  read_only
        .address_space:  global
        .offset:         32
        .size:           8
        .value_kind:     global_buffer
      - .offset:         40
        .size:           4
        .value_kind:     by_value
      - .offset:         48
        .size:           8
        .value_kind:     by_value
      - .offset:         56
        .size:           8
        .value_kind:     by_value
      - .offset:         64
        .size:           8
        .value_kind:     by_value
      - .offset:         72
        .size:           8
        .value_kind:     by_value
      - .offset:         80
        .size:           4
        .value_kind:     by_value
      - .actual_access:  write_only
        .address_space:  global
        .offset:         88
        .size:           8
        .value_kind:     global_buffer
      - .actual_access:  read_only
        .address_space:  global
        .offset:         96
        .size:           8
        .value_kind:     global_buffer
      - .offset:         104
        .size:           4
        .value_kind:     by_value
      - .offset:         108
        .size:           4
        .value_kind:     by_value
      - .offset:         112
        .size:           4
        .value_kind:     by_value
      - .offset:         116
        .size:           4
        .value_kind:     by_value
      - .address_space:  global
        .offset:         120
        .size:           8
        .value_kind:     global_buffer
      - .offset:         128
        .size:           4
        .value_kind:     hidden_block_count_x
      - .offset:         132
        .size:           4
        .value_kind:     hidden_block_count_y
      - .offset:         136
        .size:           4
        .value_kind:     hidden_block_count_z
      - .offset:         140
        .size:           2
        .value_kind:     hidden_group_size_x
      - .offset:         142
        .size:           2
        .value_kind:     hidden_group_size_y
      - .offset:         144
        .size:           2
        .value_kind:     hidden_group_size_z
      - .offset:         146
        .size:           2
        .value_kind:     hidden_remainder_x
      - .offset:         148
        .size:           2
        .value_kind:     hidden_remainder_y
      - .offset:         150
        .size:           2
        .value_kind:     hidden_remainder_z
      - .offset:         168
        .size:           8
        .value_kind:     hidden_global_offset_x
      - .offset:         176
        .size:           8
        .value_kind:     hidden_global_offset_y
      - .offset:         184
        .size:           8
        .value_kind:     hidden_global_offset_z
      - .offset:         192
        .size:           2
        .value_kind:     hidden_grid_dims
    .group_segment_fixed_size: 0
    .kernarg_segment_align: 8
    .kernarg_segment_size: 384
    .language:       OpenCL C
    .language_version:
      - 2
      - 0
    .max_flat_workgroup_size: 1024
    .name:           _ZN4vllm38concat_and_cache_mla_rope_fused_kernelIN3c108BFloat16ENS1_4HalfELb1E14__hip_bfloat16S4_LNS_18Fp8KVCacheDataTypeE0EEEvPKlPT_S9_PKS8_PKT0_illlliPT3_S7_iiiiPKf
    .private_segment_fixed_size: 0
    .sgpr_count:     51
    .sgpr_spill_count: 0
    .symbol:         _ZN4vllm38concat_and_cache_mla_rope_fused_kernelIN3c108BFloat16ENS1_4HalfELb1E14__hip_bfloat16S4_LNS_18Fp8KVCacheDataTypeE0EEEvPKlPT_S9_PKS8_PKT0_illlliPT3_S7_iiiiPKf.kd
    .uniform_work_group_size: 1
    .uses_dynamic_stack: false
    .vgpr_count:     23
    .vgpr_spill_count: 0
    .wavefront_size: 64
  - .agpr_count:     0
    .args:
      - .actual_access:  read_only
        .address_space:  global
        .offset:         0
        .size:           8
        .value_kind:     global_buffer
      - .address_space:  global
        .offset:         8
        .size:           8
        .value_kind:     global_buffer
      - .address_space:  global
        .offset:         16
        .size:           8
        .value_kind:     global_buffer
      - .actual_access:  read_only
        .address_space:  global
        .offset:         24
        .size:           8
        .value_kind:     global_buffer
      - .actual_access:  read_only
        .address_space:  global
        .offset:         32
        .size:           8
        .value_kind:     global_buffer
      - .offset:         40
        .size:           4
        .value_kind:     by_value
      - .offset:         48
        .size:           8
        .value_kind:     by_value
      - .offset:         56
        .size:           8
        .value_kind:     by_value
      - .offset:         64
        .size:           8
        .value_kind:     by_value
      - .offset:         72
        .size:           8
        .value_kind:     by_value
      - .offset:         80
        .size:           4
        .value_kind:     by_value
      - .actual_access:  write_only
        .address_space:  global
        .offset:         88
        .size:           8
        .value_kind:     global_buffer
      - .actual_access:  read_only
        .address_space:  global
        .offset:         96
        .size:           8
        .value_kind:     global_buffer
      - .offset:         104
        .size:           4
        .value_kind:     by_value
      - .offset:         108
        .size:           4
        .value_kind:     by_value
      - .offset:         112
        .size:           4
        .value_kind:     by_value
      - .offset:         116
        .size:           4
        .value_kind:     by_value
      - .address_space:  global
        .offset:         120
        .size:           8
        .value_kind:     global_buffer
      - .offset:         128
        .size:           4
        .value_kind:     hidden_block_count_x
      - .offset:         132
        .size:           4
        .value_kind:     hidden_block_count_y
      - .offset:         136
        .size:           4
        .value_kind:     hidden_block_count_z
      - .offset:         140
        .size:           2
        .value_kind:     hidden_group_size_x
      - .offset:         142
        .size:           2
        .value_kind:     hidden_group_size_y
      - .offset:         144
        .size:           2
        .value_kind:     hidden_group_size_z
      - .offset:         146
        .size:           2
        .value_kind:     hidden_remainder_x
      - .offset:         148
        .size:           2
        .value_kind:     hidden_remainder_y
      - .offset:         150
        .size:           2
        .value_kind:     hidden_remainder_z
      - .offset:         168
        .size:           8
        .value_kind:     hidden_global_offset_x
      - .offset:         176
        .size:           8
        .value_kind:     hidden_global_offset_y
      - .offset:         184
        .size:           8
        .value_kind:     hidden_global_offset_z
      - .offset:         192
        .size:           2
        .value_kind:     hidden_grid_dims
    .group_segment_fixed_size: 0
    .kernarg_segment_align: 8
    .kernarg_segment_size: 384
    .language:       OpenCL C
    .language_version:
      - 2
      - 0
    .max_flat_workgroup_size: 1024
    .name:           _ZN4vllm38concat_and_cache_mla_rope_fused_kernelIN3c108BFloat16ENS1_4HalfELb0E14__hip_bfloat16S4_LNS_18Fp8KVCacheDataTypeE0EEEvPKlPT_S9_PKS8_PKT0_illlliPT3_S7_iiiiPKf
    .private_segment_fixed_size: 0
    .sgpr_count:     47
    .sgpr_spill_count: 0
    .symbol:         _ZN4vllm38concat_and_cache_mla_rope_fused_kernelIN3c108BFloat16ENS1_4HalfELb0E14__hip_bfloat16S4_LNS_18Fp8KVCacheDataTypeE0EEEvPKlPT_S9_PKS8_PKT0_illlliPT3_S7_iiiiPKf.kd
    .uniform_work_group_size: 1
    .uses_dynamic_stack: false
    .vgpr_count:     24
    .vgpr_spill_count: 0
    .wavefront_size: 64
  - .agpr_count:     0
    .args:
      - .actual_access:  read_only
        .address_space:  global
        .offset:         0
        .size:           8
        .value_kind:     global_buffer
      - .address_space:  global
        .offset:         8
        .size:           8
        .value_kind:     global_buffer
      - .address_space:  global
        .offset:         16
        .size:           8
        .value_kind:     global_buffer
      - .actual_access:  read_only
        .address_space:  global
        .offset:         24
        .size:           8
        .value_kind:     global_buffer
      - .actual_access:  read_only
        .address_space:  global
        .offset:         32
        .size:           8
        .value_kind:     global_buffer
      - .offset:         40
        .size:           4
        .value_kind:     by_value
      - .offset:         48
        .size:           8
        .value_kind:     by_value
      - .offset:         56
        .size:           8
        .value_kind:     by_value
      - .offset:         64
        .size:           8
        .value_kind:     by_value
      - .offset:         72
        .size:           8
        .value_kind:     by_value
      - .offset:         80
        .size:           4
        .value_kind:     by_value
      - .actual_access:  write_only
        .address_space:  global
        .offset:         88
        .size:           8
        .value_kind:     global_buffer
      - .actual_access:  read_only
        .address_space:  global
        .offset:         96
        .size:           8
        .value_kind:     global_buffer
      - .offset:         104
        .size:           4
        .value_kind:     by_value
      - .offset:         108
        .size:           4
        .value_kind:     by_value
      - .offset:         112
        .size:           4
        .value_kind:     by_value
      - .offset:         116
        .size:           4
        .value_kind:     by_value
      - .address_space:  global
        .offset:         120
        .size:           8
        .value_kind:     global_buffer
      - .offset:         128
        .size:           4
        .value_kind:     hidden_block_count_x
      - .offset:         132
        .size:           4
        .value_kind:     hidden_block_count_y
      - .offset:         136
        .size:           4
        .value_kind:     hidden_block_count_z
      - .offset:         140
        .size:           2
        .value_kind:     hidden_group_size_x
      - .offset:         142
        .size:           2
        .value_kind:     hidden_group_size_y
      - .offset:         144
        .size:           2
        .value_kind:     hidden_group_size_z
      - .offset:         146
        .size:           2
        .value_kind:     hidden_remainder_x
      - .offset:         148
        .size:           2
        .value_kind:     hidden_remainder_y
      - .offset:         150
        .size:           2
        .value_kind:     hidden_remainder_z
      - .offset:         168
        .size:           8
        .value_kind:     hidden_global_offset_x
      - .offset:         176
        .size:           8
        .value_kind:     hidden_global_offset_y
      - .offset:         184
        .size:           8
        .value_kind:     hidden_global_offset_z
      - .offset:         192
        .size:           2
        .value_kind:     hidden_grid_dims
    .group_segment_fixed_size: 0
    .kernarg_segment_align: 8
    .kernarg_segment_size: 384
    .language:       OpenCL C
    .language_version:
      - 2
      - 0
    .max_flat_workgroup_size: 1024
    .name:           _ZN4vllm38concat_and_cache_mla_rope_fused_kernelIN3c108BFloat16ES2_Lb1E14__hip_bfloat16S3_LNS_18Fp8KVCacheDataTypeE0EEEvPKlPT_S8_PKS7_PKT0_illlliPT3_S6_iiiiPKf
    .private_segment_fixed_size: 0
    .sgpr_count:     51
    .sgpr_spill_count: 0
    .symbol:         _ZN4vllm38concat_and_cache_mla_rope_fused_kernelIN3c108BFloat16ES2_Lb1E14__hip_bfloat16S3_LNS_18Fp8KVCacheDataTypeE0EEEvPKlPT_S8_PKS7_PKT0_illlliPT3_S6_iiiiPKf.kd
    .uniform_work_group_size: 1
    .uses_dynamic_stack: false
    .vgpr_count:     21
    .vgpr_spill_count: 0
    .wavefront_size: 64
  - .agpr_count:     0
    .args:
      - .actual_access:  read_only
        .address_space:  global
        .offset:         0
        .size:           8
        .value_kind:     global_buffer
      - .address_space:  global
        .offset:         8
        .size:           8
        .value_kind:     global_buffer
      - .address_space:  global
        .offset:         16
        .size:           8
        .value_kind:     global_buffer
      - .actual_access:  read_only
        .address_space:  global
        .offset:         24
        .size:           8
        .value_kind:     global_buffer
      - .actual_access:  read_only
        .address_space:  global
        .offset:         32
        .size:           8
        .value_kind:     global_buffer
      - .offset:         40
        .size:           4
        .value_kind:     by_value
      - .offset:         48
        .size:           8
        .value_kind:     by_value
      - .offset:         56
        .size:           8
        .value_kind:     by_value
      - .offset:         64
        .size:           8
        .value_kind:     by_value
      - .offset:         72
        .size:           8
        .value_kind:     by_value
      - .offset:         80
        .size:           4
        .value_kind:     by_value
      - .actual_access:  write_only
        .address_space:  global
        .offset:         88
        .size:           8
        .value_kind:     global_buffer
      - .actual_access:  read_only
        .address_space:  global
        .offset:         96
        .size:           8
        .value_kind:     global_buffer
      - .offset:         104
        .size:           4
        .value_kind:     by_value
      - .offset:         108
        .size:           4
        .value_kind:     by_value
      - .offset:         112
        .size:           4
        .value_kind:     by_value
      - .offset:         116
        .size:           4
        .value_kind:     by_value
      - .address_space:  global
        .offset:         120
        .size:           8
        .value_kind:     global_buffer
      - .offset:         128
        .size:           4
        .value_kind:     hidden_block_count_x
      - .offset:         132
        .size:           4
        .value_kind:     hidden_block_count_y
      - .offset:         136
        .size:           4
        .value_kind:     hidden_block_count_z
      - .offset:         140
        .size:           2
        .value_kind:     hidden_group_size_x
      - .offset:         142
        .size:           2
        .value_kind:     hidden_group_size_y
      - .offset:         144
        .size:           2
        .value_kind:     hidden_group_size_z
      - .offset:         146
        .size:           2
        .value_kind:     hidden_remainder_x
      - .offset:         148
        .size:           2
        .value_kind:     hidden_remainder_y
      - .offset:         150
        .size:           2
        .value_kind:     hidden_remainder_z
      - .offset:         168
        .size:           8
        .value_kind:     hidden_global_offset_x
      - .offset:         176
        .size:           8
        .value_kind:     hidden_global_offset_y
      - .offset:         184
        .size:           8
        .value_kind:     hidden_global_offset_z
      - .offset:         192
        .size:           2
        .value_kind:     hidden_grid_dims
    .group_segment_fixed_size: 0
    .kernarg_segment_align: 8
    .kernarg_segment_size: 384
    .language:       OpenCL C
    .language_version:
      - 2
      - 0
    .max_flat_workgroup_size: 1024
    .name:           _ZN4vllm38concat_and_cache_mla_rope_fused_kernelIN3c108BFloat16ES2_Lb0E14__hip_bfloat16S3_LNS_18Fp8KVCacheDataTypeE0EEEvPKlPT_S8_PKS7_PKT0_illlliPT3_S6_iiiiPKf
    .private_segment_fixed_size: 0
    .sgpr_count:     47
    .sgpr_spill_count: 0
    .symbol:         _ZN4vllm38concat_and_cache_mla_rope_fused_kernelIN3c108BFloat16ES2_Lb0E14__hip_bfloat16S3_LNS_18Fp8KVCacheDataTypeE0EEEvPKlPT_S8_PKS7_PKT0_illlliPT3_S6_iiiiPKf.kd
    .uniform_work_group_size: 1
    .uses_dynamic_stack: false
    .vgpr_count:     24
    .vgpr_spill_count: 0
    .wavefront_size: 64
  - .agpr_count:     0
    .args:
      - .actual_access:  read_only
        .address_space:  global
        .offset:         0
        .size:           8
        .value_kind:     global_buffer
      - .address_space:  global
        .offset:         8
        .size:           8
        .value_kind:     global_buffer
      - .address_space:  global
        .offset:         16
        .size:           8
        .value_kind:     global_buffer
      - .actual_access:  read_only
        .address_space:  global
        .offset:         24
        .size:           8
        .value_kind:     global_buffer
      - .actual_access:  read_only
        .address_space:  global
        .offset:         32
        .size:           8
        .value_kind:     global_buffer
      - .offset:         40
        .size:           4
        .value_kind:     by_value
      - .offset:         48
        .size:           8
        .value_kind:     by_value
      - .offset:         56
        .size:           8
        .value_kind:     by_value
      - .offset:         64
        .size:           8
        .value_kind:     by_value
      - .offset:         72
        .size:           8
        .value_kind:     by_value
      - .offset:         80
        .size:           4
        .value_kind:     by_value
      - .actual_access:  write_only
        .address_space:  global
        .offset:         88
        .size:           8
        .value_kind:     global_buffer
      - .actual_access:  read_only
        .address_space:  global
        .offset:         96
        .size:           8
        .value_kind:     global_buffer
      - .offset:         104
        .size:           4
        .value_kind:     by_value
      - .offset:         108
        .size:           4
        .value_kind:     by_value
      - .offset:         112
        .size:           4
        .value_kind:     by_value
      - .offset:         116
        .size:           4
        .value_kind:     by_value
      - .address_space:  global
        .offset:         120
        .size:           8
        .value_kind:     global_buffer
      - .offset:         128
        .size:           4
        .value_kind:     hidden_block_count_x
      - .offset:         132
        .size:           4
        .value_kind:     hidden_block_count_y
      - .offset:         136
        .size:           4
        .value_kind:     hidden_block_count_z
      - .offset:         140
        .size:           2
        .value_kind:     hidden_group_size_x
      - .offset:         142
        .size:           2
        .value_kind:     hidden_group_size_y
      - .offset:         144
        .size:           2
        .value_kind:     hidden_group_size_z
      - .offset:         146
        .size:           2
        .value_kind:     hidden_remainder_x
      - .offset:         148
        .size:           2
        .value_kind:     hidden_remainder_y
      - .offset:         150
        .size:           2
        .value_kind:     hidden_remainder_z
      - .offset:         168
        .size:           8
        .value_kind:     hidden_global_offset_x
      - .offset:         176
        .size:           8
        .value_kind:     hidden_global_offset_y
      - .offset:         184
        .size:           8
        .value_kind:     hidden_global_offset_z
      - .offset:         192
        .size:           2
        .value_kind:     hidden_grid_dims
    .group_segment_fixed_size: 0
    .kernarg_segment_align: 8
    .kernarg_segment_size: 384
    .language:       OpenCL C
    .language_version:
      - 2
      - 0
    .max_flat_workgroup_size: 1024
    .name:           _ZN4vllm38concat_and_cache_mla_rope_fused_kernelIffLb1EfhLNS_18Fp8KVCacheDataTypeE1EEEvPKlPT_S5_PKS4_PKT0_illlliPT3_S3_iiiiPKf
    .private_segment_fixed_size: 0
    .sgpr_count:     64
    .sgpr_spill_count: 0
    .symbol:         _ZN4vllm38concat_and_cache_mla_rope_fused_kernelIffLb1EfhLNS_18Fp8KVCacheDataTypeE1EEEvPKlPT_S5_PKS4_PKT0_illlliPT3_S3_iiiiPKf.kd
    .uniform_work_group_size: 1
    .uses_dynamic_stack: false
    .vgpr_count:     20
    .vgpr_spill_count: 0
    .wavefront_size: 64
  - .agpr_count:     0
    .args:
      - .actual_access:  read_only
        .address_space:  global
        .offset:         0
        .size:           8
        .value_kind:     global_buffer
      - .address_space:  global
        .offset:         8
        .size:           8
        .value_kind:     global_buffer
      - .address_space:  global
        .offset:         16
        .size:           8
        .value_kind:     global_buffer
      - .actual_access:  read_only
        .address_space:  global
        .offset:         24
        .size:           8
        .value_kind:     global_buffer
      - .actual_access:  read_only
        .address_space:  global
        .offset:         32
        .size:           8
        .value_kind:     global_buffer
      - .offset:         40
        .size:           4
        .value_kind:     by_value
      - .offset:         48
        .size:           8
        .value_kind:     by_value
      - .offset:         56
        .size:           8
        .value_kind:     by_value
      - .offset:         64
        .size:           8
        .value_kind:     by_value
      - .offset:         72
        .size:           8
        .value_kind:     by_value
      - .offset:         80
        .size:           4
        .value_kind:     by_value
      - .actual_access:  write_only
        .address_space:  global
        .offset:         88
        .size:           8
        .value_kind:     global_buffer
      - .actual_access:  read_only
        .address_space:  global
        .offset:         96
        .size:           8
        .value_kind:     global_buffer
      - .offset:         104
        .size:           4
        .value_kind:     by_value
      - .offset:         108
        .size:           4
        .value_kind:     by_value
      - .offset:         112
        .size:           4
        .value_kind:     by_value
      - .offset:         116
        .size:           4
        .value_kind:     by_value
      - .address_space:  global
        .offset:         120
        .size:           8
        .value_kind:     global_buffer
      - .offset:         128
        .size:           4
        .value_kind:     hidden_block_count_x
      - .offset:         132
        .size:           4
        .value_kind:     hidden_block_count_y
      - .offset:         136
        .size:           4
        .value_kind:     hidden_block_count_z
      - .offset:         140
        .size:           2
        .value_kind:     hidden_group_size_x
      - .offset:         142
        .size:           2
        .value_kind:     hidden_group_size_y
      - .offset:         144
        .size:           2
        .value_kind:     hidden_group_size_z
      - .offset:         146
        .size:           2
        .value_kind:     hidden_remainder_x
      - .offset:         148
        .size:           2
        .value_kind:     hidden_remainder_y
      - .offset:         150
        .size:           2
        .value_kind:     hidden_remainder_z
      - .offset:         168
        .size:           8
        .value_kind:     hidden_global_offset_x
      - .offset:         176
        .size:           8
        .value_kind:     hidden_global_offset_y
      - .offset:         184
        .size:           8
        .value_kind:     hidden_global_offset_z
      - .offset:         192
        .size:           2
        .value_kind:     hidden_grid_dims
    .group_segment_fixed_size: 0
    .kernarg_segment_align: 8
    .kernarg_segment_size: 384
    .language:       OpenCL C
    .language_version:
      - 2
      - 0
    .max_flat_workgroup_size: 1024
    .name:           _ZN4vllm38concat_and_cache_mla_rope_fused_kernelIffLb0EfhLNS_18Fp8KVCacheDataTypeE1EEEvPKlPT_S5_PKS4_PKT0_illlliPT3_S3_iiiiPKf
    .private_segment_fixed_size: 0
    .sgpr_count:     60
    .sgpr_spill_count: 0
    .symbol:         _ZN4vllm38concat_and_cache_mla_rope_fused_kernelIffLb0EfhLNS_18Fp8KVCacheDataTypeE1EEEvPKlPT_S5_PKS4_PKT0_illlliPT3_S3_iiiiPKf.kd
    .uniform_work_group_size: 1
    .uses_dynamic_stack: false
    .vgpr_count:     24
    .vgpr_spill_count: 0
    .wavefront_size: 64
  - .agpr_count:     0
    .args:
      - .actual_access:  read_only
        .address_space:  global
        .offset:         0
        .size:           8
        .value_kind:     global_buffer
      - .address_space:  global
        .offset:         8
        .size:           8
        .value_kind:     global_buffer
      - .address_space:  global
        .offset:         16
        .size:           8
        .value_kind:     global_buffer
      - .actual_access:  read_only
        .address_space:  global
        .offset:         24
        .size:           8
        .value_kind:     global_buffer
      - .actual_access:  read_only
        .address_space:  global
        .offset:         32
        .size:           8
        .value_kind:     global_buffer
      - .offset:         40
        .size:           4
        .value_kind:     by_value
      - .offset:         48
        .size:           8
        .value_kind:     by_value
      - .offset:         56
        .size:           8
        .value_kind:     by_value
      - .offset:         64
        .size:           8
        .value_kind:     by_value
      - .offset:         72
        .size:           8
        .value_kind:     by_value
      - .offset:         80
        .size:           4
        .value_kind:     by_value
      - .actual_access:  write_only
        .address_space:  global
        .offset:         88
        .size:           8
        .value_kind:     global_buffer
      - .actual_access:  read_only
        .address_space:  global
        .offset:         96
        .size:           8
        .value_kind:     global_buffer
      - .offset:         104
        .size:           4
        .value_kind:     by_value
      - .offset:         108
        .size:           4
        .value_kind:     by_value
      - .offset:         112
        .size:           4
        .value_kind:     by_value
      - .offset:         116
        .size:           4
        .value_kind:     by_value
      - .address_space:  global
        .offset:         120
        .size:           8
        .value_kind:     global_buffer
      - .offset:         128
        .size:           4
        .value_kind:     hidden_block_count_x
      - .offset:         132
        .size:           4
        .value_kind:     hidden_block_count_y
      - .offset:         136
        .size:           4
        .value_kind:     hidden_block_count_z
      - .offset:         140
        .size:           2
        .value_kind:     hidden_group_size_x
      - .offset:         142
        .size:           2
        .value_kind:     hidden_group_size_y
      - .offset:         144
        .size:           2
        .value_kind:     hidden_group_size_z
      - .offset:         146
        .size:           2
        .value_kind:     hidden_remainder_x
      - .offset:         148
        .size:           2
        .value_kind:     hidden_remainder_y
      - .offset:         150
        .size:           2
        .value_kind:     hidden_remainder_z
      - .offset:         168
        .size:           8
        .value_kind:     hidden_global_offset_x
      - .offset:         176
        .size:           8
        .value_kind:     hidden_global_offset_y
      - .offset:         184
        .size:           8
        .value_kind:     hidden_global_offset_z
      - .offset:         192
        .size:           2
        .value_kind:     hidden_grid_dims
    .group_segment_fixed_size: 0
    .kernarg_segment_align: 8
    .kernarg_segment_size: 384
    .language:       OpenCL C
    .language_version:
      - 2
      - 0
    .max_flat_workgroup_size: 1024
    .name:           _ZN4vllm38concat_and_cache_mla_rope_fused_kernelIfN3c104HalfELb1EfhLNS_18Fp8KVCacheDataTypeE1EEEvPKlPT_S7_PKS6_PKT0_illlliPT3_S5_iiiiPKf
    .private_segment_fixed_size: 0
    .sgpr_count:     66
    .sgpr_spill_count: 0
    .symbol:         _ZN4vllm38concat_and_cache_mla_rope_fused_kernelIfN3c104HalfELb1EfhLNS_18Fp8KVCacheDataTypeE1EEEvPKlPT_S7_PKS6_PKT0_illlliPT3_S5_iiiiPKf.kd
    .uniform_work_group_size: 1
    .uses_dynamic_stack: false
    .vgpr_count:     22
    .vgpr_spill_count: 0
    .wavefront_size: 64
  - .agpr_count:     0
    .args:
      - .actual_access:  read_only
        .address_space:  global
        .offset:         0
        .size:           8
        .value_kind:     global_buffer
      - .address_space:  global
        .offset:         8
        .size:           8
        .value_kind:     global_buffer
      - .address_space:  global
        .offset:         16
        .size:           8
        .value_kind:     global_buffer
      - .actual_access:  read_only
        .address_space:  global
        .offset:         24
        .size:           8
        .value_kind:     global_buffer
      - .actual_access:  read_only
        .address_space:  global
        .offset:         32
        .size:           8
        .value_kind:     global_buffer
      - .offset:         40
        .size:           4
        .value_kind:     by_value
      - .offset:         48
        .size:           8
        .value_kind:     by_value
      - .offset:         56
        .size:           8
        .value_kind:     by_value
      - .offset:         64
        .size:           8
        .value_kind:     by_value
      - .offset:         72
        .size:           8
        .value_kind:     by_value
      - .offset:         80
        .size:           4
        .value_kind:     by_value
      - .actual_access:  write_only
        .address_space:  global
        .offset:         88
        .size:           8
        .value_kind:     global_buffer
      - .actual_access:  read_only
        .address_space:  global
        .offset:         96
        .size:           8
        .value_kind:     global_buffer
      - .offset:         104
        .size:           4
        .value_kind:     by_value
      - .offset:         108
        .size:           4
        .value_kind:     by_value
      - .offset:         112
        .size:           4
        .value_kind:     by_value
      - .offset:         116
        .size:           4
        .value_kind:     by_value
      - .address_space:  global
        .offset:         120
        .size:           8
        .value_kind:     global_buffer
      - .offset:         128
        .size:           4
        .value_kind:     hidden_block_count_x
      - .offset:         132
        .size:           4
        .value_kind:     hidden_block_count_y
      - .offset:         136
        .size:           4
        .value_kind:     hidden_block_count_z
      - .offset:         140
        .size:           2
        .value_kind:     hidden_group_size_x
      - .offset:         142
        .size:           2
        .value_kind:     hidden_group_size_y
      - .offset:         144
        .size:           2
        .value_kind:     hidden_group_size_z
      - .offset:         146
        .size:           2
        .value_kind:     hidden_remainder_x
      - .offset:         148
        .size:           2
        .value_kind:     hidden_remainder_y
      - .offset:         150
        .size:           2
        .value_kind:     hidden_remainder_z
      - .offset:         168
        .size:           8
        .value_kind:     hidden_global_offset_x
      - .offset:         176
        .size:           8
        .value_kind:     hidden_global_offset_y
      - .offset:         184
        .size:           8
        .value_kind:     hidden_global_offset_z
      - .offset:         192
        .size:           2
        .value_kind:     hidden_grid_dims
    .group_segment_fixed_size: 0
    .kernarg_segment_align: 8
    .kernarg_segment_size: 384
    .language:       OpenCL C
    .language_version:
      - 2
      - 0
    .max_flat_workgroup_size: 1024
    .name:           _ZN4vllm38concat_and_cache_mla_rope_fused_kernelIfN3c104HalfELb0EfhLNS_18Fp8KVCacheDataTypeE1EEEvPKlPT_S7_PKS6_PKT0_illlliPT3_S5_iiiiPKf
    .private_segment_fixed_size: 0
    .sgpr_count:     58
    .sgpr_spill_count: 0
    .symbol:         _ZN4vllm38concat_and_cache_mla_rope_fused_kernelIfN3c104HalfELb0EfhLNS_18Fp8KVCacheDataTypeE1EEEvPKlPT_S7_PKS6_PKT0_illlliPT3_S5_iiiiPKf.kd
    .uniform_work_group_size: 1
    .uses_dynamic_stack: false
    .vgpr_count:     26
    .vgpr_spill_count: 0
    .wavefront_size: 64
  - .agpr_count:     0
    .args:
      - .actual_access:  read_only
        .address_space:  global
        .offset:         0
        .size:           8
        .value_kind:     global_buffer
      - .address_space:  global
        .offset:         8
        .size:           8
        .value_kind:     global_buffer
      - .address_space:  global
        .offset:         16
        .size:           8
        .value_kind:     global_buffer
      - .actual_access:  read_only
        .address_space:  global
        .offset:         24
        .size:           8
        .value_kind:     global_buffer
      - .actual_access:  read_only
        .address_space:  global
        .offset:         32
        .size:           8
        .value_kind:     global_buffer
      - .offset:         40
        .size:           4
        .value_kind:     by_value
      - .offset:         48
        .size:           8
        .value_kind:     by_value
      - .offset:         56
        .size:           8
        .value_kind:     by_value
      - .offset:         64
        .size:           8
        .value_kind:     by_value
      - .offset:         72
        .size:           8
        .value_kind:     by_value
      - .offset:         80
        .size:           4
        .value_kind:     by_value
      - .actual_access:  write_only
        .address_space:  global
        .offset:         88
        .size:           8
        .value_kind:     global_buffer
      - .actual_access:  read_only
        .address_space:  global
        .offset:         96
        .size:           8
        .value_kind:     global_buffer
      - .offset:         104
        .size:           4
        .value_kind:     by_value
      - .offset:         108
        .size:           4
        .value_kind:     by_value
      - .offset:         112
        .size:           4
        .value_kind:     by_value
      - .offset:         116
        .size:           4
        .value_kind:     by_value
      - .address_space:  global
        .offset:         120
        .size:           8
        .value_kind:     global_buffer
      - .offset:         128
        .size:           4
        .value_kind:     hidden_block_count_x
      - .offset:         132
        .size:           4
        .value_kind:     hidden_block_count_y
      - .offset:         136
        .size:           4
        .value_kind:     hidden_block_count_z
      - .offset:         140
        .size:           2
        .value_kind:     hidden_group_size_x
      - .offset:         142
        .size:           2
        .value_kind:     hidden_group_size_y
      - .offset:         144
        .size:           2
        .value_kind:     hidden_group_size_z
      - .offset:         146
        .size:           2
        .value_kind:     hidden_remainder_x
      - .offset:         148
        .size:           2
        .value_kind:     hidden_remainder_y
      - .offset:         150
        .size:           2
        .value_kind:     hidden_remainder_z
      - .offset:         168
        .size:           8
        .value_kind:     hidden_global_offset_x
      - .offset:         176
        .size:           8
        .value_kind:     hidden_global_offset_y
      - .offset:         184
        .size:           8
        .value_kind:     hidden_global_offset_z
      - .offset:         192
        .size:           2
        .value_kind:     hidden_grid_dims
    .group_segment_fixed_size: 0
    .kernarg_segment_align: 8
    .kernarg_segment_size: 384
    .language:       OpenCL C
    .language_version:
      - 2
      - 0
    .max_flat_workgroup_size: 1024
    .name:           _ZN4vllm38concat_and_cache_mla_rope_fused_kernelIfN3c108BFloat16ELb1EfhLNS_18Fp8KVCacheDataTypeE1EEEvPKlPT_S7_PKS6_PKT0_illlliPT3_S5_iiiiPKf
    .private_segment_fixed_size: 0
    .sgpr_count:     66
    .sgpr_spill_count: 0
    .symbol:         _ZN4vllm38concat_and_cache_mla_rope_fused_kernelIfN3c108BFloat16ELb1EfhLNS_18Fp8KVCacheDataTypeE1EEEvPKlPT_S7_PKS6_PKT0_illlliPT3_S5_iiiiPKf.kd
    .uniform_work_group_size: 1
    .uses_dynamic_stack: false
    .vgpr_count:     22
    .vgpr_spill_count: 0
    .wavefront_size: 64
  - .agpr_count:     0
    .args:
      - .actual_access:  read_only
        .address_space:  global
        .offset:         0
        .size:           8
        .value_kind:     global_buffer
      - .address_space:  global
        .offset:         8
        .size:           8
        .value_kind:     global_buffer
      - .address_space:  global
        .offset:         16
        .size:           8
        .value_kind:     global_buffer
      - .actual_access:  read_only
        .address_space:  global
        .offset:         24
        .size:           8
        .value_kind:     global_buffer
      - .actual_access:  read_only
        .address_space:  global
        .offset:         32
        .size:           8
        .value_kind:     global_buffer
      - .offset:         40
        .size:           4
        .value_kind:     by_value
      - .offset:         48
        .size:           8
        .value_kind:     by_value
      - .offset:         56
        .size:           8
        .value_kind:     by_value
      - .offset:         64
        .size:           8
        .value_kind:     by_value
      - .offset:         72
        .size:           8
        .value_kind:     by_value
      - .offset:         80
        .size:           4
        .value_kind:     by_value
      - .actual_access:  write_only
        .address_space:  global
        .offset:         88
        .size:           8
        .value_kind:     global_buffer
      - .actual_access:  read_only
        .address_space:  global
        .offset:         96
        .size:           8
        .value_kind:     global_buffer
      - .offset:         104
        .size:           4
        .value_kind:     by_value
      - .offset:         108
        .size:           4
        .value_kind:     by_value
      - .offset:         112
        .size:           4
        .value_kind:     by_value
      - .offset:         116
        .size:           4
        .value_kind:     by_value
      - .address_space:  global
        .offset:         120
        .size:           8
        .value_kind:     global_buffer
      - .offset:         128
        .size:           4
        .value_kind:     hidden_block_count_x
      - .offset:         132
        .size:           4
        .value_kind:     hidden_block_count_y
      - .offset:         136
        .size:           4
        .value_kind:     hidden_block_count_z
      - .offset:         140
        .size:           2
        .value_kind:     hidden_group_size_x
      - .offset:         142
        .size:           2
        .value_kind:     hidden_group_size_y
      - .offset:         144
        .size:           2
        .value_kind:     hidden_group_size_z
      - .offset:         146
        .size:           2
        .value_kind:     hidden_remainder_x
      - .offset:         148
        .size:           2
        .value_kind:     hidden_remainder_y
      - .offset:         150
        .size:           2
        .value_kind:     hidden_remainder_z
      - .offset:         168
        .size:           8
        .value_kind:     hidden_global_offset_x
      - .offset:         176
        .size:           8
        .value_kind:     hidden_global_offset_y
      - .offset:         184
        .size:           8
        .value_kind:     hidden_global_offset_z
      - .offset:         192
        .size:           2
        .value_kind:     hidden_grid_dims
    .group_segment_fixed_size: 0
    .kernarg_segment_align: 8
    .kernarg_segment_size: 384
    .language:       OpenCL C
    .language_version:
      - 2
      - 0
    .max_flat_workgroup_size: 1024
    .name:           _ZN4vllm38concat_and_cache_mla_rope_fused_kernelIfN3c108BFloat16ELb0EfhLNS_18Fp8KVCacheDataTypeE1EEEvPKlPT_S7_PKS6_PKT0_illlliPT3_S5_iiiiPKf
    .private_segment_fixed_size: 0
    .sgpr_count:     58
    .sgpr_spill_count: 0
    .symbol:         _ZN4vllm38concat_and_cache_mla_rope_fused_kernelIfN3c108BFloat16ELb0EfhLNS_18Fp8KVCacheDataTypeE1EEEvPKlPT_S7_PKS6_PKT0_illlliPT3_S5_iiiiPKf.kd
    .uniform_work_group_size: 1
    .uses_dynamic_stack: false
    .vgpr_count:     24
    .vgpr_spill_count: 0
    .wavefront_size: 64
  - .agpr_count:     0
    .args:
      - .actual_access:  read_only
        .address_space:  global
        .offset:         0
        .size:           8
        .value_kind:     global_buffer
      - .address_space:  global
        .offset:         8
        .size:           8
        .value_kind:     global_buffer
      - .address_space:  global
        .offset:         16
        .size:           8
        .value_kind:     global_buffer
      - .actual_access:  read_only
        .address_space:  global
        .offset:         24
        .size:           8
        .value_kind:     global_buffer
      - .actual_access:  read_only
        .address_space:  global
        .offset:         32
        .size:           8
        .value_kind:     global_buffer
      - .offset:         40
        .size:           4
        .value_kind:     by_value
      - .offset:         48
        .size:           8
        .value_kind:     by_value
      - .offset:         56
        .size:           8
        .value_kind:     by_value
      - .offset:         64
        .size:           8
        .value_kind:     by_value
      - .offset:         72
        .size:           8
        .value_kind:     by_value
      - .offset:         80
        .size:           4
        .value_kind:     by_value
      - .actual_access:  write_only
        .address_space:  global
        .offset:         88
        .size:           8
        .value_kind:     global_buffer
      - .actual_access:  read_only
        .address_space:  global
        .offset:         96
        .size:           8
        .value_kind:     global_buffer
      - .offset:         104
        .size:           4
        .value_kind:     by_value
      - .offset:         108
        .size:           4
        .value_kind:     by_value
      - .offset:         112
        .size:           4
        .value_kind:     by_value
      - .offset:         116
        .size:           4
        .value_kind:     by_value
      - .address_space:  global
        .offset:         120
        .size:           8
        .value_kind:     global_buffer
      - .offset:         128
        .size:           4
        .value_kind:     hidden_block_count_x
      - .offset:         132
        .size:           4
        .value_kind:     hidden_block_count_y
      - .offset:         136
        .size:           4
        .value_kind:     hidden_block_count_z
      - .offset:         140
        .size:           2
        .value_kind:     hidden_group_size_x
      - .offset:         142
        .size:           2
        .value_kind:     hidden_group_size_y
      - .offset:         144
        .size:           2
        .value_kind:     hidden_group_size_z
      - .offset:         146
        .size:           2
        .value_kind:     hidden_remainder_x
      - .offset:         148
        .size:           2
        .value_kind:     hidden_remainder_y
      - .offset:         150
        .size:           2
        .value_kind:     hidden_remainder_z
      - .offset:         168
        .size:           8
        .value_kind:     hidden_global_offset_x
      - .offset:         176
        .size:           8
        .value_kind:     hidden_global_offset_y
      - .offset:         184
        .size:           8
        .value_kind:     hidden_global_offset_z
      - .offset:         192
        .size:           2
        .value_kind:     hidden_grid_dims
    .group_segment_fixed_size: 4096
    .kernarg_segment_align: 8
    .kernarg_segment_size: 384
    .language:       OpenCL C
    .language_version:
      - 2
      - 0
    .max_flat_workgroup_size: 1024
    .name:           _ZN4vllm38concat_and_cache_mla_rope_fused_kernelIN3c104HalfEfLb1EfhLNS_18Fp8KVCacheDataTypeE1EEEvPKlPT_S7_PKS6_PKT0_illlliPT3_S5_iiiiPKf
    .private_segment_fixed_size: 0
    .sgpr_count:     66
    .sgpr_spill_count: 0
    .symbol:         _ZN4vllm38concat_and_cache_mla_rope_fused_kernelIN3c104HalfEfLb1EfhLNS_18Fp8KVCacheDataTypeE1EEEvPKlPT_S7_PKS6_PKT0_illlliPT3_S5_iiiiPKf.kd
    .uniform_work_group_size: 1
    .uses_dynamic_stack: false
    .vgpr_count:     24
    .vgpr_spill_count: 0
    .wavefront_size: 64
  - .agpr_count:     0
    .args:
      - .actual_access:  read_only
        .address_space:  global
        .offset:         0
        .size:           8
        .value_kind:     global_buffer
      - .address_space:  global
        .offset:         8
        .size:           8
        .value_kind:     global_buffer
      - .address_space:  global
        .offset:         16
        .size:           8
        .value_kind:     global_buffer
      - .actual_access:  read_only
        .address_space:  global
        .offset:         24
        .size:           8
        .value_kind:     global_buffer
      - .actual_access:  read_only
        .address_space:  global
        .offset:         32
        .size:           8
        .value_kind:     global_buffer
      - .offset:         40
        .size:           4
        .value_kind:     by_value
      - .offset:         48
        .size:           8
        .value_kind:     by_value
      - .offset:         56
        .size:           8
        .value_kind:     by_value
      - .offset:         64
        .size:           8
        .value_kind:     by_value
      - .offset:         72
        .size:           8
        .value_kind:     by_value
      - .offset:         80
        .size:           4
        .value_kind:     by_value
      - .actual_access:  write_only
        .address_space:  global
        .offset:         88
        .size:           8
        .value_kind:     global_buffer
      - .actual_access:  read_only
        .address_space:  global
        .offset:         96
        .size:           8
        .value_kind:     global_buffer
      - .offset:         104
        .size:           4
        .value_kind:     by_value
      - .offset:         108
        .size:           4
        .value_kind:     by_value
      - .offset:         112
        .size:           4
        .value_kind:     by_value
      - .offset:         116
        .size:           4
        .value_kind:     by_value
      - .address_space:  global
        .offset:         120
        .size:           8
        .value_kind:     global_buffer
      - .offset:         128
        .size:           4
        .value_kind:     hidden_block_count_x
      - .offset:         132
        .size:           4
        .value_kind:     hidden_block_count_y
      - .offset:         136
        .size:           4
        .value_kind:     hidden_block_count_z
      - .offset:         140
        .size:           2
        .value_kind:     hidden_group_size_x
      - .offset:         142
        .size:           2
        .value_kind:     hidden_group_size_y
      - .offset:         144
        .size:           2
        .value_kind:     hidden_group_size_z
      - .offset:         146
        .size:           2
        .value_kind:     hidden_remainder_x
      - .offset:         148
        .size:           2
        .value_kind:     hidden_remainder_y
      - .offset:         150
        .size:           2
        .value_kind:     hidden_remainder_z
      - .offset:         168
        .size:           8
        .value_kind:     hidden_global_offset_x
      - .offset:         176
        .size:           8
        .value_kind:     hidden_global_offset_y
      - .offset:         184
        .size:           8
        .value_kind:     hidden_global_offset_z
      - .offset:         192
        .size:           2
        .value_kind:     hidden_grid_dims
    .group_segment_fixed_size: 4096
    .kernarg_segment_align: 8
    .kernarg_segment_size: 384
    .language:       OpenCL C
    .language_version:
      - 2
      - 0
    .max_flat_workgroup_size: 1024
    .name:           _ZN4vllm38concat_and_cache_mla_rope_fused_kernelIN3c104HalfEfLb0EfhLNS_18Fp8KVCacheDataTypeE1EEEvPKlPT_S7_PKS6_PKT0_illlliPT3_S5_iiiiPKf
    .private_segment_fixed_size: 0
    .sgpr_count:     58
    .sgpr_spill_count: 0
    .symbol:         _ZN4vllm38concat_and_cache_mla_rope_fused_kernelIN3c104HalfEfLb0EfhLNS_18Fp8KVCacheDataTypeE1EEEvPKlPT_S7_PKS6_PKT0_illlliPT3_S5_iiiiPKf.kd
    .uniform_work_group_size: 1
    .uses_dynamic_stack: false
    .vgpr_count:     27
    .vgpr_spill_count: 0
    .wavefront_size: 64
  - .agpr_count:     0
    .args:
      - .actual_access:  read_only
        .address_space:  global
        .offset:         0
        .size:           8
        .value_kind:     global_buffer
      - .address_space:  global
        .offset:         8
        .size:           8
        .value_kind:     global_buffer
      - .address_space:  global
        .offset:         16
        .size:           8
        .value_kind:     global_buffer
      - .actual_access:  read_only
        .address_space:  global
        .offset:         24
        .size:           8
        .value_kind:     global_buffer
      - .actual_access:  read_only
        .address_space:  global
        .offset:         32
        .size:           8
        .value_kind:     global_buffer
      - .offset:         40
        .size:           4
        .value_kind:     by_value
      - .offset:         48
        .size:           8
        .value_kind:     by_value
      - .offset:         56
        .size:           8
        .value_kind:     by_value
      - .offset:         64
        .size:           8
        .value_kind:     by_value
      - .offset:         72
        .size:           8
        .value_kind:     by_value
      - .offset:         80
        .size:           4
        .value_kind:     by_value
      - .actual_access:  write_only
        .address_space:  global
        .offset:         88
        .size:           8
        .value_kind:     global_buffer
      - .actual_access:  read_only
        .address_space:  global
        .offset:         96
        .size:           8
        .value_kind:     global_buffer
      - .offset:         104
        .size:           4
        .value_kind:     by_value
      - .offset:         108
        .size:           4
        .value_kind:     by_value
      - .offset:         112
        .size:           4
        .value_kind:     by_value
      - .offset:         116
        .size:           4
        .value_kind:     by_value
      - .address_space:  global
        .offset:         120
        .size:           8
        .value_kind:     global_buffer
      - .offset:         128
        .size:           4
        .value_kind:     hidden_block_count_x
      - .offset:         132
        .size:           4
        .value_kind:     hidden_block_count_y
      - .offset:         136
        .size:           4
        .value_kind:     hidden_block_count_z
      - .offset:         140
        .size:           2
        .value_kind:     hidden_group_size_x
      - .offset:         142
        .size:           2
        .value_kind:     hidden_group_size_y
      - .offset:         144
        .size:           2
        .value_kind:     hidden_group_size_z
      - .offset:         146
        .size:           2
        .value_kind:     hidden_remainder_x
      - .offset:         148
        .size:           2
        .value_kind:     hidden_remainder_y
      - .offset:         150
        .size:           2
        .value_kind:     hidden_remainder_z
      - .offset:         168
        .size:           8
        .value_kind:     hidden_global_offset_x
      - .offset:         176
        .size:           8
        .value_kind:     hidden_global_offset_y
      - .offset:         184
        .size:           8
        .value_kind:     hidden_global_offset_z
      - .offset:         192
        .size:           2
        .value_kind:     hidden_grid_dims
    .group_segment_fixed_size: 4096
    .kernarg_segment_align: 8
    .kernarg_segment_size: 384
    .language:       OpenCL C
    .language_version:
      - 2
      - 0
    .max_flat_workgroup_size: 1024
    .name:           _ZN4vllm38concat_and_cache_mla_rope_fused_kernelIN3c104HalfES2_Lb1EfhLNS_18Fp8KVCacheDataTypeE1EEEvPKlPT_S7_PKS6_PKT0_illlliPT3_S5_iiiiPKf
    .private_segment_fixed_size: 0
    .sgpr_count:     64
    .sgpr_spill_count: 0
    .symbol:         _ZN4vllm38concat_and_cache_mla_rope_fused_kernelIN3c104HalfES2_Lb1EfhLNS_18Fp8KVCacheDataTypeE1EEEvPKlPT_S7_PKS6_PKT0_illlliPT3_S5_iiiiPKf.kd
    .uniform_work_group_size: 1
    .uses_dynamic_stack: false
    .vgpr_count:     22
    .vgpr_spill_count: 0
    .wavefront_size: 64
  - .agpr_count:     0
    .args:
      - .actual_access:  read_only
        .address_space:  global
        .offset:         0
        .size:           8
        .value_kind:     global_buffer
      - .address_space:  global
        .offset:         8
        .size:           8
        .value_kind:     global_buffer
      - .address_space:  global
        .offset:         16
        .size:           8
        .value_kind:     global_buffer
      - .actual_access:  read_only
        .address_space:  global
        .offset:         24
        .size:           8
        .value_kind:     global_buffer
      - .actual_access:  read_only
        .address_space:  global
        .offset:         32
        .size:           8
        .value_kind:     global_buffer
      - .offset:         40
        .size:           4
        .value_kind:     by_value
      - .offset:         48
        .size:           8
        .value_kind:     by_value
      - .offset:         56
        .size:           8
        .value_kind:     by_value
      - .offset:         64
        .size:           8
        .value_kind:     by_value
      - .offset:         72
        .size:           8
        .value_kind:     by_value
      - .offset:         80
        .size:           4
        .value_kind:     by_value
      - .actual_access:  write_only
        .address_space:  global
        .offset:         88
        .size:           8
        .value_kind:     global_buffer
      - .actual_access:  read_only
        .address_space:  global
        .offset:         96
        .size:           8
        .value_kind:     global_buffer
      - .offset:         104
        .size:           4
        .value_kind:     by_value
      - .offset:         108
        .size:           4
        .value_kind:     by_value
      - .offset:         112
        .size:           4
        .value_kind:     by_value
      - .offset:         116
        .size:           4
        .value_kind:     by_value
      - .address_space:  global
        .offset:         120
        .size:           8
        .value_kind:     global_buffer
      - .offset:         128
        .size:           4
        .value_kind:     hidden_block_count_x
      - .offset:         132
        .size:           4
        .value_kind:     hidden_block_count_y
      - .offset:         136
        .size:           4
        .value_kind:     hidden_block_count_z
      - .offset:         140
        .size:           2
        .value_kind:     hidden_group_size_x
      - .offset:         142
        .size:           2
        .value_kind:     hidden_group_size_y
      - .offset:         144
        .size:           2
        .value_kind:     hidden_group_size_z
      - .offset:         146
        .size:           2
        .value_kind:     hidden_remainder_x
      - .offset:         148
        .size:           2
        .value_kind:     hidden_remainder_y
      - .offset:         150
        .size:           2
        .value_kind:     hidden_remainder_z
      - .offset:         168
        .size:           8
        .value_kind:     hidden_global_offset_x
      - .offset:         176
        .size:           8
        .value_kind:     hidden_global_offset_y
      - .offset:         184
        .size:           8
        .value_kind:     hidden_global_offset_z
      - .offset:         192
        .size:           2
        .value_kind:     hidden_grid_dims
    .group_segment_fixed_size: 4096
    .kernarg_segment_align: 8
    .kernarg_segment_size: 384
    .language:       OpenCL C
    .language_version:
      - 2
      - 0
    .max_flat_workgroup_size: 1024
    .name:           _ZN4vllm38concat_and_cache_mla_rope_fused_kernelIN3c104HalfES2_Lb0EfhLNS_18Fp8KVCacheDataTypeE1EEEvPKlPT_S7_PKS6_PKT0_illlliPT3_S5_iiiiPKf
    .private_segment_fixed_size: 0
    .sgpr_count:     58
    .sgpr_spill_count: 0
    .symbol:         _ZN4vllm38concat_and_cache_mla_rope_fused_kernelIN3c104HalfES2_Lb0EfhLNS_18Fp8KVCacheDataTypeE1EEEvPKlPT_S7_PKS6_PKT0_illlliPT3_S5_iiiiPKf.kd
    .uniform_work_group_size: 1
    .uses_dynamic_stack: false
    .vgpr_count:     28
    .vgpr_spill_count: 0
    .wavefront_size: 64
  - .agpr_count:     0
    .args:
      - .actual_access:  read_only
        .address_space:  global
        .offset:         0
        .size:           8
        .value_kind:     global_buffer
      - .address_space:  global
        .offset:         8
        .size:           8
        .value_kind:     global_buffer
      - .address_space:  global
        .offset:         16
        .size:           8
        .value_kind:     global_buffer
      - .actual_access:  read_only
        .address_space:  global
        .offset:         24
        .size:           8
        .value_kind:     global_buffer
      - .actual_access:  read_only
        .address_space:  global
        .offset:         32
        .size:           8
        .value_kind:     global_buffer
      - .offset:         40
        .size:           4
        .value_kind:     by_value
      - .offset:         48
        .size:           8
        .value_kind:     by_value
      - .offset:         56
        .size:           8
        .value_kind:     by_value
      - .offset:         64
        .size:           8
        .value_kind:     by_value
      - .offset:         72
        .size:           8
        .value_kind:     by_value
      - .offset:         80
        .size:           4
        .value_kind:     by_value
      - .actual_access:  write_only
        .address_space:  global
        .offset:         88
        .size:           8
        .value_kind:     global_buffer
      - .actual_access:  read_only
        .address_space:  global
        .offset:         96
        .size:           8
        .value_kind:     global_buffer
      - .offset:         104
        .size:           4
        .value_kind:     by_value
      - .offset:         108
        .size:           4
        .value_kind:     by_value
      - .offset:         112
        .size:           4
        .value_kind:     by_value
      - .offset:         116
        .size:           4
        .value_kind:     by_value
      - .address_space:  global
        .offset:         120
        .size:           8
        .value_kind:     global_buffer
      - .offset:         128
        .size:           4
        .value_kind:     hidden_block_count_x
      - .offset:         132
        .size:           4
        .value_kind:     hidden_block_count_y
      - .offset:         136
        .size:           4
        .value_kind:     hidden_block_count_z
      - .offset:         140
        .size:           2
        .value_kind:     hidden_group_size_x
      - .offset:         142
        .size:           2
        .value_kind:     hidden_group_size_y
      - .offset:         144
        .size:           2
        .value_kind:     hidden_group_size_z
      - .offset:         146
        .size:           2
        .value_kind:     hidden_remainder_x
      - .offset:         148
        .size:           2
        .value_kind:     hidden_remainder_y
      - .offset:         150
        .size:           2
        .value_kind:     hidden_remainder_z
      - .offset:         168
        .size:           8
        .value_kind:     hidden_global_offset_x
      - .offset:         176
        .size:           8
        .value_kind:     hidden_global_offset_y
      - .offset:         184
        .size:           8
        .value_kind:     hidden_global_offset_z
      - .offset:         192
        .size:           2
        .value_kind:     hidden_grid_dims
    .group_segment_fixed_size: 4096
    .kernarg_segment_align: 8
    .kernarg_segment_size: 384
    .language:       OpenCL C
    .language_version:
      - 2
      - 0
    .max_flat_workgroup_size: 1024
    .name:           _ZN4vllm38concat_and_cache_mla_rope_fused_kernelIN3c104HalfENS1_8BFloat16ELb1EfhLNS_18Fp8KVCacheDataTypeE1EEEvPKlPT_S8_PKS7_PKT0_illlliPT3_S6_iiiiPKf
    .private_segment_fixed_size: 0
    .sgpr_count:     64
    .sgpr_spill_count: 0
    .symbol:         _ZN4vllm38concat_and_cache_mla_rope_fused_kernelIN3c104HalfENS1_8BFloat16ELb1EfhLNS_18Fp8KVCacheDataTypeE1EEEvPKlPT_S8_PKS7_PKT0_illlliPT3_S6_iiiiPKf.kd
    .uniform_work_group_size: 1
    .uses_dynamic_stack: false
    .vgpr_count:     22
    .vgpr_spill_count: 0
    .wavefront_size: 64
  - .agpr_count:     0
    .args:
      - .actual_access:  read_only
        .address_space:  global
        .offset:         0
        .size:           8
        .value_kind:     global_buffer
      - .address_space:  global
        .offset:         8
        .size:           8
        .value_kind:     global_buffer
      - .address_space:  global
        .offset:         16
        .size:           8
        .value_kind:     global_buffer
      - .actual_access:  read_only
        .address_space:  global
        .offset:         24
        .size:           8
        .value_kind:     global_buffer
      - .actual_access:  read_only
        .address_space:  global
        .offset:         32
        .size:           8
        .value_kind:     global_buffer
      - .offset:         40
        .size:           4
        .value_kind:     by_value
      - .offset:         48
        .size:           8
        .value_kind:     by_value
      - .offset:         56
        .size:           8
        .value_kind:     by_value
      - .offset:         64
        .size:           8
        .value_kind:     by_value
      - .offset:         72
        .size:           8
        .value_kind:     by_value
      - .offset:         80
        .size:           4
        .value_kind:     by_value
      - .actual_access:  write_only
        .address_space:  global
        .offset:         88
        .size:           8
        .value_kind:     global_buffer
      - .actual_access:  read_only
        .address_space:  global
        .offset:         96
        .size:           8
        .value_kind:     global_buffer
      - .offset:         104
        .size:           4
        .value_kind:     by_value
      - .offset:         108
        .size:           4
        .value_kind:     by_value
      - .offset:         112
        .size:           4
        .value_kind:     by_value
      - .offset:         116
        .size:           4
        .value_kind:     by_value
      - .address_space:  global
        .offset:         120
        .size:           8
        .value_kind:     global_buffer
      - .offset:         128
        .size:           4
        .value_kind:     hidden_block_count_x
      - .offset:         132
        .size:           4
        .value_kind:     hidden_block_count_y
      - .offset:         136
        .size:           4
        .value_kind:     hidden_block_count_z
      - .offset:         140
        .size:           2
        .value_kind:     hidden_group_size_x
      - .offset:         142
        .size:           2
        .value_kind:     hidden_group_size_y
      - .offset:         144
        .size:           2
        .value_kind:     hidden_group_size_z
      - .offset:         146
        .size:           2
        .value_kind:     hidden_remainder_x
      - .offset:         148
        .size:           2
        .value_kind:     hidden_remainder_y
      - .offset:         150
        .size:           2
        .value_kind:     hidden_remainder_z
      - .offset:         168
        .size:           8
        .value_kind:     hidden_global_offset_x
      - .offset:         176
        .size:           8
        .value_kind:     hidden_global_offset_y
      - .offset:         184
        .size:           8
        .value_kind:     hidden_global_offset_z
      - .offset:         192
        .size:           2
        .value_kind:     hidden_grid_dims
    .group_segment_fixed_size: 4096
    .kernarg_segment_align: 8
    .kernarg_segment_size: 384
    .language:       OpenCL C
    .language_version:
      - 2
      - 0
    .max_flat_workgroup_size: 1024
    .name:           _ZN4vllm38concat_and_cache_mla_rope_fused_kernelIN3c104HalfENS1_8BFloat16ELb0EfhLNS_18Fp8KVCacheDataTypeE1EEEvPKlPT_S8_PKS7_PKT0_illlliPT3_S6_iiiiPKf
    .private_segment_fixed_size: 0
    .sgpr_count:     58
    .sgpr_spill_count: 0
    .symbol:         _ZN4vllm38concat_and_cache_mla_rope_fused_kernelIN3c104HalfENS1_8BFloat16ELb0EfhLNS_18Fp8KVCacheDataTypeE1EEEvPKlPT_S8_PKS7_PKT0_illlliPT3_S6_iiiiPKf.kd
    .uniform_work_group_size: 1
    .uses_dynamic_stack: false
    .vgpr_count:     28
    .vgpr_spill_count: 0
    .wavefront_size: 64
  - .agpr_count:     0
    .args:
      - .actual_access:  read_only
        .address_space:  global
        .offset:         0
        .size:           8
        .value_kind:     global_buffer
      - .address_space:  global
        .offset:         8
        .size:           8
        .value_kind:     global_buffer
      - .address_space:  global
        .offset:         16
        .size:           8
        .value_kind:     global_buffer
      - .actual_access:  read_only
        .address_space:  global
        .offset:         24
        .size:           8
        .value_kind:     global_buffer
      - .actual_access:  read_only
        .address_space:  global
        .offset:         32
        .size:           8
        .value_kind:     global_buffer
      - .offset:         40
        .size:           4
        .value_kind:     by_value
      - .offset:         48
        .size:           8
        .value_kind:     by_value
      - .offset:         56
        .size:           8
        .value_kind:     by_value
      - .offset:         64
        .size:           8
        .value_kind:     by_value
      - .offset:         72
        .size:           8
        .value_kind:     by_value
      - .offset:         80
        .size:           4
        .value_kind:     by_value
      - .actual_access:  write_only
        .address_space:  global
        .offset:         88
        .size:           8
        .value_kind:     global_buffer
      - .actual_access:  read_only
        .address_space:  global
        .offset:         96
        .size:           8
        .value_kind:     global_buffer
      - .offset:         104
        .size:           4
        .value_kind:     by_value
      - .offset:         108
        .size:           4
        .value_kind:     by_value
      - .offset:         112
        .size:           4
        .value_kind:     by_value
      - .offset:         116
        .size:           4
        .value_kind:     by_value
      - .address_space:  global
        .offset:         120
        .size:           8
        .value_kind:     global_buffer
      - .offset:         128
        .size:           4
        .value_kind:     hidden_block_count_x
      - .offset:         132
        .size:           4
        .value_kind:     hidden_block_count_y
      - .offset:         136
        .size:           4
        .value_kind:     hidden_block_count_z
      - .offset:         140
        .size:           2
        .value_kind:     hidden_group_size_x
      - .offset:         142
        .size:           2
        .value_kind:     hidden_group_size_y
      - .offset:         144
        .size:           2
        .value_kind:     hidden_group_size_z
      - .offset:         146
        .size:           2
        .value_kind:     hidden_remainder_x
      - .offset:         148
        .size:           2
        .value_kind:     hidden_remainder_y
      - .offset:         150
        .size:           2
        .value_kind:     hidden_remainder_z
      - .offset:         168
        .size:           8
        .value_kind:     hidden_global_offset_x
      - .offset:         176
        .size:           8
        .value_kind:     hidden_global_offset_y
      - .offset:         184
        .size:           8
        .value_kind:     hidden_global_offset_z
      - .offset:         192
        .size:           2
        .value_kind:     hidden_grid_dims
    .group_segment_fixed_size: 4096
    .kernarg_segment_align: 8
    .kernarg_segment_size: 384
    .language:       OpenCL C
    .language_version:
      - 2
      - 0
    .max_flat_workgroup_size: 1024
    .name:           _ZN4vllm38concat_and_cache_mla_rope_fused_kernelIN3c108BFloat16EfLb1EfhLNS_18Fp8KVCacheDataTypeE1EEEvPKlPT_S7_PKS6_PKT0_illlliPT3_S5_iiiiPKf
    .private_segment_fixed_size: 0
    .sgpr_count:     66
    .sgpr_spill_count: 0
    .symbol:         _ZN4vllm38concat_and_cache_mla_rope_fused_kernelIN3c108BFloat16EfLb1EfhLNS_18Fp8KVCacheDataTypeE1EEEvPKlPT_S7_PKS6_PKT0_illlliPT3_S5_iiiiPKf.kd
    .uniform_work_group_size: 1
    .uses_dynamic_stack: false
    .vgpr_count:     26
    .vgpr_spill_count: 0
    .wavefront_size: 64
  - .agpr_count:     0
    .args:
      - .actual_access:  read_only
        .address_space:  global
        .offset:         0
        .size:           8
        .value_kind:     global_buffer
      - .address_space:  global
        .offset:         8
        .size:           8
        .value_kind:     global_buffer
      - .address_space:  global
        .offset:         16
        .size:           8
        .value_kind:     global_buffer
      - .actual_access:  read_only
        .address_space:  global
        .offset:         24
        .size:           8
        .value_kind:     global_buffer
      - .actual_access:  read_only
        .address_space:  global
        .offset:         32
        .size:           8
        .value_kind:     global_buffer
      - .offset:         40
        .size:           4
        .value_kind:     by_value
      - .offset:         48
        .size:           8
        .value_kind:     by_value
      - .offset:         56
        .size:           8
        .value_kind:     by_value
      - .offset:         64
        .size:           8
        .value_kind:     by_value
      - .offset:         72
        .size:           8
        .value_kind:     by_value
      - .offset:         80
        .size:           4
        .value_kind:     by_value
      - .actual_access:  write_only
        .address_space:  global
        .offset:         88
        .size:           8
        .value_kind:     global_buffer
      - .actual_access:  read_only
        .address_space:  global
        .offset:         96
        .size:           8
        .value_kind:     global_buffer
      - .offset:         104
        .size:           4
        .value_kind:     by_value
      - .offset:         108
        .size:           4
        .value_kind:     by_value
      - .offset:         112
        .size:           4
        .value_kind:     by_value
      - .offset:         116
        .size:           4
        .value_kind:     by_value
      - .address_space:  global
        .offset:         120
        .size:           8
        .value_kind:     global_buffer
      - .offset:         128
        .size:           4
        .value_kind:     hidden_block_count_x
      - .offset:         132
        .size:           4
        .value_kind:     hidden_block_count_y
      - .offset:         136
        .size:           4
        .value_kind:     hidden_block_count_z
      - .offset:         140
        .size:           2
        .value_kind:     hidden_group_size_x
      - .offset:         142
        .size:           2
        .value_kind:     hidden_group_size_y
      - .offset:         144
        .size:           2
        .value_kind:     hidden_group_size_z
      - .offset:         146
        .size:           2
        .value_kind:     hidden_remainder_x
      - .offset:         148
        .size:           2
        .value_kind:     hidden_remainder_y
      - .offset:         150
        .size:           2
        .value_kind:     hidden_remainder_z
      - .offset:         168
        .size:           8
        .value_kind:     hidden_global_offset_x
      - .offset:         176
        .size:           8
        .value_kind:     hidden_global_offset_y
      - .offset:         184
        .size:           8
        .value_kind:     hidden_global_offset_z
      - .offset:         192
        .size:           2
        .value_kind:     hidden_grid_dims
    .group_segment_fixed_size: 4096
    .kernarg_segment_align: 8
    .kernarg_segment_size: 384
    .language:       OpenCL C
    .language_version:
      - 2
      - 0
    .max_flat_workgroup_size: 1024
    .name:           _ZN4vllm38concat_and_cache_mla_rope_fused_kernelIN3c108BFloat16EfLb0EfhLNS_18Fp8KVCacheDataTypeE1EEEvPKlPT_S7_PKS6_PKT0_illlliPT3_S5_iiiiPKf
    .private_segment_fixed_size: 0
    .sgpr_count:     60
    .sgpr_spill_count: 0
    .symbol:         _ZN4vllm38concat_and_cache_mla_rope_fused_kernelIN3c108BFloat16EfLb0EfhLNS_18Fp8KVCacheDataTypeE1EEEvPKlPT_S7_PKS6_PKT0_illlliPT3_S5_iiiiPKf.kd
    .uniform_work_group_size: 1
    .uses_dynamic_stack: false
    .vgpr_count:     29
    .vgpr_spill_count: 0
    .wavefront_size: 64
  - .agpr_count:     0
    .args:
      - .actual_access:  read_only
        .address_space:  global
        .offset:         0
        .size:           8
        .value_kind:     global_buffer
      - .address_space:  global
        .offset:         8
        .size:           8
        .value_kind:     global_buffer
      - .address_space:  global
        .offset:         16
        .size:           8
        .value_kind:     global_buffer
      - .actual_access:  read_only
        .address_space:  global
        .offset:         24
        .size:           8
        .value_kind:     global_buffer
      - .actual_access:  read_only
        .address_space:  global
        .offset:         32
        .size:           8
        .value_kind:     global_buffer
      - .offset:         40
        .size:           4
        .value_kind:     by_value
      - .offset:         48
        .size:           8
        .value_kind:     by_value
      - .offset:         56
        .size:           8
        .value_kind:     by_value
      - .offset:         64
        .size:           8
        .value_kind:     by_value
      - .offset:         72
        .size:           8
        .value_kind:     by_value
      - .offset:         80
        .size:           4
        .value_kind:     by_value
      - .actual_access:  write_only
        .address_space:  global
        .offset:         88
        .size:           8
        .value_kind:     global_buffer
      - .actual_access:  read_only
        .address_space:  global
        .offset:         96
        .size:           8
        .value_kind:     global_buffer
      - .offset:         104
        .size:           4
        .value_kind:     by_value
      - .offset:         108
        .size:           4
        .value_kind:     by_value
      - .offset:         112
        .size:           4
        .value_kind:     by_value
      - .offset:         116
        .size:           4
        .value_kind:     by_value
      - .address_space:  global
        .offset:         120
        .size:           8
        .value_kind:     global_buffer
      - .offset:         128
        .size:           4
        .value_kind:     hidden_block_count_x
      - .offset:         132
        .size:           4
        .value_kind:     hidden_block_count_y
      - .offset:         136
        .size:           4
        .value_kind:     hidden_block_count_z
      - .offset:         140
        .size:           2
        .value_kind:     hidden_group_size_x
      - .offset:         142
        .size:           2
        .value_kind:     hidden_group_size_y
      - .offset:         144
        .size:           2
        .value_kind:     hidden_group_size_z
      - .offset:         146
        .size:           2
        .value_kind:     hidden_remainder_x
      - .offset:         148
        .size:           2
        .value_kind:     hidden_remainder_y
      - .offset:         150
        .size:           2
        .value_kind:     hidden_remainder_z
      - .offset:         168
        .size:           8
        .value_kind:     hidden_global_offset_x
      - .offset:         176
        .size:           8
        .value_kind:     hidden_global_offset_y
      - .offset:         184
        .size:           8
        .value_kind:     hidden_global_offset_z
      - .offset:         192
        .size:           2
        .value_kind:     hidden_grid_dims
    .group_segment_fixed_size: 4096
    .kernarg_segment_align: 8
    .kernarg_segment_size: 384
    .language:       OpenCL C
    .language_version:
      - 2
      - 0
    .max_flat_workgroup_size: 1024
    .name:           _ZN4vllm38concat_and_cache_mla_rope_fused_kernelIN3c108BFloat16ENS1_4HalfELb1EfhLNS_18Fp8KVCacheDataTypeE1EEEvPKlPT_S8_PKS7_PKT0_illlliPT3_S6_iiiiPKf
    .private_segment_fixed_size: 0
    .sgpr_count:     66
    .sgpr_spill_count: 0
    .symbol:         _ZN4vllm38concat_and_cache_mla_rope_fused_kernelIN3c108BFloat16ENS1_4HalfELb1EfhLNS_18Fp8KVCacheDataTypeE1EEEvPKlPT_S8_PKS7_PKT0_illlliPT3_S6_iiiiPKf.kd
    .uniform_work_group_size: 1
    .uses_dynamic_stack: false
    .vgpr_count:     27
    .vgpr_spill_count: 0
    .wavefront_size: 64
  - .agpr_count:     0
    .args:
      - .actual_access:  read_only
        .address_space:  global
        .offset:         0
        .size:           8
        .value_kind:     global_buffer
      - .address_space:  global
        .offset:         8
        .size:           8
        .value_kind:     global_buffer
      - .address_space:  global
        .offset:         16
        .size:           8
        .value_kind:     global_buffer
      - .actual_access:  read_only
        .address_space:  global
        .offset:         24
        .size:           8
        .value_kind:     global_buffer
      - .actual_access:  read_only
        .address_space:  global
        .offset:         32
        .size:           8
        .value_kind:     global_buffer
      - .offset:         40
        .size:           4
        .value_kind:     by_value
      - .offset:         48
        .size:           8
        .value_kind:     by_value
      - .offset:         56
        .size:           8
        .value_kind:     by_value
      - .offset:         64
        .size:           8
        .value_kind:     by_value
      - .offset:         72
        .size:           8
        .value_kind:     by_value
      - .offset:         80
        .size:           4
        .value_kind:     by_value
      - .actual_access:  write_only
        .address_space:  global
        .offset:         88
        .size:           8
        .value_kind:     global_buffer
      - .actual_access:  read_only
        .address_space:  global
        .offset:         96
        .size:           8
        .value_kind:     global_buffer
      - .offset:         104
        .size:           4
        .value_kind:     by_value
      - .offset:         108
        .size:           4
        .value_kind:     by_value
      - .offset:         112
        .size:           4
        .value_kind:     by_value
      - .offset:         116
        .size:           4
        .value_kind:     by_value
      - .address_space:  global
        .offset:         120
        .size:           8
        .value_kind:     global_buffer
      - .offset:         128
        .size:           4
        .value_kind:     hidden_block_count_x
      - .offset:         132
        .size:           4
        .value_kind:     hidden_block_count_y
      - .offset:         136
        .size:           4
        .value_kind:     hidden_block_count_z
      - .offset:         140
        .size:           2
        .value_kind:     hidden_group_size_x
      - .offset:         142
        .size:           2
        .value_kind:     hidden_group_size_y
      - .offset:         144
        .size:           2
        .value_kind:     hidden_group_size_z
      - .offset:         146
        .size:           2
        .value_kind:     hidden_remainder_x
      - .offset:         148
        .size:           2
        .value_kind:     hidden_remainder_y
      - .offset:         150
        .size:           2
        .value_kind:     hidden_remainder_z
      - .offset:         168
        .size:           8
        .value_kind:     hidden_global_offset_x
      - .offset:         176
        .size:           8
        .value_kind:     hidden_global_offset_y
      - .offset:         184
        .size:           8
        .value_kind:     hidden_global_offset_z
      - .offset:         192
        .size:           2
        .value_kind:     hidden_grid_dims
    .group_segment_fixed_size: 4096
    .kernarg_segment_align: 8
    .kernarg_segment_size: 384
    .language:       OpenCL C
    .language_version:
      - 2
      - 0
    .max_flat_workgroup_size: 1024
    .name:           _ZN4vllm38concat_and_cache_mla_rope_fused_kernelIN3c108BFloat16ENS1_4HalfELb0EfhLNS_18Fp8KVCacheDataTypeE1EEEvPKlPT_S8_PKS7_PKT0_illlliPT3_S6_iiiiPKf
    .private_segment_fixed_size: 0
    .sgpr_count:     60
    .sgpr_spill_count: 0
    .symbol:         _ZN4vllm38concat_and_cache_mla_rope_fused_kernelIN3c108BFloat16ENS1_4HalfELb0EfhLNS_18Fp8KVCacheDataTypeE1EEEvPKlPT_S8_PKS7_PKT0_illlliPT3_S6_iiiiPKf.kd
    .uniform_work_group_size: 1
    .uses_dynamic_stack: false
    .vgpr_count:     30
    .vgpr_spill_count: 0
    .wavefront_size: 64
  - .agpr_count:     0
    .args:
      - .actual_access:  read_only
        .address_space:  global
        .offset:         0
        .size:           8
        .value_kind:     global_buffer
      - .address_space:  global
        .offset:         8
        .size:           8
        .value_kind:     global_buffer
      - .address_space:  global
        .offset:         16
        .size:           8
        .value_kind:     global_buffer
      - .actual_access:  read_only
        .address_space:  global
        .offset:         24
        .size:           8
        .value_kind:     global_buffer
      - .actual_access:  read_only
        .address_space:  global
        .offset:         32
        .size:           8
        .value_kind:     global_buffer
      - .offset:         40
        .size:           4
        .value_kind:     by_value
      - .offset:         48
        .size:           8
        .value_kind:     by_value
      - .offset:         56
        .size:           8
        .value_kind:     by_value
      - .offset:         64
        .size:           8
        .value_kind:     by_value
      - .offset:         72
        .size:           8
        .value_kind:     by_value
      - .offset:         80
        .size:           4
        .value_kind:     by_value
      - .actual_access:  write_only
        .address_space:  global
        .offset:         88
        .size:           8
        .value_kind:     global_buffer
      - .actual_access:  read_only
        .address_space:  global
        .offset:         96
        .size:           8
        .value_kind:     global_buffer
      - .offset:         104
        .size:           4
        .value_kind:     by_value
      - .offset:         108
        .size:           4
        .value_kind:     by_value
      - .offset:         112
        .size:           4
        .value_kind:     by_value
      - .offset:         116
        .size:           4
        .value_kind:     by_value
      - .address_space:  global
        .offset:         120
        .size:           8
        .value_kind:     global_buffer
      - .offset:         128
        .size:           4
        .value_kind:     hidden_block_count_x
      - .offset:         132
        .size:           4
        .value_kind:     hidden_block_count_y
      - .offset:         136
        .size:           4
        .value_kind:     hidden_block_count_z
      - .offset:         140
        .size:           2
        .value_kind:     hidden_group_size_x
      - .offset:         142
        .size:           2
        .value_kind:     hidden_group_size_y
      - .offset:         144
        .size:           2
        .value_kind:     hidden_group_size_z
      - .offset:         146
        .size:           2
        .value_kind:     hidden_remainder_x
      - .offset:         148
        .size:           2
        .value_kind:     hidden_remainder_y
      - .offset:         150
        .size:           2
        .value_kind:     hidden_remainder_z
      - .offset:         168
        .size:           8
        .value_kind:     hidden_global_offset_x
      - .offset:         176
        .size:           8
        .value_kind:     hidden_global_offset_y
      - .offset:         184
        .size:           8
        .value_kind:     hidden_global_offset_z
      - .offset:         192
        .size:           2
        .value_kind:     hidden_grid_dims
    .group_segment_fixed_size: 4096
    .kernarg_segment_align: 8
    .kernarg_segment_size: 384
    .language:       OpenCL C
    .language_version:
      - 2
      - 0
    .max_flat_workgroup_size: 1024
    .name:           _ZN4vllm38concat_and_cache_mla_rope_fused_kernelIN3c108BFloat16ES2_Lb1EfhLNS_18Fp8KVCacheDataTypeE1EEEvPKlPT_S7_PKS6_PKT0_illlliPT3_S5_iiiiPKf
    .private_segment_fixed_size: 0
    .sgpr_count:     66
    .sgpr_spill_count: 0
    .symbol:         _ZN4vllm38concat_and_cache_mla_rope_fused_kernelIN3c108BFloat16ES2_Lb1EfhLNS_18Fp8KVCacheDataTypeE1EEEvPKlPT_S7_PKS6_PKT0_illlliPT3_S5_iiiiPKf.kd
    .uniform_work_group_size: 1
    .uses_dynamic_stack: false
    .vgpr_count:     26
    .vgpr_spill_count: 0
    .wavefront_size: 64
  - .agpr_count:     0
    .args:
      - .actual_access:  read_only
        .address_space:  global
        .offset:         0
        .size:           8
        .value_kind:     global_buffer
      - .address_space:  global
        .offset:         8
        .size:           8
        .value_kind:     global_buffer
      - .address_space:  global
        .offset:         16
        .size:           8
        .value_kind:     global_buffer
      - .actual_access:  read_only
        .address_space:  global
        .offset:         24
        .size:           8
        .value_kind:     global_buffer
      - .actual_access:  read_only
        .address_space:  global
        .offset:         32
        .size:           8
        .value_kind:     global_buffer
      - .offset:         40
        .size:           4
        .value_kind:     by_value
      - .offset:         48
        .size:           8
        .value_kind:     by_value
      - .offset:         56
        .size:           8
        .value_kind:     by_value
      - .offset:         64
        .size:           8
        .value_kind:     by_value
      - .offset:         72
        .size:           8
        .value_kind:     by_value
      - .offset:         80
        .size:           4
        .value_kind:     by_value
      - .actual_access:  write_only
        .address_space:  global
        .offset:         88
        .size:           8
        .value_kind:     global_buffer
      - .actual_access:  read_only
        .address_space:  global
        .offset:         96
        .size:           8
        .value_kind:     global_buffer
      - .offset:         104
        .size:           4
        .value_kind:     by_value
      - .offset:         108
        .size:           4
        .value_kind:     by_value
      - .offset:         112
        .size:           4
        .value_kind:     by_value
      - .offset:         116
        .size:           4
        .value_kind:     by_value
      - .address_space:  global
        .offset:         120
        .size:           8
        .value_kind:     global_buffer
      - .offset:         128
        .size:           4
        .value_kind:     hidden_block_count_x
      - .offset:         132
        .size:           4
        .value_kind:     hidden_block_count_y
      - .offset:         136
        .size:           4
        .value_kind:     hidden_block_count_z
      - .offset:         140
        .size:           2
        .value_kind:     hidden_group_size_x
      - .offset:         142
        .size:           2
        .value_kind:     hidden_group_size_y
      - .offset:         144
        .size:           2
        .value_kind:     hidden_group_size_z
      - .offset:         146
        .size:           2
        .value_kind:     hidden_remainder_x
      - .offset:         148
        .size:           2
        .value_kind:     hidden_remainder_y
      - .offset:         150
        .size:           2
        .value_kind:     hidden_remainder_z
      - .offset:         168
        .size:           8
        .value_kind:     hidden_global_offset_x
      - .offset:         176
        .size:           8
        .value_kind:     hidden_global_offset_y
      - .offset:         184
        .size:           8
        .value_kind:     hidden_global_offset_z
      - .offset:         192
        .size:           2
        .value_kind:     hidden_grid_dims
    .group_segment_fixed_size: 4096
    .kernarg_segment_align: 8
    .kernarg_segment_size: 384
    .language:       OpenCL C
    .language_version:
      - 2
      - 0
    .max_flat_workgroup_size: 1024
    .name:           _ZN4vllm38concat_and_cache_mla_rope_fused_kernelIN3c108BFloat16ES2_Lb0EfhLNS_18Fp8KVCacheDataTypeE1EEEvPKlPT_S7_PKS6_PKT0_illlliPT3_S5_iiiiPKf
    .private_segment_fixed_size: 0
    .sgpr_count:     60
    .sgpr_spill_count: 0
    .symbol:         _ZN4vllm38concat_and_cache_mla_rope_fused_kernelIN3c108BFloat16ES2_Lb0EfhLNS_18Fp8KVCacheDataTypeE1EEEvPKlPT_S7_PKS6_PKT0_illlliPT3_S5_iiiiPKf.kd
    .uniform_work_group_size: 1
    .uses_dynamic_stack: false
    .vgpr_count:     28
    .vgpr_spill_count: 0
    .wavefront_size: 64
  - .agpr_count:     0
    .args:
      - .actual_access:  read_only
        .address_space:  global
        .offset:         0
        .size:           8
        .value_kind:     global_buffer
      - .address_space:  global
        .offset:         8
        .size:           8
        .value_kind:     global_buffer
      - .address_space:  global
        .offset:         16
        .size:           8
        .value_kind:     global_buffer
      - .actual_access:  read_only
        .address_space:  global
        .offset:         24
        .size:           8
        .value_kind:     global_buffer
      - .actual_access:  read_only
        .address_space:  global
        .offset:         32
        .size:           8
        .value_kind:     global_buffer
      - .offset:         40
        .size:           4
        .value_kind:     by_value
      - .offset:         48
        .size:           8
        .value_kind:     by_value
      - .offset:         56
        .size:           8
        .value_kind:     by_value
      - .offset:         64
        .size:           8
        .value_kind:     by_value
      - .offset:         72
        .size:           8
        .value_kind:     by_value
      - .offset:         80
        .size:           4
        .value_kind:     by_value
      - .actual_access:  write_only
        .address_space:  global
        .offset:         88
        .size:           8
        .value_kind:     global_buffer
      - .actual_access:  read_only
        .address_space:  global
        .offset:         96
        .size:           8
        .value_kind:     global_buffer
      - .offset:         104
        .size:           4
        .value_kind:     by_value
      - .offset:         108
        .size:           4
        .value_kind:     by_value
      - .offset:         112
        .size:           4
        .value_kind:     by_value
      - .offset:         116
        .size:           4
        .value_kind:     by_value
      - .address_space:  global
        .offset:         120
        .size:           8
        .value_kind:     global_buffer
      - .offset:         128
        .size:           4
        .value_kind:     hidden_block_count_x
      - .offset:         132
        .size:           4
        .value_kind:     hidden_block_count_y
      - .offset:         136
        .size:           4
        .value_kind:     hidden_block_count_z
      - .offset:         140
        .size:           2
        .value_kind:     hidden_group_size_x
      - .offset:         142
        .size:           2
        .value_kind:     hidden_group_size_y
      - .offset:         144
        .size:           2
        .value_kind:     hidden_group_size_z
      - .offset:         146
        .size:           2
        .value_kind:     hidden_remainder_x
      - .offset:         148
        .size:           2
        .value_kind:     hidden_remainder_y
      - .offset:         150
        .size:           2
        .value_kind:     hidden_remainder_z
      - .offset:         168
        .size:           8
        .value_kind:     hidden_global_offset_x
      - .offset:         176
        .size:           8
        .value_kind:     hidden_global_offset_y
      - .offset:         184
        .size:           8
        .value_kind:     hidden_global_offset_z
      - .offset:         192
        .size:           2
        .value_kind:     hidden_grid_dims
    .group_segment_fixed_size: 0
    .kernarg_segment_align: 8
    .kernarg_segment_size: 384
    .language:       OpenCL C
    .language_version:
      - 2
      - 0
    .max_flat_workgroup_size: 1024
    .name:           _ZN4vllm38concat_and_cache_mla_rope_fused_kernelIffLb1EthLNS_18Fp8KVCacheDataTypeE1EEEvPKlPT_S5_PKS4_PKT0_illlliPT3_S3_iiiiPKf
    .private_segment_fixed_size: 0
    .sgpr_count:     64
    .sgpr_spill_count: 0
    .symbol:         _ZN4vllm38concat_and_cache_mla_rope_fused_kernelIffLb1EthLNS_18Fp8KVCacheDataTypeE1EEEvPKlPT_S5_PKS4_PKT0_illlliPT3_S3_iiiiPKf.kd
    .uniform_work_group_size: 1
    .uses_dynamic_stack: false
    .vgpr_count:     23
    .vgpr_spill_count: 0
    .wavefront_size: 64
  - .agpr_count:     0
    .args:
      - .actual_access:  read_only
        .address_space:  global
        .offset:         0
        .size:           8
        .value_kind:     global_buffer
      - .address_space:  global
        .offset:         8
        .size:           8
        .value_kind:     global_buffer
      - .address_space:  global
        .offset:         16
        .size:           8
        .value_kind:     global_buffer
      - .actual_access:  read_only
        .address_space:  global
        .offset:         24
        .size:           8
        .value_kind:     global_buffer
      - .actual_access:  read_only
        .address_space:  global
        .offset:         32
        .size:           8
        .value_kind:     global_buffer
      - .offset:         40
        .size:           4
        .value_kind:     by_value
      - .offset:         48
        .size:           8
        .value_kind:     by_value
      - .offset:         56
        .size:           8
        .value_kind:     by_value
      - .offset:         64
        .size:           8
        .value_kind:     by_value
      - .offset:         72
        .size:           8
        .value_kind:     by_value
      - .offset:         80
        .size:           4
        .value_kind:     by_value
      - .actual_access:  write_only
        .address_space:  global
        .offset:         88
        .size:           8
        .value_kind:     global_buffer
      - .actual_access:  read_only
        .address_space:  global
        .offset:         96
        .size:           8
        .value_kind:     global_buffer
      - .offset:         104
        .size:           4
        .value_kind:     by_value
      - .offset:         108
        .size:           4
        .value_kind:     by_value
      - .offset:         112
        .size:           4
        .value_kind:     by_value
      - .offset:         116
        .size:           4
        .value_kind:     by_value
      - .address_space:  global
        .offset:         120
        .size:           8
        .value_kind:     global_buffer
      - .offset:         128
        .size:           4
        .value_kind:     hidden_block_count_x
      - .offset:         132
        .size:           4
        .value_kind:     hidden_block_count_y
      - .offset:         136
        .size:           4
        .value_kind:     hidden_block_count_z
      - .offset:         140
        .size:           2
        .value_kind:     hidden_group_size_x
      - .offset:         142
        .size:           2
        .value_kind:     hidden_group_size_y
      - .offset:         144
        .size:           2
        .value_kind:     hidden_group_size_z
      - .offset:         146
        .size:           2
        .value_kind:     hidden_remainder_x
      - .offset:         148
        .size:           2
        .value_kind:     hidden_remainder_y
      - .offset:         150
        .size:           2
        .value_kind:     hidden_remainder_z
      - .offset:         168
        .size:           8
        .value_kind:     hidden_global_offset_x
      - .offset:         176
        .size:           8
        .value_kind:     hidden_global_offset_y
      - .offset:         184
        .size:           8
        .value_kind:     hidden_global_offset_z
      - .offset:         192
        .size:           2
        .value_kind:     hidden_grid_dims
    .group_segment_fixed_size: 0
    .kernarg_segment_align: 8
    .kernarg_segment_size: 384
    .language:       OpenCL C
    .language_version:
      - 2
      - 0
    .max_flat_workgroup_size: 1024
    .name:           _ZN4vllm38concat_and_cache_mla_rope_fused_kernelIffLb0EthLNS_18Fp8KVCacheDataTypeE1EEEvPKlPT_S5_PKS4_PKT0_illlliPT3_S3_iiiiPKf
    .private_segment_fixed_size: 0
    .sgpr_count:     60
    .sgpr_spill_count: 0
    .symbol:         _ZN4vllm38concat_and_cache_mla_rope_fused_kernelIffLb0EthLNS_18Fp8KVCacheDataTypeE1EEEvPKlPT_S5_PKS4_PKT0_illlliPT3_S3_iiiiPKf.kd
    .uniform_work_group_size: 1
    .uses_dynamic_stack: false
    .vgpr_count:     24
    .vgpr_spill_count: 0
    .wavefront_size: 64
  - .agpr_count:     0
    .args:
      - .actual_access:  read_only
        .address_space:  global
        .offset:         0
        .size:           8
        .value_kind:     global_buffer
      - .address_space:  global
        .offset:         8
        .size:           8
        .value_kind:     global_buffer
      - .address_space:  global
        .offset:         16
        .size:           8
        .value_kind:     global_buffer
      - .actual_access:  read_only
        .address_space:  global
        .offset:         24
        .size:           8
        .value_kind:     global_buffer
      - .actual_access:  read_only
        .address_space:  global
        .offset:         32
        .size:           8
        .value_kind:     global_buffer
      - .offset:         40
        .size:           4
        .value_kind:     by_value
      - .offset:         48
        .size:           8
        .value_kind:     by_value
      - .offset:         56
        .size:           8
        .value_kind:     by_value
      - .offset:         64
        .size:           8
        .value_kind:     by_value
      - .offset:         72
        .size:           8
        .value_kind:     by_value
      - .offset:         80
        .size:           4
        .value_kind:     by_value
      - .actual_access:  write_only
        .address_space:  global
        .offset:         88
        .size:           8
        .value_kind:     global_buffer
      - .actual_access:  read_only
        .address_space:  global
        .offset:         96
        .size:           8
        .value_kind:     global_buffer
      - .offset:         104
        .size:           4
        .value_kind:     by_value
      - .offset:         108
        .size:           4
        .value_kind:     by_value
      - .offset:         112
        .size:           4
        .value_kind:     by_value
      - .offset:         116
        .size:           4
        .value_kind:     by_value
      - .address_space:  global
        .offset:         120
        .size:           8
        .value_kind:     global_buffer
      - .offset:         128
        .size:           4
        .value_kind:     hidden_block_count_x
      - .offset:         132
        .size:           4
        .value_kind:     hidden_block_count_y
      - .offset:         136
        .size:           4
        .value_kind:     hidden_block_count_z
      - .offset:         140
        .size:           2
        .value_kind:     hidden_group_size_x
      - .offset:         142
        .size:           2
        .value_kind:     hidden_group_size_y
      - .offset:         144
        .size:           2
        .value_kind:     hidden_group_size_z
      - .offset:         146
        .size:           2
        .value_kind:     hidden_remainder_x
      - .offset:         148
        .size:           2
        .value_kind:     hidden_remainder_y
      - .offset:         150
        .size:           2
        .value_kind:     hidden_remainder_z
      - .offset:         168
        .size:           8
        .value_kind:     hidden_global_offset_x
      - .offset:         176
        .size:           8
        .value_kind:     hidden_global_offset_y
      - .offset:         184
        .size:           8
        .value_kind:     hidden_global_offset_z
      - .offset:         192
        .size:           2
        .value_kind:     hidden_grid_dims
    .group_segment_fixed_size: 0
    .kernarg_segment_align: 8
    .kernarg_segment_size: 384
    .language:       OpenCL C
    .language_version:
      - 2
      - 0
    .max_flat_workgroup_size: 1024
    .name:           _ZN4vllm38concat_and_cache_mla_rope_fused_kernelIfN3c104HalfELb1EthLNS_18Fp8KVCacheDataTypeE1EEEvPKlPT_S7_PKS6_PKT0_illlliPT3_S5_iiiiPKf
    .private_segment_fixed_size: 0
    .sgpr_count:     66
    .sgpr_spill_count: 0
    .symbol:         _ZN4vllm38concat_and_cache_mla_rope_fused_kernelIfN3c104HalfELb1EthLNS_18Fp8KVCacheDataTypeE1EEEvPKlPT_S7_PKS6_PKT0_illlliPT3_S5_iiiiPKf.kd
    .uniform_work_group_size: 1
    .uses_dynamic_stack: false
    .vgpr_count:     23
    .vgpr_spill_count: 0
    .wavefront_size: 64
  - .agpr_count:     0
    .args:
      - .actual_access:  read_only
        .address_space:  global
        .offset:         0
        .size:           8
        .value_kind:     global_buffer
      - .address_space:  global
        .offset:         8
        .size:           8
        .value_kind:     global_buffer
      - .address_space:  global
        .offset:         16
        .size:           8
        .value_kind:     global_buffer
      - .actual_access:  read_only
        .address_space:  global
        .offset:         24
        .size:           8
        .value_kind:     global_buffer
      - .actual_access:  read_only
        .address_space:  global
        .offset:         32
        .size:           8
        .value_kind:     global_buffer
      - .offset:         40
        .size:           4
        .value_kind:     by_value
      - .offset:         48
        .size:           8
        .value_kind:     by_value
      - .offset:         56
        .size:           8
        .value_kind:     by_value
      - .offset:         64
        .size:           8
        .value_kind:     by_value
      - .offset:         72
        .size:           8
        .value_kind:     by_value
      - .offset:         80
        .size:           4
        .value_kind:     by_value
      - .actual_access:  write_only
        .address_space:  global
        .offset:         88
        .size:           8
        .value_kind:     global_buffer
      - .actual_access:  read_only
        .address_space:  global
        .offset:         96
        .size:           8
        .value_kind:     global_buffer
      - .offset:         104
        .size:           4
        .value_kind:     by_value
      - .offset:         108
        .size:           4
        .value_kind:     by_value
      - .offset:         112
        .size:           4
        .value_kind:     by_value
      - .offset:         116
        .size:           4
        .value_kind:     by_value
      - .address_space:  global
        .offset:         120
        .size:           8
        .value_kind:     global_buffer
      - .offset:         128
        .size:           4
        .value_kind:     hidden_block_count_x
      - .offset:         132
        .size:           4
        .value_kind:     hidden_block_count_y
      - .offset:         136
        .size:           4
        .value_kind:     hidden_block_count_z
      - .offset:         140
        .size:           2
        .value_kind:     hidden_group_size_x
      - .offset:         142
        .size:           2
        .value_kind:     hidden_group_size_y
      - .offset:         144
        .size:           2
        .value_kind:     hidden_group_size_z
      - .offset:         146
        .size:           2
        .value_kind:     hidden_remainder_x
      - .offset:         148
        .size:           2
        .value_kind:     hidden_remainder_y
      - .offset:         150
        .size:           2
        .value_kind:     hidden_remainder_z
      - .offset:         168
        .size:           8
        .value_kind:     hidden_global_offset_x
      - .offset:         176
        .size:           8
        .value_kind:     hidden_global_offset_y
      - .offset:         184
        .size:           8
        .value_kind:     hidden_global_offset_z
      - .offset:         192
        .size:           2
        .value_kind:     hidden_grid_dims
    .group_segment_fixed_size: 0
    .kernarg_segment_align: 8
    .kernarg_segment_size: 384
    .language:       OpenCL C
    .language_version:
      - 2
      - 0
    .max_flat_workgroup_size: 1024
    .name:           _ZN4vllm38concat_and_cache_mla_rope_fused_kernelIfN3c104HalfELb0EthLNS_18Fp8KVCacheDataTypeE1EEEvPKlPT_S7_PKS6_PKT0_illlliPT3_S5_iiiiPKf
    .private_segment_fixed_size: 0
    .sgpr_count:     58
    .sgpr_spill_count: 0
    .symbol:         _ZN4vllm38concat_and_cache_mla_rope_fused_kernelIfN3c104HalfELb0EthLNS_18Fp8KVCacheDataTypeE1EEEvPKlPT_S7_PKS6_PKT0_illlliPT3_S5_iiiiPKf.kd
    .uniform_work_group_size: 1
    .uses_dynamic_stack: false
    .vgpr_count:     26
    .vgpr_spill_count: 0
    .wavefront_size: 64
  - .agpr_count:     0
    .args:
      - .actual_access:  read_only
        .address_space:  global
        .offset:         0
        .size:           8
        .value_kind:     global_buffer
      - .address_space:  global
        .offset:         8
        .size:           8
        .value_kind:     global_buffer
      - .address_space:  global
        .offset:         16
        .size:           8
        .value_kind:     global_buffer
      - .actual_access:  read_only
        .address_space:  global
        .offset:         24
        .size:           8
        .value_kind:     global_buffer
      - .actual_access:  read_only
        .address_space:  global
        .offset:         32
        .size:           8
        .value_kind:     global_buffer
      - .offset:         40
        .size:           4
        .value_kind:     by_value
      - .offset:         48
        .size:           8
        .value_kind:     by_value
      - .offset:         56
        .size:           8
        .value_kind:     by_value
      - .offset:         64
        .size:           8
        .value_kind:     by_value
      - .offset:         72
        .size:           8
        .value_kind:     by_value
      - .offset:         80
        .size:           4
        .value_kind:     by_value
      - .actual_access:  write_only
        .address_space:  global
        .offset:         88
        .size:           8
        .value_kind:     global_buffer
      - .actual_access:  read_only
        .address_space:  global
        .offset:         96
        .size:           8
        .value_kind:     global_buffer
      - .offset:         104
        .size:           4
        .value_kind:     by_value
      - .offset:         108
        .size:           4
        .value_kind:     by_value
      - .offset:         112
        .size:           4
        .value_kind:     by_value
      - .offset:         116
        .size:           4
        .value_kind:     by_value
      - .address_space:  global
        .offset:         120
        .size:           8
        .value_kind:     global_buffer
      - .offset:         128
        .size:           4
        .value_kind:     hidden_block_count_x
      - .offset:         132
        .size:           4
        .value_kind:     hidden_block_count_y
      - .offset:         136
        .size:           4
        .value_kind:     hidden_block_count_z
      - .offset:         140
        .size:           2
        .value_kind:     hidden_group_size_x
      - .offset:         142
        .size:           2
        .value_kind:     hidden_group_size_y
      - .offset:         144
        .size:           2
        .value_kind:     hidden_group_size_z
      - .offset:         146
        .size:           2
        .value_kind:     hidden_remainder_x
      - .offset:         148
        .size:           2
        .value_kind:     hidden_remainder_y
      - .offset:         150
        .size:           2
        .value_kind:     hidden_remainder_z
      - .offset:         168
        .size:           8
        .value_kind:     hidden_global_offset_x
      - .offset:         176
        .size:           8
        .value_kind:     hidden_global_offset_y
      - .offset:         184
        .size:           8
        .value_kind:     hidden_global_offset_z
      - .offset:         192
        .size:           2
        .value_kind:     hidden_grid_dims
    .group_segment_fixed_size: 0
    .kernarg_segment_align: 8
    .kernarg_segment_size: 384
    .language:       OpenCL C
    .language_version:
      - 2
      - 0
    .max_flat_workgroup_size: 1024
    .name:           _ZN4vllm38concat_and_cache_mla_rope_fused_kernelIfN3c108BFloat16ELb1EthLNS_18Fp8KVCacheDataTypeE1EEEvPKlPT_S7_PKS6_PKT0_illlliPT3_S5_iiiiPKf
    .private_segment_fixed_size: 0
    .sgpr_count:     66
    .sgpr_spill_count: 0
    .symbol:         _ZN4vllm38concat_and_cache_mla_rope_fused_kernelIfN3c108BFloat16ELb1EthLNS_18Fp8KVCacheDataTypeE1EEEvPKlPT_S7_PKS6_PKT0_illlliPT3_S5_iiiiPKf.kd
    .uniform_work_group_size: 1
    .uses_dynamic_stack: false
    .vgpr_count:     23
    .vgpr_spill_count: 0
    .wavefront_size: 64
  - .agpr_count:     0
    .args:
      - .actual_access:  read_only
        .address_space:  global
        .offset:         0
        .size:           8
        .value_kind:     global_buffer
      - .address_space:  global
        .offset:         8
        .size:           8
        .value_kind:     global_buffer
      - .address_space:  global
        .offset:         16
        .size:           8
        .value_kind:     global_buffer
      - .actual_access:  read_only
        .address_space:  global
        .offset:         24
        .size:           8
        .value_kind:     global_buffer
      - .actual_access:  read_only
        .address_space:  global
        .offset:         32
        .size:           8
        .value_kind:     global_buffer
      - .offset:         40
        .size:           4
        .value_kind:     by_value
      - .offset:         48
        .size:           8
        .value_kind:     by_value
      - .offset:         56
        .size:           8
        .value_kind:     by_value
      - .offset:         64
        .size:           8
        .value_kind:     by_value
      - .offset:         72
        .size:           8
        .value_kind:     by_value
      - .offset:         80
        .size:           4
        .value_kind:     by_value
      - .actual_access:  write_only
        .address_space:  global
        .offset:         88
        .size:           8
        .value_kind:     global_buffer
      - .actual_access:  read_only
        .address_space:  global
        .offset:         96
        .size:           8
        .value_kind:     global_buffer
      - .offset:         104
        .size:           4
        .value_kind:     by_value
      - .offset:         108
        .size:           4
        .value_kind:     by_value
      - .offset:         112
        .size:           4
        .value_kind:     by_value
      - .offset:         116
        .size:           4
        .value_kind:     by_value
      - .address_space:  global
        .offset:         120
        .size:           8
        .value_kind:     global_buffer
      - .offset:         128
        .size:           4
        .value_kind:     hidden_block_count_x
      - .offset:         132
        .size:           4
        .value_kind:     hidden_block_count_y
      - .offset:         136
        .size:           4
        .value_kind:     hidden_block_count_z
      - .offset:         140
        .size:           2
        .value_kind:     hidden_group_size_x
      - .offset:         142
        .size:           2
        .value_kind:     hidden_group_size_y
      - .offset:         144
        .size:           2
        .value_kind:     hidden_group_size_z
      - .offset:         146
        .size:           2
        .value_kind:     hidden_remainder_x
      - .offset:         148
        .size:           2
        .value_kind:     hidden_remainder_y
      - .offset:         150
        .size:           2
        .value_kind:     hidden_remainder_z
      - .offset:         168
        .size:           8
        .value_kind:     hidden_global_offset_x
      - .offset:         176
        .size:           8
        .value_kind:     hidden_global_offset_y
      - .offset:         184
        .size:           8
        .value_kind:     hidden_global_offset_z
      - .offset:         192
        .size:           2
        .value_kind:     hidden_grid_dims
    .group_segment_fixed_size: 0
    .kernarg_segment_align: 8
    .kernarg_segment_size: 384
    .language:       OpenCL C
    .language_version:
      - 2
      - 0
    .max_flat_workgroup_size: 1024
    .name:           _ZN4vllm38concat_and_cache_mla_rope_fused_kernelIfN3c108BFloat16ELb0EthLNS_18Fp8KVCacheDataTypeE1EEEvPKlPT_S7_PKS6_PKT0_illlliPT3_S5_iiiiPKf
    .private_segment_fixed_size: 0
    .sgpr_count:     58
    .sgpr_spill_count: 0
    .symbol:         _ZN4vllm38concat_and_cache_mla_rope_fused_kernelIfN3c108BFloat16ELb0EthLNS_18Fp8KVCacheDataTypeE1EEEvPKlPT_S7_PKS6_PKT0_illlliPT3_S5_iiiiPKf.kd
    .uniform_work_group_size: 1
    .uses_dynamic_stack: false
    .vgpr_count:     24
    .vgpr_spill_count: 0
    .wavefront_size: 64
  - .agpr_count:     0
    .args:
      - .actual_access:  read_only
        .address_space:  global
        .offset:         0
        .size:           8
        .value_kind:     global_buffer
      - .address_space:  global
        .offset:         8
        .size:           8
        .value_kind:     global_buffer
      - .address_space:  global
        .offset:         16
        .size:           8
        .value_kind:     global_buffer
      - .actual_access:  read_only
        .address_space:  global
        .offset:         24
        .size:           8
        .value_kind:     global_buffer
      - .actual_access:  read_only
        .address_space:  global
        .offset:         32
        .size:           8
        .value_kind:     global_buffer
      - .offset:         40
        .size:           4
        .value_kind:     by_value
      - .offset:         48
        .size:           8
        .value_kind:     by_value
      - .offset:         56
        .size:           8
        .value_kind:     by_value
      - .offset:         64
        .size:           8
        .value_kind:     by_value
      - .offset:         72
        .size:           8
        .value_kind:     by_value
      - .offset:         80
        .size:           4
        .value_kind:     by_value
      - .actual_access:  write_only
        .address_space:  global
        .offset:         88
        .size:           8
        .value_kind:     global_buffer
      - .actual_access:  read_only
        .address_space:  global
        .offset:         96
        .size:           8
        .value_kind:     global_buffer
      - .offset:         104
        .size:           4
        .value_kind:     by_value
      - .offset:         108
        .size:           4
        .value_kind:     by_value
      - .offset:         112
        .size:           4
        .value_kind:     by_value
      - .offset:         116
        .size:           4
        .value_kind:     by_value
      - .address_space:  global
        .offset:         120
        .size:           8
        .value_kind:     global_buffer
      - .offset:         128
        .size:           4
        .value_kind:     hidden_block_count_x
      - .offset:         132
        .size:           4
        .value_kind:     hidden_block_count_y
      - .offset:         136
        .size:           4
        .value_kind:     hidden_block_count_z
      - .offset:         140
        .size:           2
        .value_kind:     hidden_group_size_x
      - .offset:         142
        .size:           2
        .value_kind:     hidden_group_size_y
      - .offset:         144
        .size:           2
        .value_kind:     hidden_group_size_z
      - .offset:         146
        .size:           2
        .value_kind:     hidden_remainder_x
      - .offset:         148
        .size:           2
        .value_kind:     hidden_remainder_y
      - .offset:         150
        .size:           2
        .value_kind:     hidden_remainder_z
      - .offset:         168
        .size:           8
        .value_kind:     hidden_global_offset_x
      - .offset:         176
        .size:           8
        .value_kind:     hidden_global_offset_y
      - .offset:         184
        .size:           8
        .value_kind:     hidden_global_offset_z
      - .offset:         192
        .size:           2
        .value_kind:     hidden_grid_dims
    .group_segment_fixed_size: 0
    .kernarg_segment_align: 8
    .kernarg_segment_size: 384
    .language:       OpenCL C
    .language_version:
      - 2
      - 0
    .max_flat_workgroup_size: 1024
    .name:           _ZN4vllm38concat_and_cache_mla_rope_fused_kernelIN3c104HalfEfLb1EthLNS_18Fp8KVCacheDataTypeE1EEEvPKlPT_S7_PKS6_PKT0_illlliPT3_S5_iiiiPKf
    .private_segment_fixed_size: 0
    .sgpr_count:     66
    .sgpr_spill_count: 0
    .symbol:         _ZN4vllm38concat_and_cache_mla_rope_fused_kernelIN3c104HalfEfLb1EthLNS_18Fp8KVCacheDataTypeE1EEEvPKlPT_S7_PKS6_PKT0_illlliPT3_S5_iiiiPKf.kd
    .uniform_work_group_size: 1
    .uses_dynamic_stack: false
    .vgpr_count:     23
    .vgpr_spill_count: 0
    .wavefront_size: 64
  - .agpr_count:     0
    .args:
      - .actual_access:  read_only
        .address_space:  global
        .offset:         0
        .size:           8
        .value_kind:     global_buffer
      - .address_space:  global
        .offset:         8
        .size:           8
        .value_kind:     global_buffer
      - .address_space:  global
        .offset:         16
        .size:           8
        .value_kind:     global_buffer
      - .actual_access:  read_only
        .address_space:  global
        .offset:         24
        .size:           8
        .value_kind:     global_buffer
      - .actual_access:  read_only
        .address_space:  global
        .offset:         32
        .size:           8
        .value_kind:     global_buffer
      - .offset:         40
        .size:           4
        .value_kind:     by_value
      - .offset:         48
        .size:           8
        .value_kind:     by_value
      - .offset:         56
        .size:           8
        .value_kind:     by_value
      - .offset:         64
        .size:           8
        .value_kind:     by_value
      - .offset:         72
        .size:           8
        .value_kind:     by_value
      - .offset:         80
        .size:           4
        .value_kind:     by_value
      - .actual_access:  write_only
        .address_space:  global
        .offset:         88
        .size:           8
        .value_kind:     global_buffer
      - .actual_access:  read_only
        .address_space:  global
        .offset:         96
        .size:           8
        .value_kind:     global_buffer
      - .offset:         104
        .size:           4
        .value_kind:     by_value
      - .offset:         108
        .size:           4
        .value_kind:     by_value
      - .offset:         112
        .size:           4
        .value_kind:     by_value
      - .offset:         116
        .size:           4
        .value_kind:     by_value
      - .address_space:  global
        .offset:         120
        .size:           8
        .value_kind:     global_buffer
      - .offset:         128
        .size:           4
        .value_kind:     hidden_block_count_x
      - .offset:         132
        .size:           4
        .value_kind:     hidden_block_count_y
      - .offset:         136
        .size:           4
        .value_kind:     hidden_block_count_z
      - .offset:         140
        .size:           2
        .value_kind:     hidden_group_size_x
      - .offset:         142
        .size:           2
        .value_kind:     hidden_group_size_y
      - .offset:         144
        .size:           2
        .value_kind:     hidden_group_size_z
      - .offset:         146
        .size:           2
        .value_kind:     hidden_remainder_x
      - .offset:         148
        .size:           2
        .value_kind:     hidden_remainder_y
      - .offset:         150
        .size:           2
        .value_kind:     hidden_remainder_z
      - .offset:         168
        .size:           8
        .value_kind:     hidden_global_offset_x
      - .offset:         176
        .size:           8
        .value_kind:     hidden_global_offset_y
      - .offset:         184
        .size:           8
        .value_kind:     hidden_global_offset_z
      - .offset:         192
        .size:           2
        .value_kind:     hidden_grid_dims
    .group_segment_fixed_size: 0
    .kernarg_segment_align: 8
    .kernarg_segment_size: 384
    .language:       OpenCL C
    .language_version:
      - 2
      - 0
    .max_flat_workgroup_size: 1024
    .name:           _ZN4vllm38concat_and_cache_mla_rope_fused_kernelIN3c104HalfEfLb0EthLNS_18Fp8KVCacheDataTypeE1EEEvPKlPT_S7_PKS6_PKT0_illlliPT3_S5_iiiiPKf
    .private_segment_fixed_size: 0
    .sgpr_count:     58
    .sgpr_spill_count: 0
    .symbol:         _ZN4vllm38concat_and_cache_mla_rope_fused_kernelIN3c104HalfEfLb0EthLNS_18Fp8KVCacheDataTypeE1EEEvPKlPT_S7_PKS6_PKT0_illlliPT3_S5_iiiiPKf.kd
    .uniform_work_group_size: 1
    .uses_dynamic_stack: false
    .vgpr_count:     25
    .vgpr_spill_count: 0
    .wavefront_size: 64
  - .agpr_count:     0
    .args:
      - .actual_access:  read_only
        .address_space:  global
        .offset:         0
        .size:           8
        .value_kind:     global_buffer
      - .address_space:  global
        .offset:         8
        .size:           8
        .value_kind:     global_buffer
      - .address_space:  global
        .offset:         16
        .size:           8
        .value_kind:     global_buffer
      - .actual_access:  read_only
        .address_space:  global
        .offset:         24
        .size:           8
        .value_kind:     global_buffer
      - .actual_access:  read_only
        .address_space:  global
        .offset:         32
        .size:           8
        .value_kind:     global_buffer
      - .offset:         40
        .size:           4
        .value_kind:     by_value
      - .offset:         48
        .size:           8
        .value_kind:     by_value
      - .offset:         56
        .size:           8
        .value_kind:     by_value
      - .offset:         64
        .size:           8
        .value_kind:     by_value
      - .offset:         72
        .size:           8
        .value_kind:     by_value
      - .offset:         80
        .size:           4
        .value_kind:     by_value
      - .actual_access:  write_only
        .address_space:  global
        .offset:         88
        .size:           8
        .value_kind:     global_buffer
      - .actual_access:  read_only
        .address_space:  global
        .offset:         96
        .size:           8
        .value_kind:     global_buffer
      - .offset:         104
        .size:           4
        .value_kind:     by_value
      - .offset:         108
        .size:           4
        .value_kind:     by_value
      - .offset:         112
        .size:           4
        .value_kind:     by_value
      - .offset:         116
        .size:           4
        .value_kind:     by_value
      - .address_space:  global
        .offset:         120
        .size:           8
        .value_kind:     global_buffer
      - .offset:         128
        .size:           4
        .value_kind:     hidden_block_count_x
      - .offset:         132
        .size:           4
        .value_kind:     hidden_block_count_y
      - .offset:         136
        .size:           4
        .value_kind:     hidden_block_count_z
      - .offset:         140
        .size:           2
        .value_kind:     hidden_group_size_x
      - .offset:         142
        .size:           2
        .value_kind:     hidden_group_size_y
      - .offset:         144
        .size:           2
        .value_kind:     hidden_group_size_z
      - .offset:         146
        .size:           2
        .value_kind:     hidden_remainder_x
      - .offset:         148
        .size:           2
        .value_kind:     hidden_remainder_y
      - .offset:         150
        .size:           2
        .value_kind:     hidden_remainder_z
      - .offset:         168
        .size:           8
        .value_kind:     hidden_global_offset_x
      - .offset:         176
        .size:           8
        .value_kind:     hidden_global_offset_y
      - .offset:         184
        .size:           8
        .value_kind:     hidden_global_offset_z
      - .offset:         192
        .size:           2
        .value_kind:     hidden_grid_dims
    .group_segment_fixed_size: 0
    .kernarg_segment_align: 8
    .kernarg_segment_size: 384
    .language:       OpenCL C
    .language_version:
      - 2
      - 0
    .max_flat_workgroup_size: 1024
    .name:           _ZN4vllm38concat_and_cache_mla_rope_fused_kernelIN3c104HalfES2_Lb1EthLNS_18Fp8KVCacheDataTypeE1EEEvPKlPT_S7_PKS6_PKT0_illlliPT3_S5_iiiiPKf
    .private_segment_fixed_size: 0
    .sgpr_count:     64
    .sgpr_spill_count: 0
    .symbol:         _ZN4vllm38concat_and_cache_mla_rope_fused_kernelIN3c104HalfES2_Lb1EthLNS_18Fp8KVCacheDataTypeE1EEEvPKlPT_S7_PKS6_PKT0_illlliPT3_S5_iiiiPKf.kd
    .uniform_work_group_size: 1
    .uses_dynamic_stack: false
    .vgpr_count:     23
    .vgpr_spill_count: 0
    .wavefront_size: 64
  - .agpr_count:     0
    .args:
      - .actual_access:  read_only
        .address_space:  global
        .offset:         0
        .size:           8
        .value_kind:     global_buffer
      - .address_space:  global
        .offset:         8
        .size:           8
        .value_kind:     global_buffer
      - .address_space:  global
        .offset:         16
        .size:           8
        .value_kind:     global_buffer
      - .actual_access:  read_only
        .address_space:  global
        .offset:         24
        .size:           8
        .value_kind:     global_buffer
      - .actual_access:  read_only
        .address_space:  global
        .offset:         32
        .size:           8
        .value_kind:     global_buffer
      - .offset:         40
        .size:           4
        .value_kind:     by_value
      - .offset:         48
        .size:           8
        .value_kind:     by_value
      - .offset:         56
        .size:           8
        .value_kind:     by_value
      - .offset:         64
        .size:           8
        .value_kind:     by_value
      - .offset:         72
        .size:           8
        .value_kind:     by_value
      - .offset:         80
        .size:           4
        .value_kind:     by_value
      - .actual_access:  write_only
        .address_space:  global
        .offset:         88
        .size:           8
        .value_kind:     global_buffer
      - .actual_access:  read_only
        .address_space:  global
        .offset:         96
        .size:           8
        .value_kind:     global_buffer
      - .offset:         104
        .size:           4
        .value_kind:     by_value
      - .offset:         108
        .size:           4
        .value_kind:     by_value
      - .offset:         112
        .size:           4
        .value_kind:     by_value
      - .offset:         116
        .size:           4
        .value_kind:     by_value
      - .address_space:  global
        .offset:         120
        .size:           8
        .value_kind:     global_buffer
      - .offset:         128
        .size:           4
        .value_kind:     hidden_block_count_x
      - .offset:         132
        .size:           4
        .value_kind:     hidden_block_count_y
      - .offset:         136
        .size:           4
        .value_kind:     hidden_block_count_z
      - .offset:         140
        .size:           2
        .value_kind:     hidden_group_size_x
      - .offset:         142
        .size:           2
        .value_kind:     hidden_group_size_y
      - .offset:         144
        .size:           2
        .value_kind:     hidden_group_size_z
      - .offset:         146
        .size:           2
        .value_kind:     hidden_remainder_x
      - .offset:         148
        .size:           2
        .value_kind:     hidden_remainder_y
      - .offset:         150
        .size:           2
        .value_kind:     hidden_remainder_z
      - .offset:         168
        .size:           8
        .value_kind:     hidden_global_offset_x
      - .offset:         176
        .size:           8
        .value_kind:     hidden_global_offset_y
      - .offset:         184
        .size:           8
        .value_kind:     hidden_global_offset_z
      - .offset:         192
        .size:           2
        .value_kind:     hidden_grid_dims
    .group_segment_fixed_size: 0
    .kernarg_segment_align: 8
    .kernarg_segment_size: 384
    .language:       OpenCL C
    .language_version:
      - 2
      - 0
    .max_flat_workgroup_size: 1024
    .name:           _ZN4vllm38concat_and_cache_mla_rope_fused_kernelIN3c104HalfES2_Lb0EthLNS_18Fp8KVCacheDataTypeE1EEEvPKlPT_S7_PKS6_PKT0_illlliPT3_S5_iiiiPKf
    .private_segment_fixed_size: 0
    .sgpr_count:     58
    .sgpr_spill_count: 0
    .symbol:         _ZN4vllm38concat_and_cache_mla_rope_fused_kernelIN3c104HalfES2_Lb0EthLNS_18Fp8KVCacheDataTypeE1EEEvPKlPT_S7_PKS6_PKT0_illlliPT3_S5_iiiiPKf.kd
    .uniform_work_group_size: 1
    .uses_dynamic_stack: false
    .vgpr_count:     26
    .vgpr_spill_count: 0
    .wavefront_size: 64
  - .agpr_count:     0
    .args:
      - .actual_access:  read_only
        .address_space:  global
        .offset:         0
        .size:           8
        .value_kind:     global_buffer
      - .address_space:  global
        .offset:         8
        .size:           8
        .value_kind:     global_buffer
      - .address_space:  global
        .offset:         16
        .size:           8
        .value_kind:     global_buffer
      - .actual_access:  read_only
        .address_space:  global
        .offset:         24
        .size:           8
        .value_kind:     global_buffer
      - .actual_access:  read_only
        .address_space:  global
        .offset:         32
        .size:           8
        .value_kind:     global_buffer
      - .offset:         40
        .size:           4
        .value_kind:     by_value
      - .offset:         48
        .size:           8
        .value_kind:     by_value
      - .offset:         56
        .size:           8
        .value_kind:     by_value
      - .offset:         64
        .size:           8
        .value_kind:     by_value
      - .offset:         72
        .size:           8
        .value_kind:     by_value
      - .offset:         80
        .size:           4
        .value_kind:     by_value
      - .actual_access:  write_only
        .address_space:  global
        .offset:         88
        .size:           8
        .value_kind:     global_buffer
      - .actual_access:  read_only
        .address_space:  global
        .offset:         96
        .size:           8
        .value_kind:     global_buffer
      - .offset:         104
        .size:           4
        .value_kind:     by_value
      - .offset:         108
        .size:           4
        .value_kind:     by_value
      - .offset:         112
        .size:           4
        .value_kind:     by_value
      - .offset:         116
        .size:           4
        .value_kind:     by_value
      - .address_space:  global
        .offset:         120
        .size:           8
        .value_kind:     global_buffer
      - .offset:         128
        .size:           4
        .value_kind:     hidden_block_count_x
      - .offset:         132
        .size:           4
        .value_kind:     hidden_block_count_y
      - .offset:         136
        .size:           4
        .value_kind:     hidden_block_count_z
      - .offset:         140
        .size:           2
        .value_kind:     hidden_group_size_x
      - .offset:         142
        .size:           2
        .value_kind:     hidden_group_size_y
      - .offset:         144
        .size:           2
        .value_kind:     hidden_group_size_z
      - .offset:         146
        .size:           2
        .value_kind:     hidden_remainder_x
      - .offset:         148
        .size:           2
        .value_kind:     hidden_remainder_y
      - .offset:         150
        .size:           2
        .value_kind:     hidden_remainder_z
      - .offset:         168
        .size:           8
        .value_kind:     hidden_global_offset_x
      - .offset:         176
        .size:           8
        .value_kind:     hidden_global_offset_y
      - .offset:         184
        .size:           8
        .value_kind:     hidden_global_offset_z
      - .offset:         192
        .size:           2
        .value_kind:     hidden_grid_dims
    .group_segment_fixed_size: 0
    .kernarg_segment_align: 8
    .kernarg_segment_size: 384
    .language:       OpenCL C
    .language_version:
      - 2
      - 0
    .max_flat_workgroup_size: 1024
    .name:           _ZN4vllm38concat_and_cache_mla_rope_fused_kernelIN3c104HalfENS1_8BFloat16ELb1EthLNS_18Fp8KVCacheDataTypeE1EEEvPKlPT_S8_PKS7_PKT0_illlliPT3_S6_iiiiPKf
    .private_segment_fixed_size: 0
    .sgpr_count:     64
    .sgpr_spill_count: 0
    .symbol:         _ZN4vllm38concat_and_cache_mla_rope_fused_kernelIN3c104HalfENS1_8BFloat16ELb1EthLNS_18Fp8KVCacheDataTypeE1EEEvPKlPT_S8_PKS7_PKT0_illlliPT3_S6_iiiiPKf.kd
    .uniform_work_group_size: 1
    .uses_dynamic_stack: false
    .vgpr_count:     23
    .vgpr_spill_count: 0
    .wavefront_size: 64
  - .agpr_count:     0
    .args:
      - .actual_access:  read_only
        .address_space:  global
        .offset:         0
        .size:           8
        .value_kind:     global_buffer
      - .address_space:  global
        .offset:         8
        .size:           8
        .value_kind:     global_buffer
      - .address_space:  global
        .offset:         16
        .size:           8
        .value_kind:     global_buffer
      - .actual_access:  read_only
        .address_space:  global
        .offset:         24
        .size:           8
        .value_kind:     global_buffer
      - .actual_access:  read_only
        .address_space:  global
        .offset:         32
        .size:           8
        .value_kind:     global_buffer
      - .offset:         40
        .size:           4
        .value_kind:     by_value
      - .offset:         48
        .size:           8
        .value_kind:     by_value
      - .offset:         56
        .size:           8
        .value_kind:     by_value
      - .offset:         64
        .size:           8
        .value_kind:     by_value
      - .offset:         72
        .size:           8
        .value_kind:     by_value
      - .offset:         80
        .size:           4
        .value_kind:     by_value
      - .actual_access:  write_only
        .address_space:  global
        .offset:         88
        .size:           8
        .value_kind:     global_buffer
      - .actual_access:  read_only
        .address_space:  global
        .offset:         96
        .size:           8
        .value_kind:     global_buffer
      - .offset:         104
        .size:           4
        .value_kind:     by_value
      - .offset:         108
        .size:           4
        .value_kind:     by_value
      - .offset:         112
        .size:           4
        .value_kind:     by_value
      - .offset:         116
        .size:           4
        .value_kind:     by_value
      - .address_space:  global
        .offset:         120
        .size:           8
        .value_kind:     global_buffer
      - .offset:         128
        .size:           4
        .value_kind:     hidden_block_count_x
      - .offset:         132
        .size:           4
        .value_kind:     hidden_block_count_y
      - .offset:         136
        .size:           4
        .value_kind:     hidden_block_count_z
      - .offset:         140
        .size:           2
        .value_kind:     hidden_group_size_x
      - .offset:         142
        .size:           2
        .value_kind:     hidden_group_size_y
      - .offset:         144
        .size:           2
        .value_kind:     hidden_group_size_z
      - .offset:         146
        .size:           2
        .value_kind:     hidden_remainder_x
      - .offset:         148
        .size:           2
        .value_kind:     hidden_remainder_y
      - .offset:         150
        .size:           2
        .value_kind:     hidden_remainder_z
      - .offset:         168
        .size:           8
        .value_kind:     hidden_global_offset_x
      - .offset:         176
        .size:           8
        .value_kind:     hidden_global_offset_y
      - .offset:         184
        .size:           8
        .value_kind:     hidden_global_offset_z
      - .offset:         192
        .size:           2
        .value_kind:     hidden_grid_dims
    .group_segment_fixed_size: 0
    .kernarg_segment_align: 8
    .kernarg_segment_size: 384
    .language:       OpenCL C
    .language_version:
      - 2
      - 0
    .max_flat_workgroup_size: 1024
    .name:           _ZN4vllm38concat_and_cache_mla_rope_fused_kernelIN3c104HalfENS1_8BFloat16ELb0EthLNS_18Fp8KVCacheDataTypeE1EEEvPKlPT_S8_PKS7_PKT0_illlliPT3_S6_iiiiPKf
    .private_segment_fixed_size: 0
    .sgpr_count:     58
    .sgpr_spill_count: 0
    .symbol:         _ZN4vllm38concat_and_cache_mla_rope_fused_kernelIN3c104HalfENS1_8BFloat16ELb0EthLNS_18Fp8KVCacheDataTypeE1EEEvPKlPT_S8_PKS7_PKT0_illlliPT3_S6_iiiiPKf.kd
    .uniform_work_group_size: 1
    .uses_dynamic_stack: false
    .vgpr_count:     26
    .vgpr_spill_count: 0
    .wavefront_size: 64
  - .agpr_count:     0
    .args:
      - .actual_access:  read_only
        .address_space:  global
        .offset:         0
        .size:           8
        .value_kind:     global_buffer
      - .address_space:  global
        .offset:         8
        .size:           8
        .value_kind:     global_buffer
      - .address_space:  global
        .offset:         16
        .size:           8
        .value_kind:     global_buffer
      - .actual_access:  read_only
        .address_space:  global
        .offset:         24
        .size:           8
        .value_kind:     global_buffer
      - .actual_access:  read_only
        .address_space:  global
        .offset:         32
        .size:           8
        .value_kind:     global_buffer
      - .offset:         40
        .size:           4
        .value_kind:     by_value
      - .offset:         48
        .size:           8
        .value_kind:     by_value
      - .offset:         56
        .size:           8
        .value_kind:     by_value
      - .offset:         64
        .size:           8
        .value_kind:     by_value
      - .offset:         72
        .size:           8
        .value_kind:     by_value
      - .offset:         80
        .size:           4
        .value_kind:     by_value
      - .actual_access:  write_only
        .address_space:  global
        .offset:         88
        .size:           8
        .value_kind:     global_buffer
      - .actual_access:  read_only
        .address_space:  global
        .offset:         96
        .size:           8
        .value_kind:     global_buffer
      - .offset:         104
        .size:           4
        .value_kind:     by_value
      - .offset:         108
        .size:           4
        .value_kind:     by_value
      - .offset:         112
        .size:           4
        .value_kind:     by_value
      - .offset:         116
        .size:           4
        .value_kind:     by_value
      - .address_space:  global
        .offset:         120
        .size:           8
        .value_kind:     global_buffer
      - .offset:         128
        .size:           4
        .value_kind:     hidden_block_count_x
      - .offset:         132
        .size:           4
        .value_kind:     hidden_block_count_y
      - .offset:         136
        .size:           4
        .value_kind:     hidden_block_count_z
      - .offset:         140
        .size:           2
        .value_kind:     hidden_group_size_x
      - .offset:         142
        .size:           2
        .value_kind:     hidden_group_size_y
      - .offset:         144
        .size:           2
        .value_kind:     hidden_group_size_z
      - .offset:         146
        .size:           2
        .value_kind:     hidden_remainder_x
      - .offset:         148
        .size:           2
        .value_kind:     hidden_remainder_y
      - .offset:         150
        .size:           2
        .value_kind:     hidden_remainder_z
      - .offset:         168
        .size:           8
        .value_kind:     hidden_global_offset_x
      - .offset:         176
        .size:           8
        .value_kind:     hidden_global_offset_y
      - .offset:         184
        .size:           8
        .value_kind:     hidden_global_offset_z
      - .offset:         192
        .size:           2
        .value_kind:     hidden_grid_dims
    .group_segment_fixed_size: 0
    .kernarg_segment_align: 8
    .kernarg_segment_size: 384
    .language:       OpenCL C
    .language_version:
      - 2
      - 0
    .max_flat_workgroup_size: 1024
    .name:           _ZN4vllm38concat_and_cache_mla_rope_fused_kernelIN3c108BFloat16EfLb1EthLNS_18Fp8KVCacheDataTypeE1EEEvPKlPT_S7_PKS6_PKT0_illlliPT3_S5_iiiiPKf
    .private_segment_fixed_size: 0
    .sgpr_count:     66
    .sgpr_spill_count: 0
    .symbol:         _ZN4vllm38concat_and_cache_mla_rope_fused_kernelIN3c108BFloat16EfLb1EthLNS_18Fp8KVCacheDataTypeE1EEEvPKlPT_S7_PKS6_PKT0_illlliPT3_S5_iiiiPKf.kd
    .uniform_work_group_size: 1
    .uses_dynamic_stack: false
    .vgpr_count:     24
    .vgpr_spill_count: 0
    .wavefront_size: 64
  - .agpr_count:     0
    .args:
      - .actual_access:  read_only
        .address_space:  global
        .offset:         0
        .size:           8
        .value_kind:     global_buffer
      - .address_space:  global
        .offset:         8
        .size:           8
        .value_kind:     global_buffer
      - .address_space:  global
        .offset:         16
        .size:           8
        .value_kind:     global_buffer
      - .actual_access:  read_only
        .address_space:  global
        .offset:         24
        .size:           8
        .value_kind:     global_buffer
      - .actual_access:  read_only
        .address_space:  global
        .offset:         32
        .size:           8
        .value_kind:     global_buffer
      - .offset:         40
        .size:           4
        .value_kind:     by_value
      - .offset:         48
        .size:           8
        .value_kind:     by_value
      - .offset:         56
        .size:           8
        .value_kind:     by_value
      - .offset:         64
        .size:           8
        .value_kind:     by_value
      - .offset:         72
        .size:           8
        .value_kind:     by_value
      - .offset:         80
        .size:           4
        .value_kind:     by_value
      - .actual_access:  write_only
        .address_space:  global
        .offset:         88
        .size:           8
        .value_kind:     global_buffer
      - .actual_access:  read_only
        .address_space:  global
        .offset:         96
        .size:           8
        .value_kind:     global_buffer
      - .offset:         104
        .size:           4
        .value_kind:     by_value
      - .offset:         108
        .size:           4
        .value_kind:     by_value
      - .offset:         112
        .size:           4
        .value_kind:     by_value
      - .offset:         116
        .size:           4
        .value_kind:     by_value
      - .address_space:  global
        .offset:         120
        .size:           8
        .value_kind:     global_buffer
      - .offset:         128
        .size:           4
        .value_kind:     hidden_block_count_x
      - .offset:         132
        .size:           4
        .value_kind:     hidden_block_count_y
      - .offset:         136
        .size:           4
        .value_kind:     hidden_block_count_z
      - .offset:         140
        .size:           2
        .value_kind:     hidden_group_size_x
      - .offset:         142
        .size:           2
        .value_kind:     hidden_group_size_y
      - .offset:         144
        .size:           2
        .value_kind:     hidden_group_size_z
      - .offset:         146
        .size:           2
        .value_kind:     hidden_remainder_x
      - .offset:         148
        .size:           2
        .value_kind:     hidden_remainder_y
      - .offset:         150
        .size:           2
        .value_kind:     hidden_remainder_z
      - .offset:         168
        .size:           8
        .value_kind:     hidden_global_offset_x
      - .offset:         176
        .size:           8
        .value_kind:     hidden_global_offset_y
      - .offset:         184
        .size:           8
        .value_kind:     hidden_global_offset_z
      - .offset:         192
        .size:           2
        .value_kind:     hidden_grid_dims
    .group_segment_fixed_size: 0
    .kernarg_segment_align: 8
    .kernarg_segment_size: 384
    .language:       OpenCL C
    .language_version:
      - 2
      - 0
    .max_flat_workgroup_size: 1024
    .name:           _ZN4vllm38concat_and_cache_mla_rope_fused_kernelIN3c108BFloat16EfLb0EthLNS_18Fp8KVCacheDataTypeE1EEEvPKlPT_S7_PKS6_PKT0_illlliPT3_S5_iiiiPKf
    .private_segment_fixed_size: 0
    .sgpr_count:     60
    .sgpr_spill_count: 0
    .symbol:         _ZN4vllm38concat_and_cache_mla_rope_fused_kernelIN3c108BFloat16EfLb0EthLNS_18Fp8KVCacheDataTypeE1EEEvPKlPT_S7_PKS6_PKT0_illlliPT3_S5_iiiiPKf.kd
    .uniform_work_group_size: 1
    .uses_dynamic_stack: false
    .vgpr_count:     28
    .vgpr_spill_count: 0
    .wavefront_size: 64
  - .agpr_count:     0
    .args:
      - .actual_access:  read_only
        .address_space:  global
        .offset:         0
        .size:           8
        .value_kind:     global_buffer
      - .address_space:  global
        .offset:         8
        .size:           8
        .value_kind:     global_buffer
      - .address_space:  global
        .offset:         16
        .size:           8
        .value_kind:     global_buffer
      - .actual_access:  read_only
        .address_space:  global
        .offset:         24
        .size:           8
        .value_kind:     global_buffer
      - .actual_access:  read_only
        .address_space:  global
        .offset:         32
        .size:           8
        .value_kind:     global_buffer
      - .offset:         40
        .size:           4
        .value_kind:     by_value
      - .offset:         48
        .size:           8
        .value_kind:     by_value
      - .offset:         56
        .size:           8
        .value_kind:     by_value
      - .offset:         64
        .size:           8
        .value_kind:     by_value
      - .offset:         72
        .size:           8
        .value_kind:     by_value
      - .offset:         80
        .size:           4
        .value_kind:     by_value
      - .actual_access:  write_only
        .address_space:  global
        .offset:         88
        .size:           8
        .value_kind:     global_buffer
      - .actual_access:  read_only
        .address_space:  global
        .offset:         96
        .size:           8
        .value_kind:     global_buffer
      - .offset:         104
        .size:           4
        .value_kind:     by_value
      - .offset:         108
        .size:           4
        .value_kind:     by_value
      - .offset:         112
        .size:           4
        .value_kind:     by_value
      - .offset:         116
        .size:           4
        .value_kind:     by_value
      - .address_space:  global
        .offset:         120
        .size:           8
        .value_kind:     global_buffer
      - .offset:         128
        .size:           4
        .value_kind:     hidden_block_count_x
      - .offset:         132
        .size:           4
        .value_kind:     hidden_block_count_y
      - .offset:         136
        .size:           4
        .value_kind:     hidden_block_count_z
      - .offset:         140
        .size:           2
        .value_kind:     hidden_group_size_x
      - .offset:         142
        .size:           2
        .value_kind:     hidden_group_size_y
      - .offset:         144
        .size:           2
        .value_kind:     hidden_group_size_z
      - .offset:         146
        .size:           2
        .value_kind:     hidden_remainder_x
      - .offset:         148
        .size:           2
        .value_kind:     hidden_remainder_y
      - .offset:         150
        .size:           2
        .value_kind:     hidden_remainder_z
      - .offset:         168
        .size:           8
        .value_kind:     hidden_global_offset_x
      - .offset:         176
        .size:           8
        .value_kind:     hidden_global_offset_y
      - .offset:         184
        .size:           8
        .value_kind:     hidden_global_offset_z
      - .offset:         192
        .size:           2
        .value_kind:     hidden_grid_dims
    .group_segment_fixed_size: 0
    .kernarg_segment_align: 8
    .kernarg_segment_size: 384
    .language:       OpenCL C
    .language_version:
      - 2
      - 0
    .max_flat_workgroup_size: 1024
    .name:           _ZN4vllm38concat_and_cache_mla_rope_fused_kernelIN3c108BFloat16ENS1_4HalfELb1EthLNS_18Fp8KVCacheDataTypeE1EEEvPKlPT_S8_PKS7_PKT0_illlliPT3_S6_iiiiPKf
    .private_segment_fixed_size: 0
    .sgpr_count:     66
    .sgpr_spill_count: 0
    .symbol:         _ZN4vllm38concat_and_cache_mla_rope_fused_kernelIN3c108BFloat16ENS1_4HalfELb1EthLNS_18Fp8KVCacheDataTypeE1EEEvPKlPT_S8_PKS7_PKT0_illlliPT3_S6_iiiiPKf.kd
    .uniform_work_group_size: 1
    .uses_dynamic_stack: false
    .vgpr_count:     25
    .vgpr_spill_count: 0
    .wavefront_size: 64
  - .agpr_count:     0
    .args:
      - .actual_access:  read_only
        .address_space:  global
        .offset:         0
        .size:           8
        .value_kind:     global_buffer
      - .address_space:  global
        .offset:         8
        .size:           8
        .value_kind:     global_buffer
      - .address_space:  global
        .offset:         16
        .size:           8
        .value_kind:     global_buffer
      - .actual_access:  read_only
        .address_space:  global
        .offset:         24
        .size:           8
        .value_kind:     global_buffer
      - .actual_access:  read_only
        .address_space:  global
        .offset:         32
        .size:           8
        .value_kind:     global_buffer
      - .offset:         40
        .size:           4
        .value_kind:     by_value
      - .offset:         48
        .size:           8
        .value_kind:     by_value
      - .offset:         56
        .size:           8
        .value_kind:     by_value
      - .offset:         64
        .size:           8
        .value_kind:     by_value
      - .offset:         72
        .size:           8
        .value_kind:     by_value
      - .offset:         80
        .size:           4
        .value_kind:     by_value
      - .actual_access:  write_only
        .address_space:  global
        .offset:         88
        .size:           8
        .value_kind:     global_buffer
      - .actual_access:  read_only
        .address_space:  global
        .offset:         96
        .size:           8
        .value_kind:     global_buffer
      - .offset:         104
        .size:           4
        .value_kind:     by_value
      - .offset:         108
        .size:           4
        .value_kind:     by_value
      - .offset:         112
        .size:           4
        .value_kind:     by_value
      - .offset:         116
        .size:           4
        .value_kind:     by_value
      - .address_space:  global
        .offset:         120
        .size:           8
        .value_kind:     global_buffer
      - .offset:         128
        .size:           4
        .value_kind:     hidden_block_count_x
      - .offset:         132
        .size:           4
        .value_kind:     hidden_block_count_y
      - .offset:         136
        .size:           4
        .value_kind:     hidden_block_count_z
      - .offset:         140
        .size:           2
        .value_kind:     hidden_group_size_x
      - .offset:         142
        .size:           2
        .value_kind:     hidden_group_size_y
      - .offset:         144
        .size:           2
        .value_kind:     hidden_group_size_z
      - .offset:         146
        .size:           2
        .value_kind:     hidden_remainder_x
      - .offset:         148
        .size:           2
        .value_kind:     hidden_remainder_y
      - .offset:         150
        .size:           2
        .value_kind:     hidden_remainder_z
      - .offset:         168
        .size:           8
        .value_kind:     hidden_global_offset_x
      - .offset:         176
        .size:           8
        .value_kind:     hidden_global_offset_y
      - .offset:         184
        .size:           8
        .value_kind:     hidden_global_offset_z
      - .offset:         192
        .size:           2
        .value_kind:     hidden_grid_dims
    .group_segment_fixed_size: 0
    .kernarg_segment_align: 8
    .kernarg_segment_size: 384
    .language:       OpenCL C
    .language_version:
      - 2
      - 0
    .max_flat_workgroup_size: 1024
    .name:           _ZN4vllm38concat_and_cache_mla_rope_fused_kernelIN3c108BFloat16ENS1_4HalfELb0EthLNS_18Fp8KVCacheDataTypeE1EEEvPKlPT_S8_PKS7_PKT0_illlliPT3_S6_iiiiPKf
    .private_segment_fixed_size: 0
    .sgpr_count:     60
    .sgpr_spill_count: 0
    .symbol:         _ZN4vllm38concat_and_cache_mla_rope_fused_kernelIN3c108BFloat16ENS1_4HalfELb0EthLNS_18Fp8KVCacheDataTypeE1EEEvPKlPT_S8_PKS7_PKT0_illlliPT3_S6_iiiiPKf.kd
    .uniform_work_group_size: 1
    .uses_dynamic_stack: false
    .vgpr_count:     28
    .vgpr_spill_count: 0
    .wavefront_size: 64
  - .agpr_count:     0
    .args:
      - .actual_access:  read_only
        .address_space:  global
        .offset:         0
        .size:           8
        .value_kind:     global_buffer
      - .address_space:  global
        .offset:         8
        .size:           8
        .value_kind:     global_buffer
      - .address_space:  global
        .offset:         16
        .size:           8
        .value_kind:     global_buffer
      - .actual_access:  read_only
        .address_space:  global
        .offset:         24
        .size:           8
        .value_kind:     global_buffer
      - .actual_access:  read_only
        .address_space:  global
        .offset:         32
        .size:           8
        .value_kind:     global_buffer
      - .offset:         40
        .size:           4
        .value_kind:     by_value
      - .offset:         48
        .size:           8
        .value_kind:     by_value
      - .offset:         56
        .size:           8
        .value_kind:     by_value
      - .offset:         64
        .size:           8
        .value_kind:     by_value
      - .offset:         72
        .size:           8
        .value_kind:     by_value
      - .offset:         80
        .size:           4
        .value_kind:     by_value
      - .actual_access:  write_only
        .address_space:  global
        .offset:         88
        .size:           8
        .value_kind:     global_buffer
      - .actual_access:  read_only
        .address_space:  global
        .offset:         96
        .size:           8
        .value_kind:     global_buffer
      - .offset:         104
        .size:           4
        .value_kind:     by_value
      - .offset:         108
        .size:           4
        .value_kind:     by_value
      - .offset:         112
        .size:           4
        .value_kind:     by_value
      - .offset:         116
        .size:           4
        .value_kind:     by_value
      - .address_space:  global
        .offset:         120
        .size:           8
        .value_kind:     global_buffer
      - .offset:         128
        .size:           4
        .value_kind:     hidden_block_count_x
      - .offset:         132
        .size:           4
        .value_kind:     hidden_block_count_y
      - .offset:         136
        .size:           4
        .value_kind:     hidden_block_count_z
      - .offset:         140
        .size:           2
        .value_kind:     hidden_group_size_x
      - .offset:         142
        .size:           2
        .value_kind:     hidden_group_size_y
      - .offset:         144
        .size:           2
        .value_kind:     hidden_group_size_z
      - .offset:         146
        .size:           2
        .value_kind:     hidden_remainder_x
      - .offset:         148
        .size:           2
        .value_kind:     hidden_remainder_y
      - .offset:         150
        .size:           2
        .value_kind:     hidden_remainder_z
      - .offset:         168
        .size:           8
        .value_kind:     hidden_global_offset_x
      - .offset:         176
        .size:           8
        .value_kind:     hidden_global_offset_y
      - .offset:         184
        .size:           8
        .value_kind:     hidden_global_offset_z
      - .offset:         192
        .size:           2
        .value_kind:     hidden_grid_dims
    .group_segment_fixed_size: 0
    .kernarg_segment_align: 8
    .kernarg_segment_size: 384
    .language:       OpenCL C
    .language_version:
      - 2
      - 0
    .max_flat_workgroup_size: 1024
    .name:           _ZN4vllm38concat_and_cache_mla_rope_fused_kernelIN3c108BFloat16ES2_Lb1EthLNS_18Fp8KVCacheDataTypeE1EEEvPKlPT_S7_PKS6_PKT0_illlliPT3_S5_iiiiPKf
    .private_segment_fixed_size: 0
    .sgpr_count:     66
    .sgpr_spill_count: 0
    .symbol:         _ZN4vllm38concat_and_cache_mla_rope_fused_kernelIN3c108BFloat16ES2_Lb1EthLNS_18Fp8KVCacheDataTypeE1EEEvPKlPT_S7_PKS6_PKT0_illlliPT3_S5_iiiiPKf.kd
    .uniform_work_group_size: 1
    .uses_dynamic_stack: false
    .vgpr_count:     24
    .vgpr_spill_count: 0
    .wavefront_size: 64
  - .agpr_count:     0
    .args:
      - .actual_access:  read_only
        .address_space:  global
        .offset:         0
        .size:           8
        .value_kind:     global_buffer
      - .address_space:  global
        .offset:         8
        .size:           8
        .value_kind:     global_buffer
      - .address_space:  global
        .offset:         16
        .size:           8
        .value_kind:     global_buffer
      - .actual_access:  read_only
        .address_space:  global
        .offset:         24
        .size:           8
        .value_kind:     global_buffer
      - .actual_access:  read_only
        .address_space:  global
        .offset:         32
        .size:           8
        .value_kind:     global_buffer
      - .offset:         40
        .size:           4
        .value_kind:     by_value
      - .offset:         48
        .size:           8
        .value_kind:     by_value
      - .offset:         56
        .size:           8
        .value_kind:     by_value
      - .offset:         64
        .size:           8
        .value_kind:     by_value
      - .offset:         72
        .size:           8
        .value_kind:     by_value
      - .offset:         80
        .size:           4
        .value_kind:     by_value
      - .actual_access:  write_only
        .address_space:  global
        .offset:         88
        .size:           8
        .value_kind:     global_buffer
      - .actual_access:  read_only
        .address_space:  global
        .offset:         96
        .size:           8
        .value_kind:     global_buffer
      - .offset:         104
        .size:           4
        .value_kind:     by_value
      - .offset:         108
        .size:           4
        .value_kind:     by_value
      - .offset:         112
        .size:           4
        .value_kind:     by_value
      - .offset:         116
        .size:           4
        .value_kind:     by_value
      - .address_space:  global
        .offset:         120
        .size:           8
        .value_kind:     global_buffer
      - .offset:         128
        .size:           4
        .value_kind:     hidden_block_count_x
      - .offset:         132
        .size:           4
        .value_kind:     hidden_block_count_y
      - .offset:         136
        .size:           4
        .value_kind:     hidden_block_count_z
      - .offset:         140
        .size:           2
        .value_kind:     hidden_group_size_x
      - .offset:         142
        .size:           2
        .value_kind:     hidden_group_size_y
      - .offset:         144
        .size:           2
        .value_kind:     hidden_group_size_z
      - .offset:         146
        .size:           2
        .value_kind:     hidden_remainder_x
      - .offset:         148
        .size:           2
        .value_kind:     hidden_remainder_y
      - .offset:         150
        .size:           2
        .value_kind:     hidden_remainder_z
      - .offset:         168
        .size:           8
        .value_kind:     hidden_global_offset_x
      - .offset:         176
        .size:           8
        .value_kind:     hidden_global_offset_y
      - .offset:         184
        .size:           8
        .value_kind:     hidden_global_offset_z
      - .offset:         192
        .size:           2
        .value_kind:     hidden_grid_dims
    .group_segment_fixed_size: 0
    .kernarg_segment_align: 8
    .kernarg_segment_size: 384
    .language:       OpenCL C
    .language_version:
      - 2
      - 0
    .max_flat_workgroup_size: 1024
    .name:           _ZN4vllm38concat_and_cache_mla_rope_fused_kernelIN3c108BFloat16ES2_Lb0EthLNS_18Fp8KVCacheDataTypeE1EEEvPKlPT_S7_PKS6_PKT0_illlliPT3_S5_iiiiPKf
    .private_segment_fixed_size: 0
    .sgpr_count:     60
    .sgpr_spill_count: 0
    .symbol:         _ZN4vllm38concat_and_cache_mla_rope_fused_kernelIN3c108BFloat16ES2_Lb0EthLNS_18Fp8KVCacheDataTypeE1EEEvPKlPT_S7_PKS6_PKT0_illlliPT3_S5_iiiiPKf.kd
    .uniform_work_group_size: 1
    .uses_dynamic_stack: false
    .vgpr_count:     26
    .vgpr_spill_count: 0
    .wavefront_size: 64
  - .agpr_count:     0
    .args:
      - .actual_access:  read_only
        .address_space:  global
        .offset:         0
        .size:           8
        .value_kind:     global_buffer
      - .address_space:  global
        .offset:         8
        .size:           8
        .value_kind:     global_buffer
      - .address_space:  global
        .offset:         16
        .size:           8
        .value_kind:     global_buffer
      - .actual_access:  read_only
        .address_space:  global
        .offset:         24
        .size:           8
        .value_kind:     global_buffer
      - .actual_access:  read_only
        .address_space:  global
        .offset:         32
        .size:           8
        .value_kind:     global_buffer
      - .offset:         40
        .size:           4
        .value_kind:     by_value
      - .offset:         48
        .size:           8
        .value_kind:     by_value
      - .offset:         56
        .size:           8
        .value_kind:     by_value
      - .offset:         64
        .size:           8
        .value_kind:     by_value
      - .offset:         72
        .size:           8
        .value_kind:     by_value
      - .offset:         80
        .size:           4
        .value_kind:     by_value
      - .actual_access:  write_only
        .address_space:  global
        .offset:         88
        .size:           8
        .value_kind:     global_buffer
      - .actual_access:  read_only
        .address_space:  global
        .offset:         96
        .size:           8
        .value_kind:     global_buffer
      - .offset:         104
        .size:           4
        .value_kind:     by_value
      - .offset:         108
        .size:           4
        .value_kind:     by_value
      - .offset:         112
        .size:           4
        .value_kind:     by_value
      - .offset:         116
        .size:           4
        .value_kind:     by_value
      - .address_space:  global
        .offset:         120
        .size:           8
        .value_kind:     global_buffer
      - .offset:         128
        .size:           4
        .value_kind:     hidden_block_count_x
      - .offset:         132
        .size:           4
        .value_kind:     hidden_block_count_y
      - .offset:         136
        .size:           4
        .value_kind:     hidden_block_count_z
      - .offset:         140
        .size:           2
        .value_kind:     hidden_group_size_x
      - .offset:         142
        .size:           2
        .value_kind:     hidden_group_size_y
      - .offset:         144
        .size:           2
        .value_kind:     hidden_group_size_z
      - .offset:         146
        .size:           2
        .value_kind:     hidden_remainder_x
      - .offset:         148
        .size:           2
        .value_kind:     hidden_remainder_y
      - .offset:         150
        .size:           2
        .value_kind:     hidden_remainder_z
      - .offset:         168
        .size:           8
        .value_kind:     hidden_global_offset_x
      - .offset:         176
        .size:           8
        .value_kind:     hidden_global_offset_y
      - .offset:         184
        .size:           8
        .value_kind:     hidden_global_offset_z
      - .offset:         192
        .size:           2
        .value_kind:     hidden_grid_dims
    .group_segment_fixed_size: 0
    .kernarg_segment_align: 8
    .kernarg_segment_size: 384
    .language:       OpenCL C
    .language_version:
      - 2
      - 0
    .max_flat_workgroup_size: 1024
    .name:           _ZN4vllm38concat_and_cache_mla_rope_fused_kernelIffLb1E14__hip_bfloat16hLNS_18Fp8KVCacheDataTypeE1EEEvPKlPT_S6_PKS5_PKT0_illlliPT3_S4_iiiiPKf
    .private_segment_fixed_size: 0
    .sgpr_count:     64
    .sgpr_spill_count: 0
    .symbol:         _ZN4vllm38concat_and_cache_mla_rope_fused_kernelIffLb1E14__hip_bfloat16hLNS_18Fp8KVCacheDataTypeE1EEEvPKlPT_S6_PKS5_PKT0_illlliPT3_S4_iiiiPKf.kd
    .uniform_work_group_size: 1
    .uses_dynamic_stack: false
    .vgpr_count:     20
    .vgpr_spill_count: 0
    .wavefront_size: 64
  - .agpr_count:     0
    .args:
      - .actual_access:  read_only
        .address_space:  global
        .offset:         0
        .size:           8
        .value_kind:     global_buffer
      - .address_space:  global
        .offset:         8
        .size:           8
        .value_kind:     global_buffer
      - .address_space:  global
        .offset:         16
        .size:           8
        .value_kind:     global_buffer
      - .actual_access:  read_only
        .address_space:  global
        .offset:         24
        .size:           8
        .value_kind:     global_buffer
      - .actual_access:  read_only
        .address_space:  global
        .offset:         32
        .size:           8
        .value_kind:     global_buffer
      - .offset:         40
        .size:           4
        .value_kind:     by_value
      - .offset:         48
        .size:           8
        .value_kind:     by_value
      - .offset:         56
        .size:           8
        .value_kind:     by_value
      - .offset:         64
        .size:           8
        .value_kind:     by_value
      - .offset:         72
        .size:           8
        .value_kind:     by_value
      - .offset:         80
        .size:           4
        .value_kind:     by_value
      - .actual_access:  write_only
        .address_space:  global
        .offset:         88
        .size:           8
        .value_kind:     global_buffer
      - .actual_access:  read_only
        .address_space:  global
        .offset:         96
        .size:           8
        .value_kind:     global_buffer
      - .offset:         104
        .size:           4
        .value_kind:     by_value
      - .offset:         108
        .size:           4
        .value_kind:     by_value
      - .offset:         112
        .size:           4
        .value_kind:     by_value
      - .offset:         116
        .size:           4
        .value_kind:     by_value
      - .address_space:  global
        .offset:         120
        .size:           8
        .value_kind:     global_buffer
      - .offset:         128
        .size:           4
        .value_kind:     hidden_block_count_x
      - .offset:         132
        .size:           4
        .value_kind:     hidden_block_count_y
      - .offset:         136
        .size:           4
        .value_kind:     hidden_block_count_z
      - .offset:         140
        .size:           2
        .value_kind:     hidden_group_size_x
      - .offset:         142
        .size:           2
        .value_kind:     hidden_group_size_y
      - .offset:         144
        .size:           2
        .value_kind:     hidden_group_size_z
      - .offset:         146
        .size:           2
        .value_kind:     hidden_remainder_x
      - .offset:         148
        .size:           2
        .value_kind:     hidden_remainder_y
      - .offset:         150
        .size:           2
        .value_kind:     hidden_remainder_z
      - .offset:         168
        .size:           8
        .value_kind:     hidden_global_offset_x
      - .offset:         176
        .size:           8
        .value_kind:     hidden_global_offset_y
      - .offset:         184
        .size:           8
        .value_kind:     hidden_global_offset_z
      - .offset:         192
        .size:           2
        .value_kind:     hidden_grid_dims
    .group_segment_fixed_size: 0
    .kernarg_segment_align: 8
    .kernarg_segment_size: 384
    .language:       OpenCL C
    .language_version:
      - 2
      - 0
    .max_flat_workgroup_size: 1024
    .name:           _ZN4vllm38concat_and_cache_mla_rope_fused_kernelIffLb0E14__hip_bfloat16hLNS_18Fp8KVCacheDataTypeE1EEEvPKlPT_S6_PKS5_PKT0_illlliPT3_S4_iiiiPKf
    .private_segment_fixed_size: 0
    .sgpr_count:     60
    .sgpr_spill_count: 0
    .symbol:         _ZN4vllm38concat_and_cache_mla_rope_fused_kernelIffLb0E14__hip_bfloat16hLNS_18Fp8KVCacheDataTypeE1EEEvPKlPT_S6_PKS5_PKT0_illlliPT3_S4_iiiiPKf.kd
    .uniform_work_group_size: 1
    .uses_dynamic_stack: false
    .vgpr_count:     24
    .vgpr_spill_count: 0
    .wavefront_size: 64
  - .agpr_count:     0
    .args:
      - .actual_access:  read_only
        .address_space:  global
        .offset:         0
        .size:           8
        .value_kind:     global_buffer
      - .address_space:  global
        .offset:         8
        .size:           8
        .value_kind:     global_buffer
      - .address_space:  global
        .offset:         16
        .size:           8
        .value_kind:     global_buffer
      - .actual_access:  read_only
        .address_space:  global
        .offset:         24
        .size:           8
        .value_kind:     global_buffer
      - .actual_access:  read_only
        .address_space:  global
        .offset:         32
        .size:           8
        .value_kind:     global_buffer
      - .offset:         40
        .size:           4
        .value_kind:     by_value
      - .offset:         48
        .size:           8
        .value_kind:     by_value
      - .offset:         56
        .size:           8
        .value_kind:     by_value
      - .offset:         64
        .size:           8
        .value_kind:     by_value
      - .offset:         72
        .size:           8
        .value_kind:     by_value
      - .offset:         80
        .size:           4
        .value_kind:     by_value
      - .actual_access:  write_only
        .address_space:  global
        .offset:         88
        .size:           8
        .value_kind:     global_buffer
      - .actual_access:  read_only
        .address_space:  global
        .offset:         96
        .size:           8
        .value_kind:     global_buffer
      - .offset:         104
        .size:           4
        .value_kind:     by_value
      - .offset:         108
        .size:           4
        .value_kind:     by_value
      - .offset:         112
        .size:           4
        .value_kind:     by_value
      - .offset:         116
        .size:           4
        .value_kind:     by_value
      - .address_space:  global
        .offset:         120
        .size:           8
        .value_kind:     global_buffer
      - .offset:         128
        .size:           4
        .value_kind:     hidden_block_count_x
      - .offset:         132
        .size:           4
        .value_kind:     hidden_block_count_y
      - .offset:         136
        .size:           4
        .value_kind:     hidden_block_count_z
      - .offset:         140
        .size:           2
        .value_kind:     hidden_group_size_x
      - .offset:         142
        .size:           2
        .value_kind:     hidden_group_size_y
      - .offset:         144
        .size:           2
        .value_kind:     hidden_group_size_z
      - .offset:         146
        .size:           2
        .value_kind:     hidden_remainder_x
      - .offset:         148
        .size:           2
        .value_kind:     hidden_remainder_y
      - .offset:         150
        .size:           2
        .value_kind:     hidden_remainder_z
      - .offset:         168
        .size:           8
        .value_kind:     hidden_global_offset_x
      - .offset:         176
        .size:           8
        .value_kind:     hidden_global_offset_y
      - .offset:         184
        .size:           8
        .value_kind:     hidden_global_offset_z
      - .offset:         192
        .size:           2
        .value_kind:     hidden_grid_dims
    .group_segment_fixed_size: 0
    .kernarg_segment_align: 8
    .kernarg_segment_size: 384
    .language:       OpenCL C
    .language_version:
      - 2
      - 0
    .max_flat_workgroup_size: 1024
    .name:           _ZN4vllm38concat_and_cache_mla_rope_fused_kernelIfN3c104HalfELb1E14__hip_bfloat16hLNS_18Fp8KVCacheDataTypeE1EEEvPKlPT_S8_PKS7_PKT0_illlliPT3_S6_iiiiPKf
    .private_segment_fixed_size: 0
    .sgpr_count:     66
    .sgpr_spill_count: 0
    .symbol:         _ZN4vllm38concat_and_cache_mla_rope_fused_kernelIfN3c104HalfELb1E14__hip_bfloat16hLNS_18Fp8KVCacheDataTypeE1EEEvPKlPT_S8_PKS7_PKT0_illlliPT3_S6_iiiiPKf.kd
    .uniform_work_group_size: 1
    .uses_dynamic_stack: false
    .vgpr_count:     22
    .vgpr_spill_count: 0
    .wavefront_size: 64
  - .agpr_count:     0
    .args:
      - .actual_access:  read_only
        .address_space:  global
        .offset:         0
        .size:           8
        .value_kind:     global_buffer
      - .address_space:  global
        .offset:         8
        .size:           8
        .value_kind:     global_buffer
      - .address_space:  global
        .offset:         16
        .size:           8
        .value_kind:     global_buffer
      - .actual_access:  read_only
        .address_space:  global
        .offset:         24
        .size:           8
        .value_kind:     global_buffer
      - .actual_access:  read_only
        .address_space:  global
        .offset:         32
        .size:           8
        .value_kind:     global_buffer
      - .offset:         40
        .size:           4
        .value_kind:     by_value
      - .offset:         48
        .size:           8
        .value_kind:     by_value
      - .offset:         56
        .size:           8
        .value_kind:     by_value
      - .offset:         64
        .size:           8
        .value_kind:     by_value
      - .offset:         72
        .size:           8
        .value_kind:     by_value
      - .offset:         80
        .size:           4
        .value_kind:     by_value
      - .actual_access:  write_only
        .address_space:  global
        .offset:         88
        .size:           8
        .value_kind:     global_buffer
      - .actual_access:  read_only
        .address_space:  global
        .offset:         96
        .size:           8
        .value_kind:     global_buffer
      - .offset:         104
        .size:           4
        .value_kind:     by_value
      - .offset:         108
        .size:           4
        .value_kind:     by_value
      - .offset:         112
        .size:           4
        .value_kind:     by_value
      - .offset:         116
        .size:           4
        .value_kind:     by_value
      - .address_space:  global
        .offset:         120
        .size:           8
        .value_kind:     global_buffer
      - .offset:         128
        .size:           4
        .value_kind:     hidden_block_count_x
      - .offset:         132
        .size:           4
        .value_kind:     hidden_block_count_y
      - .offset:         136
        .size:           4
        .value_kind:     hidden_block_count_z
      - .offset:         140
        .size:           2
        .value_kind:     hidden_group_size_x
      - .offset:         142
        .size:           2
        .value_kind:     hidden_group_size_y
      - .offset:         144
        .size:           2
        .value_kind:     hidden_group_size_z
      - .offset:         146
        .size:           2
        .value_kind:     hidden_remainder_x
      - .offset:         148
        .size:           2
        .value_kind:     hidden_remainder_y
      - .offset:         150
        .size:           2
        .value_kind:     hidden_remainder_z
      - .offset:         168
        .size:           8
        .value_kind:     hidden_global_offset_x
      - .offset:         176
        .size:           8
        .value_kind:     hidden_global_offset_y
      - .offset:         184
        .size:           8
        .value_kind:     hidden_global_offset_z
      - .offset:         192
        .size:           2
        .value_kind:     hidden_grid_dims
    .group_segment_fixed_size: 0
    .kernarg_segment_align: 8
    .kernarg_segment_size: 384
    .language:       OpenCL C
    .language_version:
      - 2
      - 0
    .max_flat_workgroup_size: 1024
    .name:           _ZN4vllm38concat_and_cache_mla_rope_fused_kernelIfN3c104HalfELb0E14__hip_bfloat16hLNS_18Fp8KVCacheDataTypeE1EEEvPKlPT_S8_PKS7_PKT0_illlliPT3_S6_iiiiPKf
    .private_segment_fixed_size: 0
    .sgpr_count:     58
    .sgpr_spill_count: 0
    .symbol:         _ZN4vllm38concat_and_cache_mla_rope_fused_kernelIfN3c104HalfELb0E14__hip_bfloat16hLNS_18Fp8KVCacheDataTypeE1EEEvPKlPT_S8_PKS7_PKT0_illlliPT3_S6_iiiiPKf.kd
    .uniform_work_group_size: 1
    .uses_dynamic_stack: false
    .vgpr_count:     26
    .vgpr_spill_count: 0
    .wavefront_size: 64
  - .agpr_count:     0
    .args:
      - .actual_access:  read_only
        .address_space:  global
        .offset:         0
        .size:           8
        .value_kind:     global_buffer
      - .address_space:  global
        .offset:         8
        .size:           8
        .value_kind:     global_buffer
      - .address_space:  global
        .offset:         16
        .size:           8
        .value_kind:     global_buffer
      - .actual_access:  read_only
        .address_space:  global
        .offset:         24
        .size:           8
        .value_kind:     global_buffer
      - .actual_access:  read_only
        .address_space:  global
        .offset:         32
        .size:           8
        .value_kind:     global_buffer
      - .offset:         40
        .size:           4
        .value_kind:     by_value
      - .offset:         48
        .size:           8
        .value_kind:     by_value
      - .offset:         56
        .size:           8
        .value_kind:     by_value
      - .offset:         64
        .size:           8
        .value_kind:     by_value
      - .offset:         72
        .size:           8
        .value_kind:     by_value
      - .offset:         80
        .size:           4
        .value_kind:     by_value
      - .actual_access:  write_only
        .address_space:  global
        .offset:         88
        .size:           8
        .value_kind:     global_buffer
      - .actual_access:  read_only
        .address_space:  global
        .offset:         96
        .size:           8
        .value_kind:     global_buffer
      - .offset:         104
        .size:           4
        .value_kind:     by_value
      - .offset:         108
        .size:           4
        .value_kind:     by_value
      - .offset:         112
        .size:           4
        .value_kind:     by_value
      - .offset:         116
        .size:           4
        .value_kind:     by_value
      - .address_space:  global
        .offset:         120
        .size:           8
        .value_kind:     global_buffer
      - .offset:         128
        .size:           4
        .value_kind:     hidden_block_count_x
      - .offset:         132
        .size:           4
        .value_kind:     hidden_block_count_y
      - .offset:         136
        .size:           4
        .value_kind:     hidden_block_count_z
      - .offset:         140
        .size:           2
        .value_kind:     hidden_group_size_x
      - .offset:         142
        .size:           2
        .value_kind:     hidden_group_size_y
      - .offset:         144
        .size:           2
        .value_kind:     hidden_group_size_z
      - .offset:         146
        .size:           2
        .value_kind:     hidden_remainder_x
      - .offset:         148
        .size:           2
        .value_kind:     hidden_remainder_y
      - .offset:         150
        .size:           2
        .value_kind:     hidden_remainder_z
      - .offset:         168
        .size:           8
        .value_kind:     hidden_global_offset_x
      - .offset:         176
        .size:           8
        .value_kind:     hidden_global_offset_y
      - .offset:         184
        .size:           8
        .value_kind:     hidden_global_offset_z
      - .offset:         192
        .size:           2
        .value_kind:     hidden_grid_dims
    .group_segment_fixed_size: 0
    .kernarg_segment_align: 8
    .kernarg_segment_size: 384
    .language:       OpenCL C
    .language_version:
      - 2
      - 0
    .max_flat_workgroup_size: 1024
    .name:           _ZN4vllm38concat_and_cache_mla_rope_fused_kernelIfN3c108BFloat16ELb1E14__hip_bfloat16hLNS_18Fp8KVCacheDataTypeE1EEEvPKlPT_S8_PKS7_PKT0_illlliPT3_S6_iiiiPKf
    .private_segment_fixed_size: 0
    .sgpr_count:     66
    .sgpr_spill_count: 0
    .symbol:         _ZN4vllm38concat_and_cache_mla_rope_fused_kernelIfN3c108BFloat16ELb1E14__hip_bfloat16hLNS_18Fp8KVCacheDataTypeE1EEEvPKlPT_S8_PKS7_PKT0_illlliPT3_S6_iiiiPKf.kd
    .uniform_work_group_size: 1
    .uses_dynamic_stack: false
    .vgpr_count:     22
    .vgpr_spill_count: 0
    .wavefront_size: 64
  - .agpr_count:     0
    .args:
      - .actual_access:  read_only
        .address_space:  global
        .offset:         0
        .size:           8
        .value_kind:     global_buffer
      - .address_space:  global
        .offset:         8
        .size:           8
        .value_kind:     global_buffer
      - .address_space:  global
        .offset:         16
        .size:           8
        .value_kind:     global_buffer
      - .actual_access:  read_only
        .address_space:  global
        .offset:         24
        .size:           8
        .value_kind:     global_buffer
      - .actual_access:  read_only
        .address_space:  global
        .offset:         32
        .size:           8
        .value_kind:     global_buffer
      - .offset:         40
        .size:           4
        .value_kind:     by_value
      - .offset:         48
        .size:           8
        .value_kind:     by_value
      - .offset:         56
        .size:           8
        .value_kind:     by_value
      - .offset:         64
        .size:           8
        .value_kind:     by_value
      - .offset:         72
        .size:           8
        .value_kind:     by_value
      - .offset:         80
        .size:           4
        .value_kind:     by_value
      - .actual_access:  write_only
        .address_space:  global
        .offset:         88
        .size:           8
        .value_kind:     global_buffer
      - .actual_access:  read_only
        .address_space:  global
        .offset:         96
        .size:           8
        .value_kind:     global_buffer
      - .offset:         104
        .size:           4
        .value_kind:     by_value
      - .offset:         108
        .size:           4
        .value_kind:     by_value
      - .offset:         112
        .size:           4
        .value_kind:     by_value
      - .offset:         116
        .size:           4
        .value_kind:     by_value
      - .address_space:  global
        .offset:         120
        .size:           8
        .value_kind:     global_buffer
      - .offset:         128
        .size:           4
        .value_kind:     hidden_block_count_x
      - .offset:         132
        .size:           4
        .value_kind:     hidden_block_count_y
      - .offset:         136
        .size:           4
        .value_kind:     hidden_block_count_z
      - .offset:         140
        .size:           2
        .value_kind:     hidden_group_size_x
      - .offset:         142
        .size:           2
        .value_kind:     hidden_group_size_y
      - .offset:         144
        .size:           2
        .value_kind:     hidden_group_size_z
      - .offset:         146
        .size:           2
        .value_kind:     hidden_remainder_x
      - .offset:         148
        .size:           2
        .value_kind:     hidden_remainder_y
      - .offset:         150
        .size:           2
        .value_kind:     hidden_remainder_z
      - .offset:         168
        .size:           8
        .value_kind:     hidden_global_offset_x
      - .offset:         176
        .size:           8
        .value_kind:     hidden_global_offset_y
      - .offset:         184
        .size:           8
        .value_kind:     hidden_global_offset_z
      - .offset:         192
        .size:           2
        .value_kind:     hidden_grid_dims
    .group_segment_fixed_size: 0
    .kernarg_segment_align: 8
    .kernarg_segment_size: 384
    .language:       OpenCL C
    .language_version:
      - 2
      - 0
    .max_flat_workgroup_size: 1024
    .name:           _ZN4vllm38concat_and_cache_mla_rope_fused_kernelIfN3c108BFloat16ELb0E14__hip_bfloat16hLNS_18Fp8KVCacheDataTypeE1EEEvPKlPT_S8_PKS7_PKT0_illlliPT3_S6_iiiiPKf
    .private_segment_fixed_size: 0
    .sgpr_count:     58
    .sgpr_spill_count: 0
    .symbol:         _ZN4vllm38concat_and_cache_mla_rope_fused_kernelIfN3c108BFloat16ELb0E14__hip_bfloat16hLNS_18Fp8KVCacheDataTypeE1EEEvPKlPT_S8_PKS7_PKT0_illlliPT3_S6_iiiiPKf.kd
    .uniform_work_group_size: 1
    .uses_dynamic_stack: false
    .vgpr_count:     24
    .vgpr_spill_count: 0
    .wavefront_size: 64
  - .agpr_count:     0
    .args:
      - .actual_access:  read_only
        .address_space:  global
        .offset:         0
        .size:           8
        .value_kind:     global_buffer
      - .address_space:  global
        .offset:         8
        .size:           8
        .value_kind:     global_buffer
      - .address_space:  global
        .offset:         16
        .size:           8
        .value_kind:     global_buffer
      - .actual_access:  read_only
        .address_space:  global
        .offset:         24
        .size:           8
        .value_kind:     global_buffer
      - .actual_access:  read_only
        .address_space:  global
        .offset:         32
        .size:           8
        .value_kind:     global_buffer
      - .offset:         40
        .size:           4
        .value_kind:     by_value
      - .offset:         48
        .size:           8
        .value_kind:     by_value
      - .offset:         56
        .size:           8
        .value_kind:     by_value
      - .offset:         64
        .size:           8
        .value_kind:     by_value
      - .offset:         72
        .size:           8
        .value_kind:     by_value
      - .offset:         80
        .size:           4
        .value_kind:     by_value
      - .actual_access:  write_only
        .address_space:  global
        .offset:         88
        .size:           8
        .value_kind:     global_buffer
      - .actual_access:  read_only
        .address_space:  global
        .offset:         96
        .size:           8
        .value_kind:     global_buffer
      - .offset:         104
        .size:           4
        .value_kind:     by_value
      - .offset:         108
        .size:           4
        .value_kind:     by_value
      - .offset:         112
        .size:           4
        .value_kind:     by_value
      - .offset:         116
        .size:           4
        .value_kind:     by_value
      - .address_space:  global
        .offset:         120
        .size:           8
        .value_kind:     global_buffer
      - .offset:         128
        .size:           4
        .value_kind:     hidden_block_count_x
      - .offset:         132
        .size:           4
        .value_kind:     hidden_block_count_y
      - .offset:         136
        .size:           4
        .value_kind:     hidden_block_count_z
      - .offset:         140
        .size:           2
        .value_kind:     hidden_group_size_x
      - .offset:         142
        .size:           2
        .value_kind:     hidden_group_size_y
      - .offset:         144
        .size:           2
        .value_kind:     hidden_group_size_z
      - .offset:         146
        .size:           2
        .value_kind:     hidden_remainder_x
      - .offset:         148
        .size:           2
        .value_kind:     hidden_remainder_y
      - .offset:         150
        .size:           2
        .value_kind:     hidden_remainder_z
      - .offset:         168
        .size:           8
        .value_kind:     hidden_global_offset_x
      - .offset:         176
        .size:           8
        .value_kind:     hidden_global_offset_y
      - .offset:         184
        .size:           8
        .value_kind:     hidden_global_offset_z
      - .offset:         192
        .size:           2
        .value_kind:     hidden_grid_dims
    .group_segment_fixed_size: 0
    .kernarg_segment_align: 8
    .kernarg_segment_size: 384
    .language:       OpenCL C
    .language_version:
      - 2
      - 0
    .max_flat_workgroup_size: 1024
    .name:           _ZN4vllm38concat_and_cache_mla_rope_fused_kernelIN3c104HalfEfLb1E14__hip_bfloat16hLNS_18Fp8KVCacheDataTypeE1EEEvPKlPT_S8_PKS7_PKT0_illlliPT3_S6_iiiiPKf
    .private_segment_fixed_size: 0
    .sgpr_count:     66
    .sgpr_spill_count: 0
    .symbol:         _ZN4vllm38concat_and_cache_mla_rope_fused_kernelIN3c104HalfEfLb1E14__hip_bfloat16hLNS_18Fp8KVCacheDataTypeE1EEEvPKlPT_S8_PKS7_PKT0_illlliPT3_S6_iiiiPKf.kd
    .uniform_work_group_size: 1
    .uses_dynamic_stack: false
    .vgpr_count:     22
    .vgpr_spill_count: 0
    .wavefront_size: 64
  - .agpr_count:     0
    .args:
      - .actual_access:  read_only
        .address_space:  global
        .offset:         0
        .size:           8
        .value_kind:     global_buffer
      - .address_space:  global
        .offset:         8
        .size:           8
        .value_kind:     global_buffer
      - .address_space:  global
        .offset:         16
        .size:           8
        .value_kind:     global_buffer
      - .actual_access:  read_only
        .address_space:  global
        .offset:         24
        .size:           8
        .value_kind:     global_buffer
      - .actual_access:  read_only
        .address_space:  global
        .offset:         32
        .size:           8
        .value_kind:     global_buffer
      - .offset:         40
        .size:           4
        .value_kind:     by_value
      - .offset:         48
        .size:           8
        .value_kind:     by_value
      - .offset:         56
        .size:           8
        .value_kind:     by_value
      - .offset:         64
        .size:           8
        .value_kind:     by_value
      - .offset:         72
        .size:           8
        .value_kind:     by_value
      - .offset:         80
        .size:           4
        .value_kind:     by_value
      - .actual_access:  write_only
        .address_space:  global
        .offset:         88
        .size:           8
        .value_kind:     global_buffer
      - .actual_access:  read_only
        .address_space:  global
        .offset:         96
        .size:           8
        .value_kind:     global_buffer
      - .offset:         104
        .size:           4
        .value_kind:     by_value
      - .offset:         108
        .size:           4
        .value_kind:     by_value
      - .offset:         112
        .size:           4
        .value_kind:     by_value
      - .offset:         116
        .size:           4
        .value_kind:     by_value
      - .address_space:  global
        .offset:         120
        .size:           8
        .value_kind:     global_buffer
      - .offset:         128
        .size:           4
        .value_kind:     hidden_block_count_x
      - .offset:         132
        .size:           4
        .value_kind:     hidden_block_count_y
      - .offset:         136
        .size:           4
        .value_kind:     hidden_block_count_z
      - .offset:         140
        .size:           2
        .value_kind:     hidden_group_size_x
      - .offset:         142
        .size:           2
        .value_kind:     hidden_group_size_y
      - .offset:         144
        .size:           2
        .value_kind:     hidden_group_size_z
      - .offset:         146
        .size:           2
        .value_kind:     hidden_remainder_x
      - .offset:         148
        .size:           2
        .value_kind:     hidden_remainder_y
      - .offset:         150
        .size:           2
        .value_kind:     hidden_remainder_z
      - .offset:         168
        .size:           8
        .value_kind:     hidden_global_offset_x
      - .offset:         176
        .size:           8
        .value_kind:     hidden_global_offset_y
      - .offset:         184
        .size:           8
        .value_kind:     hidden_global_offset_z
      - .offset:         192
        .size:           2
        .value_kind:     hidden_grid_dims
    .group_segment_fixed_size: 0
    .kernarg_segment_align: 8
    .kernarg_segment_size: 384
    .language:       OpenCL C
    .language_version:
      - 2
      - 0
    .max_flat_workgroup_size: 1024
    .name:           _ZN4vllm38concat_and_cache_mla_rope_fused_kernelIN3c104HalfEfLb0E14__hip_bfloat16hLNS_18Fp8KVCacheDataTypeE1EEEvPKlPT_S8_PKS7_PKT0_illlliPT3_S6_iiiiPKf
    .private_segment_fixed_size: 0
    .sgpr_count:     58
    .sgpr_spill_count: 0
    .symbol:         _ZN4vllm38concat_and_cache_mla_rope_fused_kernelIN3c104HalfEfLb0E14__hip_bfloat16hLNS_18Fp8KVCacheDataTypeE1EEEvPKlPT_S8_PKS7_PKT0_illlliPT3_S6_iiiiPKf.kd
    .uniform_work_group_size: 1
    .uses_dynamic_stack: false
    .vgpr_count:     25
    .vgpr_spill_count: 0
    .wavefront_size: 64
  - .agpr_count:     0
    .args:
      - .actual_access:  read_only
        .address_space:  global
        .offset:         0
        .size:           8
        .value_kind:     global_buffer
      - .address_space:  global
        .offset:         8
        .size:           8
        .value_kind:     global_buffer
      - .address_space:  global
        .offset:         16
        .size:           8
        .value_kind:     global_buffer
      - .actual_access:  read_only
        .address_space:  global
        .offset:         24
        .size:           8
        .value_kind:     global_buffer
      - .actual_access:  read_only
        .address_space:  global
        .offset:         32
        .size:           8
        .value_kind:     global_buffer
      - .offset:         40
        .size:           4
        .value_kind:     by_value
      - .offset:         48
        .size:           8
        .value_kind:     by_value
      - .offset:         56
        .size:           8
        .value_kind:     by_value
      - .offset:         64
        .size:           8
        .value_kind:     by_value
      - .offset:         72
        .size:           8
        .value_kind:     by_value
      - .offset:         80
        .size:           4
        .value_kind:     by_value
      - .actual_access:  write_only
        .address_space:  global
        .offset:         88
        .size:           8
        .value_kind:     global_buffer
      - .actual_access:  read_only
        .address_space:  global
        .offset:         96
        .size:           8
        .value_kind:     global_buffer
      - .offset:         104
        .size:           4
        .value_kind:     by_value
      - .offset:         108
        .size:           4
        .value_kind:     by_value
      - .offset:         112
        .size:           4
        .value_kind:     by_value
      - .offset:         116
        .size:           4
        .value_kind:     by_value
      - .address_space:  global
        .offset:         120
        .size:           8
        .value_kind:     global_buffer
      - .offset:         128
        .size:           4
        .value_kind:     hidden_block_count_x
      - .offset:         132
        .size:           4
        .value_kind:     hidden_block_count_y
      - .offset:         136
        .size:           4
        .value_kind:     hidden_block_count_z
      - .offset:         140
        .size:           2
        .value_kind:     hidden_group_size_x
      - .offset:         142
        .size:           2
        .value_kind:     hidden_group_size_y
      - .offset:         144
        .size:           2
        .value_kind:     hidden_group_size_z
      - .offset:         146
        .size:           2
        .value_kind:     hidden_remainder_x
      - .offset:         148
        .size:           2
        .value_kind:     hidden_remainder_y
      - .offset:         150
        .size:           2
        .value_kind:     hidden_remainder_z
      - .offset:         168
        .size:           8
        .value_kind:     hidden_global_offset_x
      - .offset:         176
        .size:           8
        .value_kind:     hidden_global_offset_y
      - .offset:         184
        .size:           8
        .value_kind:     hidden_global_offset_z
      - .offset:         192
        .size:           2
        .value_kind:     hidden_grid_dims
    .group_segment_fixed_size: 0
    .kernarg_segment_align: 8
    .kernarg_segment_size: 384
    .language:       OpenCL C
    .language_version:
      - 2
      - 0
    .max_flat_workgroup_size: 1024
    .name:           _ZN4vllm38concat_and_cache_mla_rope_fused_kernelIN3c104HalfES2_Lb1E14__hip_bfloat16hLNS_18Fp8KVCacheDataTypeE1EEEvPKlPT_S8_PKS7_PKT0_illlliPT3_S6_iiiiPKf
    .private_segment_fixed_size: 0
    .sgpr_count:     64
    .sgpr_spill_count: 0
    .symbol:         _ZN4vllm38concat_and_cache_mla_rope_fused_kernelIN3c104HalfES2_Lb1E14__hip_bfloat16hLNS_18Fp8KVCacheDataTypeE1EEEvPKlPT_S8_PKS7_PKT0_illlliPT3_S6_iiiiPKf.kd
    .uniform_work_group_size: 1
    .uses_dynamic_stack: false
    .vgpr_count:     20
    .vgpr_spill_count: 0
    .wavefront_size: 64
  - .agpr_count:     0
    .args:
      - .actual_access:  read_only
        .address_space:  global
        .offset:         0
        .size:           8
        .value_kind:     global_buffer
      - .address_space:  global
        .offset:         8
        .size:           8
        .value_kind:     global_buffer
      - .address_space:  global
        .offset:         16
        .size:           8
        .value_kind:     global_buffer
      - .actual_access:  read_only
        .address_space:  global
        .offset:         24
        .size:           8
        .value_kind:     global_buffer
      - .actual_access:  read_only
        .address_space:  global
        .offset:         32
        .size:           8
        .value_kind:     global_buffer
      - .offset:         40
        .size:           4
        .value_kind:     by_value
      - .offset:         48
        .size:           8
        .value_kind:     by_value
      - .offset:         56
        .size:           8
        .value_kind:     by_value
      - .offset:         64
        .size:           8
        .value_kind:     by_value
      - .offset:         72
        .size:           8
        .value_kind:     by_value
      - .offset:         80
        .size:           4
        .value_kind:     by_value
      - .actual_access:  write_only
        .address_space:  global
        .offset:         88
        .size:           8
        .value_kind:     global_buffer
      - .actual_access:  read_only
        .address_space:  global
        .offset:         96
        .size:           8
        .value_kind:     global_buffer
      - .offset:         104
        .size:           4
        .value_kind:     by_value
      - .offset:         108
        .size:           4
        .value_kind:     by_value
      - .offset:         112
        .size:           4
        .value_kind:     by_value
      - .offset:         116
        .size:           4
        .value_kind:     by_value
      - .address_space:  global
        .offset:         120
        .size:           8
        .value_kind:     global_buffer
      - .offset:         128
        .size:           4
        .value_kind:     hidden_block_count_x
      - .offset:         132
        .size:           4
        .value_kind:     hidden_block_count_y
      - .offset:         136
        .size:           4
        .value_kind:     hidden_block_count_z
      - .offset:         140
        .size:           2
        .value_kind:     hidden_group_size_x
      - .offset:         142
        .size:           2
        .value_kind:     hidden_group_size_y
      - .offset:         144
        .size:           2
        .value_kind:     hidden_group_size_z
      - .offset:         146
        .size:           2
        .value_kind:     hidden_remainder_x
      - .offset:         148
        .size:           2
        .value_kind:     hidden_remainder_y
      - .offset:         150
        .size:           2
        .value_kind:     hidden_remainder_z
      - .offset:         168
        .size:           8
        .value_kind:     hidden_global_offset_x
      - .offset:         176
        .size:           8
        .value_kind:     hidden_global_offset_y
      - .offset:         184
        .size:           8
        .value_kind:     hidden_global_offset_z
      - .offset:         192
        .size:           2
        .value_kind:     hidden_grid_dims
    .group_segment_fixed_size: 0
    .kernarg_segment_align: 8
    .kernarg_segment_size: 384
    .language:       OpenCL C
    .language_version:
      - 2
      - 0
    .max_flat_workgroup_size: 1024
    .name:           _ZN4vllm38concat_and_cache_mla_rope_fused_kernelIN3c104HalfES2_Lb0E14__hip_bfloat16hLNS_18Fp8KVCacheDataTypeE1EEEvPKlPT_S8_PKS7_PKT0_illlliPT3_S6_iiiiPKf
    .private_segment_fixed_size: 0
    .sgpr_count:     58
    .sgpr_spill_count: 0
    .symbol:         _ZN4vllm38concat_and_cache_mla_rope_fused_kernelIN3c104HalfES2_Lb0E14__hip_bfloat16hLNS_18Fp8KVCacheDataTypeE1EEEvPKlPT_S8_PKS7_PKT0_illlliPT3_S6_iiiiPKf.kd
    .uniform_work_group_size: 1
    .uses_dynamic_stack: false
    .vgpr_count:     26
    .vgpr_spill_count: 0
    .wavefront_size: 64
  - .agpr_count:     0
    .args:
      - .actual_access:  read_only
        .address_space:  global
        .offset:         0
        .size:           8
        .value_kind:     global_buffer
      - .address_space:  global
        .offset:         8
        .size:           8
        .value_kind:     global_buffer
      - .address_space:  global
        .offset:         16
        .size:           8
        .value_kind:     global_buffer
      - .actual_access:  read_only
        .address_space:  global
        .offset:         24
        .size:           8
        .value_kind:     global_buffer
      - .actual_access:  read_only
        .address_space:  global
        .offset:         32
        .size:           8
        .value_kind:     global_buffer
      - .offset:         40
        .size:           4
        .value_kind:     by_value
      - .offset:         48
        .size:           8
        .value_kind:     by_value
      - .offset:         56
        .size:           8
        .value_kind:     by_value
      - .offset:         64
        .size:           8
        .value_kind:     by_value
      - .offset:         72
        .size:           8
        .value_kind:     by_value
      - .offset:         80
        .size:           4
        .value_kind:     by_value
      - .actual_access:  write_only
        .address_space:  global
        .offset:         88
        .size:           8
        .value_kind:     global_buffer
      - .actual_access:  read_only
        .address_space:  global
        .offset:         96
        .size:           8
        .value_kind:     global_buffer
      - .offset:         104
        .size:           4
        .value_kind:     by_value
      - .offset:         108
        .size:           4
        .value_kind:     by_value
      - .offset:         112
        .size:           4
        .value_kind:     by_value
      - .offset:         116
        .size:           4
        .value_kind:     by_value
      - .address_space:  global
        .offset:         120
        .size:           8
        .value_kind:     global_buffer
      - .offset:         128
        .size:           4
        .value_kind:     hidden_block_count_x
      - .offset:         132
        .size:           4
        .value_kind:     hidden_block_count_y
      - .offset:         136
        .size:           4
        .value_kind:     hidden_block_count_z
      - .offset:         140
        .size:           2
        .value_kind:     hidden_group_size_x
      - .offset:         142
        .size:           2
        .value_kind:     hidden_group_size_y
      - .offset:         144
        .size:           2
        .value_kind:     hidden_group_size_z
      - .offset:         146
        .size:           2
        .value_kind:     hidden_remainder_x
      - .offset:         148
        .size:           2
        .value_kind:     hidden_remainder_y
      - .offset:         150
        .size:           2
        .value_kind:     hidden_remainder_z
      - .offset:         168
        .size:           8
        .value_kind:     hidden_global_offset_x
      - .offset:         176
        .size:           8
        .value_kind:     hidden_global_offset_y
      - .offset:         184
        .size:           8
        .value_kind:     hidden_global_offset_z
      - .offset:         192
        .size:           2
        .value_kind:     hidden_grid_dims
    .group_segment_fixed_size: 0
    .kernarg_segment_align: 8
    .kernarg_segment_size: 384
    .language:       OpenCL C
    .language_version:
      - 2
      - 0
    .max_flat_workgroup_size: 1024
    .name:           _ZN4vllm38concat_and_cache_mla_rope_fused_kernelIN3c104HalfENS1_8BFloat16ELb1E14__hip_bfloat16hLNS_18Fp8KVCacheDataTypeE1EEEvPKlPT_S9_PKS8_PKT0_illlliPT3_S7_iiiiPKf
    .private_segment_fixed_size: 0
    .sgpr_count:     64
    .sgpr_spill_count: 0
    .symbol:         _ZN4vllm38concat_and_cache_mla_rope_fused_kernelIN3c104HalfENS1_8BFloat16ELb1E14__hip_bfloat16hLNS_18Fp8KVCacheDataTypeE1EEEvPKlPT_S9_PKS8_PKT0_illlliPT3_S7_iiiiPKf.kd
    .uniform_work_group_size: 1
    .uses_dynamic_stack: false
    .vgpr_count:     20
    .vgpr_spill_count: 0
    .wavefront_size: 64
  - .agpr_count:     0
    .args:
      - .actual_access:  read_only
        .address_space:  global
        .offset:         0
        .size:           8
        .value_kind:     global_buffer
      - .address_space:  global
        .offset:         8
        .size:           8
        .value_kind:     global_buffer
      - .address_space:  global
        .offset:         16
        .size:           8
        .value_kind:     global_buffer
      - .actual_access:  read_only
        .address_space:  global
        .offset:         24
        .size:           8
        .value_kind:     global_buffer
      - .actual_access:  read_only
        .address_space:  global
        .offset:         32
        .size:           8
        .value_kind:     global_buffer
      - .offset:         40
        .size:           4
        .value_kind:     by_value
      - .offset:         48
        .size:           8
        .value_kind:     by_value
      - .offset:         56
        .size:           8
        .value_kind:     by_value
      - .offset:         64
        .size:           8
        .value_kind:     by_value
      - .offset:         72
        .size:           8
        .value_kind:     by_value
      - .offset:         80
        .size:           4
        .value_kind:     by_value
      - .actual_access:  write_only
        .address_space:  global
        .offset:         88
        .size:           8
        .value_kind:     global_buffer
      - .actual_access:  read_only
        .address_space:  global
        .offset:         96
        .size:           8
        .value_kind:     global_buffer
      - .offset:         104
        .size:           4
        .value_kind:     by_value
      - .offset:         108
        .size:           4
        .value_kind:     by_value
      - .offset:         112
        .size:           4
        .value_kind:     by_value
      - .offset:         116
        .size:           4
        .value_kind:     by_value
      - .address_space:  global
        .offset:         120
        .size:           8
        .value_kind:     global_buffer
      - .offset:         128
        .size:           4
        .value_kind:     hidden_block_count_x
      - .offset:         132
        .size:           4
        .value_kind:     hidden_block_count_y
      - .offset:         136
        .size:           4
        .value_kind:     hidden_block_count_z
      - .offset:         140
        .size:           2
        .value_kind:     hidden_group_size_x
      - .offset:         142
        .size:           2
        .value_kind:     hidden_group_size_y
      - .offset:         144
        .size:           2
        .value_kind:     hidden_group_size_z
      - .offset:         146
        .size:           2
        .value_kind:     hidden_remainder_x
      - .offset:         148
        .size:           2
        .value_kind:     hidden_remainder_y
      - .offset:         150
        .size:           2
        .value_kind:     hidden_remainder_z
      - .offset:         168
        .size:           8
        .value_kind:     hidden_global_offset_x
      - .offset:         176
        .size:           8
        .value_kind:     hidden_global_offset_y
      - .offset:         184
        .size:           8
        .value_kind:     hidden_global_offset_z
      - .offset:         192
        .size:           2
        .value_kind:     hidden_grid_dims
    .group_segment_fixed_size: 0
    .kernarg_segment_align: 8
    .kernarg_segment_size: 384
    .language:       OpenCL C
    .language_version:
      - 2
      - 0
    .max_flat_workgroup_size: 1024
    .name:           _ZN4vllm38concat_and_cache_mla_rope_fused_kernelIN3c104HalfENS1_8BFloat16ELb0E14__hip_bfloat16hLNS_18Fp8KVCacheDataTypeE1EEEvPKlPT_S9_PKS8_PKT0_illlliPT3_S7_iiiiPKf
    .private_segment_fixed_size: 0
    .sgpr_count:     58
    .sgpr_spill_count: 0
    .symbol:         _ZN4vllm38concat_and_cache_mla_rope_fused_kernelIN3c104HalfENS1_8BFloat16ELb0E14__hip_bfloat16hLNS_18Fp8KVCacheDataTypeE1EEEvPKlPT_S9_PKS8_PKT0_illlliPT3_S7_iiiiPKf.kd
    .uniform_work_group_size: 1
    .uses_dynamic_stack: false
    .vgpr_count:     26
    .vgpr_spill_count: 0
    .wavefront_size: 64
  - .agpr_count:     0
    .args:
      - .actual_access:  read_only
        .address_space:  global
        .offset:         0
        .size:           8
        .value_kind:     global_buffer
      - .address_space:  global
        .offset:         8
        .size:           8
        .value_kind:     global_buffer
      - .address_space:  global
        .offset:         16
        .size:           8
        .value_kind:     global_buffer
      - .actual_access:  read_only
        .address_space:  global
        .offset:         24
        .size:           8
        .value_kind:     global_buffer
      - .actual_access:  read_only
        .address_space:  global
        .offset:         32
        .size:           8
        .value_kind:     global_buffer
      - .offset:         40
        .size:           4
        .value_kind:     by_value
      - .offset:         48
        .size:           8
        .value_kind:     by_value
      - .offset:         56
        .size:           8
        .value_kind:     by_value
      - .offset:         64
        .size:           8
        .value_kind:     by_value
      - .offset:         72
        .size:           8
        .value_kind:     by_value
      - .offset:         80
        .size:           4
        .value_kind:     by_value
      - .actual_access:  write_only
        .address_space:  global
        .offset:         88
        .size:           8
        .value_kind:     global_buffer
      - .actual_access:  read_only
        .address_space:  global
        .offset:         96
        .size:           8
        .value_kind:     global_buffer
      - .offset:         104
        .size:           4
        .value_kind:     by_value
      - .offset:         108
        .size:           4
        .value_kind:     by_value
      - .offset:         112
        .size:           4
        .value_kind:     by_value
      - .offset:         116
        .size:           4
        .value_kind:     by_value
      - .address_space:  global
        .offset:         120
        .size:           8
        .value_kind:     global_buffer
      - .offset:         128
        .size:           4
        .value_kind:     hidden_block_count_x
      - .offset:         132
        .size:           4
        .value_kind:     hidden_block_count_y
      - .offset:         136
        .size:           4
        .value_kind:     hidden_block_count_z
      - .offset:         140
        .size:           2
        .value_kind:     hidden_group_size_x
      - .offset:         142
        .size:           2
        .value_kind:     hidden_group_size_y
      - .offset:         144
        .size:           2
        .value_kind:     hidden_group_size_z
      - .offset:         146
        .size:           2
        .value_kind:     hidden_remainder_x
      - .offset:         148
        .size:           2
        .value_kind:     hidden_remainder_y
      - .offset:         150
        .size:           2
        .value_kind:     hidden_remainder_z
      - .offset:         168
        .size:           8
        .value_kind:     hidden_global_offset_x
      - .offset:         176
        .size:           8
        .value_kind:     hidden_global_offset_y
      - .offset:         184
        .size:           8
        .value_kind:     hidden_global_offset_z
      - .offset:         192
        .size:           2
        .value_kind:     hidden_grid_dims
    .group_segment_fixed_size: 0
    .kernarg_segment_align: 8
    .kernarg_segment_size: 384
    .language:       OpenCL C
    .language_version:
      - 2
      - 0
    .max_flat_workgroup_size: 1024
    .name:           _ZN4vllm38concat_and_cache_mla_rope_fused_kernelIN3c108BFloat16EfLb1E14__hip_bfloat16hLNS_18Fp8KVCacheDataTypeE1EEEvPKlPT_S8_PKS7_PKT0_illlliPT3_S6_iiiiPKf
    .private_segment_fixed_size: 0
    .sgpr_count:     66
    .sgpr_spill_count: 0
    .symbol:         _ZN4vllm38concat_and_cache_mla_rope_fused_kernelIN3c108BFloat16EfLb1E14__hip_bfloat16hLNS_18Fp8KVCacheDataTypeE1EEEvPKlPT_S8_PKS7_PKT0_illlliPT3_S6_iiiiPKf.kd
    .uniform_work_group_size: 1
    .uses_dynamic_stack: false
    .vgpr_count:     24
    .vgpr_spill_count: 0
    .wavefront_size: 64
  - .agpr_count:     0
    .args:
      - .actual_access:  read_only
        .address_space:  global
        .offset:         0
        .size:           8
        .value_kind:     global_buffer
      - .address_space:  global
        .offset:         8
        .size:           8
        .value_kind:     global_buffer
      - .address_space:  global
        .offset:         16
        .size:           8
        .value_kind:     global_buffer
      - .actual_access:  read_only
        .address_space:  global
        .offset:         24
        .size:           8
        .value_kind:     global_buffer
      - .actual_access:  read_only
        .address_space:  global
        .offset:         32
        .size:           8
        .value_kind:     global_buffer
      - .offset:         40
        .size:           4
        .value_kind:     by_value
      - .offset:         48
        .size:           8
        .value_kind:     by_value
      - .offset:         56
        .size:           8
        .value_kind:     by_value
      - .offset:         64
        .size:           8
        .value_kind:     by_value
      - .offset:         72
        .size:           8
        .value_kind:     by_value
      - .offset:         80
        .size:           4
        .value_kind:     by_value
      - .actual_access:  write_only
        .address_space:  global
        .offset:         88
        .size:           8
        .value_kind:     global_buffer
      - .actual_access:  read_only
        .address_space:  global
        .offset:         96
        .size:           8
        .value_kind:     global_buffer
      - .offset:         104
        .size:           4
        .value_kind:     by_value
      - .offset:         108
        .size:           4
        .value_kind:     by_value
      - .offset:         112
        .size:           4
        .value_kind:     by_value
      - .offset:         116
        .size:           4
        .value_kind:     by_value
      - .address_space:  global
        .offset:         120
        .size:           8
        .value_kind:     global_buffer
      - .offset:         128
        .size:           4
        .value_kind:     hidden_block_count_x
      - .offset:         132
        .size:           4
        .value_kind:     hidden_block_count_y
      - .offset:         136
        .size:           4
        .value_kind:     hidden_block_count_z
      - .offset:         140
        .size:           2
        .value_kind:     hidden_group_size_x
      - .offset:         142
        .size:           2
        .value_kind:     hidden_group_size_y
      - .offset:         144
        .size:           2
        .value_kind:     hidden_group_size_z
      - .offset:         146
        .size:           2
        .value_kind:     hidden_remainder_x
      - .offset:         148
        .size:           2
        .value_kind:     hidden_remainder_y
      - .offset:         150
        .size:           2
        .value_kind:     hidden_remainder_z
      - .offset:         168
        .size:           8
        .value_kind:     hidden_global_offset_x
      - .offset:         176
        .size:           8
        .value_kind:     hidden_global_offset_y
      - .offset:         184
        .size:           8
        .value_kind:     hidden_global_offset_z
      - .offset:         192
        .size:           2
        .value_kind:     hidden_grid_dims
    .group_segment_fixed_size: 0
    .kernarg_segment_align: 8
    .kernarg_segment_size: 384
    .language:       OpenCL C
    .language_version:
      - 2
      - 0
    .max_flat_workgroup_size: 1024
    .name:           _ZN4vllm38concat_and_cache_mla_rope_fused_kernelIN3c108BFloat16EfLb0E14__hip_bfloat16hLNS_18Fp8KVCacheDataTypeE1EEEvPKlPT_S8_PKS7_PKT0_illlliPT3_S6_iiiiPKf
    .private_segment_fixed_size: 0
    .sgpr_count:     60
    .sgpr_spill_count: 0
    .symbol:         _ZN4vllm38concat_and_cache_mla_rope_fused_kernelIN3c108BFloat16EfLb0E14__hip_bfloat16hLNS_18Fp8KVCacheDataTypeE1EEEvPKlPT_S8_PKS7_PKT0_illlliPT3_S6_iiiiPKf.kd
    .uniform_work_group_size: 1
    .uses_dynamic_stack: false
    .vgpr_count:     27
    .vgpr_spill_count: 0
    .wavefront_size: 64
  - .agpr_count:     0
    .args:
      - .actual_access:  read_only
        .address_space:  global
        .offset:         0
        .size:           8
        .value_kind:     global_buffer
      - .address_space:  global
        .offset:         8
        .size:           8
        .value_kind:     global_buffer
      - .address_space:  global
        .offset:         16
        .size:           8
        .value_kind:     global_buffer
      - .actual_access:  read_only
        .address_space:  global
        .offset:         24
        .size:           8
        .value_kind:     global_buffer
      - .actual_access:  read_only
        .address_space:  global
        .offset:         32
        .size:           8
        .value_kind:     global_buffer
      - .offset:         40
        .size:           4
        .value_kind:     by_value
      - .offset:         48
        .size:           8
        .value_kind:     by_value
      - .offset:         56
        .size:           8
        .value_kind:     by_value
      - .offset:         64
        .size:           8
        .value_kind:     by_value
      - .offset:         72
        .size:           8
        .value_kind:     by_value
      - .offset:         80
        .size:           4
        .value_kind:     by_value
      - .actual_access:  write_only
        .address_space:  global
        .offset:         88
        .size:           8
        .value_kind:     global_buffer
      - .actual_access:  read_only
        .address_space:  global
        .offset:         96
        .size:           8
        .value_kind:     global_buffer
      - .offset:         104
        .size:           4
        .value_kind:     by_value
      - .offset:         108
        .size:           4
        .value_kind:     by_value
      - .offset:         112
        .size:           4
        .value_kind:     by_value
      - .offset:         116
        .size:           4
        .value_kind:     by_value
      - .address_space:  global
        .offset:         120
        .size:           8
        .value_kind:     global_buffer
      - .offset:         128
        .size:           4
        .value_kind:     hidden_block_count_x
      - .offset:         132
        .size:           4
        .value_kind:     hidden_block_count_y
      - .offset:         136
        .size:           4
        .value_kind:     hidden_block_count_z
      - .offset:         140
        .size:           2
        .value_kind:     hidden_group_size_x
      - .offset:         142
        .size:           2
        .value_kind:     hidden_group_size_y
      - .offset:         144
        .size:           2
        .value_kind:     hidden_group_size_z
      - .offset:         146
        .size:           2
        .value_kind:     hidden_remainder_x
      - .offset:         148
        .size:           2
        .value_kind:     hidden_remainder_y
      - .offset:         150
        .size:           2
        .value_kind:     hidden_remainder_z
      - .offset:         168
        .size:           8
        .value_kind:     hidden_global_offset_x
      - .offset:         176
        .size:           8
        .value_kind:     hidden_global_offset_y
      - .offset:         184
        .size:           8
        .value_kind:     hidden_global_offset_z
      - .offset:         192
        .size:           2
        .value_kind:     hidden_grid_dims
    .group_segment_fixed_size: 0
    .kernarg_segment_align: 8
    .kernarg_segment_size: 384
    .language:       OpenCL C
    .language_version:
      - 2
      - 0
    .max_flat_workgroup_size: 1024
    .name:           _ZN4vllm38concat_and_cache_mla_rope_fused_kernelIN3c108BFloat16ENS1_4HalfELb1E14__hip_bfloat16hLNS_18Fp8KVCacheDataTypeE1EEEvPKlPT_S9_PKS8_PKT0_illlliPT3_S7_iiiiPKf
    .private_segment_fixed_size: 0
    .sgpr_count:     66
    .sgpr_spill_count: 0
    .symbol:         _ZN4vllm38concat_and_cache_mla_rope_fused_kernelIN3c108BFloat16ENS1_4HalfELb1E14__hip_bfloat16hLNS_18Fp8KVCacheDataTypeE1EEEvPKlPT_S9_PKS8_PKT0_illlliPT3_S7_iiiiPKf.kd
    .uniform_work_group_size: 1
    .uses_dynamic_stack: false
    .vgpr_count:     25
    .vgpr_spill_count: 0
    .wavefront_size: 64
  - .agpr_count:     0
    .args:
      - .actual_access:  read_only
        .address_space:  global
        .offset:         0
        .size:           8
        .value_kind:     global_buffer
      - .address_space:  global
        .offset:         8
        .size:           8
        .value_kind:     global_buffer
      - .address_space:  global
        .offset:         16
        .size:           8
        .value_kind:     global_buffer
      - .actual_access:  read_only
        .address_space:  global
        .offset:         24
        .size:           8
        .value_kind:     global_buffer
      - .actual_access:  read_only
        .address_space:  global
        .offset:         32
        .size:           8
        .value_kind:     global_buffer
      - .offset:         40
        .size:           4
        .value_kind:     by_value
      - .offset:         48
        .size:           8
        .value_kind:     by_value
      - .offset:         56
        .size:           8
        .value_kind:     by_value
      - .offset:         64
        .size:           8
        .value_kind:     by_value
      - .offset:         72
        .size:           8
        .value_kind:     by_value
      - .offset:         80
        .size:           4
        .value_kind:     by_value
      - .actual_access:  write_only
        .address_space:  global
        .offset:         88
        .size:           8
        .value_kind:     global_buffer
      - .actual_access:  read_only
        .address_space:  global
        .offset:         96
        .size:           8
        .value_kind:     global_buffer
      - .offset:         104
        .size:           4
        .value_kind:     by_value
      - .offset:         108
        .size:           4
        .value_kind:     by_value
      - .offset:         112
        .size:           4
        .value_kind:     by_value
      - .offset:         116
        .size:           4
        .value_kind:     by_value
      - .address_space:  global
        .offset:         120
        .size:           8
        .value_kind:     global_buffer
      - .offset:         128
        .size:           4
        .value_kind:     hidden_block_count_x
      - .offset:         132
        .size:           4
        .value_kind:     hidden_block_count_y
      - .offset:         136
        .size:           4
        .value_kind:     hidden_block_count_z
      - .offset:         140
        .size:           2
        .value_kind:     hidden_group_size_x
      - .offset:         142
        .size:           2
        .value_kind:     hidden_group_size_y
      - .offset:         144
        .size:           2
        .value_kind:     hidden_group_size_z
      - .offset:         146
        .size:           2
        .value_kind:     hidden_remainder_x
      - .offset:         148
        .size:           2
        .value_kind:     hidden_remainder_y
      - .offset:         150
        .size:           2
        .value_kind:     hidden_remainder_z
      - .offset:         168
        .size:           8
        .value_kind:     hidden_global_offset_x
      - .offset:         176
        .size:           8
        .value_kind:     hidden_global_offset_y
      - .offset:         184
        .size:           8
        .value_kind:     hidden_global_offset_z
      - .offset:         192
        .size:           2
        .value_kind:     hidden_grid_dims
    .group_segment_fixed_size: 0
    .kernarg_segment_align: 8
    .kernarg_segment_size: 384
    .language:       OpenCL C
    .language_version:
      - 2
      - 0
    .max_flat_workgroup_size: 1024
    .name:           _ZN4vllm38concat_and_cache_mla_rope_fused_kernelIN3c108BFloat16ENS1_4HalfELb0E14__hip_bfloat16hLNS_18Fp8KVCacheDataTypeE1EEEvPKlPT_S9_PKS8_PKT0_illlliPT3_S7_iiiiPKf
    .private_segment_fixed_size: 0
    .sgpr_count:     60
    .sgpr_spill_count: 0
    .symbol:         _ZN4vllm38concat_and_cache_mla_rope_fused_kernelIN3c108BFloat16ENS1_4HalfELb0E14__hip_bfloat16hLNS_18Fp8KVCacheDataTypeE1EEEvPKlPT_S9_PKS8_PKT0_illlliPT3_S7_iiiiPKf.kd
    .uniform_work_group_size: 1
    .uses_dynamic_stack: false
    .vgpr_count:     28
    .vgpr_spill_count: 0
    .wavefront_size: 64
  - .agpr_count:     0
    .args:
      - .actual_access:  read_only
        .address_space:  global
        .offset:         0
        .size:           8
        .value_kind:     global_buffer
      - .address_space:  global
        .offset:         8
        .size:           8
        .value_kind:     global_buffer
      - .address_space:  global
        .offset:         16
        .size:           8
        .value_kind:     global_buffer
      - .actual_access:  read_only
        .address_space:  global
        .offset:         24
        .size:           8
        .value_kind:     global_buffer
      - .actual_access:  read_only
        .address_space:  global
        .offset:         32
        .size:           8
        .value_kind:     global_buffer
      - .offset:         40
        .size:           4
        .value_kind:     by_value
      - .offset:         48
        .size:           8
        .value_kind:     by_value
      - .offset:         56
        .size:           8
        .value_kind:     by_value
      - .offset:         64
        .size:           8
        .value_kind:     by_value
      - .offset:         72
        .size:           8
        .value_kind:     by_value
      - .offset:         80
        .size:           4
        .value_kind:     by_value
      - .actual_access:  write_only
        .address_space:  global
        .offset:         88
        .size:           8
        .value_kind:     global_buffer
      - .actual_access:  read_only
        .address_space:  global
        .offset:         96
        .size:           8
        .value_kind:     global_buffer
      - .offset:         104
        .size:           4
        .value_kind:     by_value
      - .offset:         108
        .size:           4
        .value_kind:     by_value
      - .offset:         112
        .size:           4
        .value_kind:     by_value
      - .offset:         116
        .size:           4
        .value_kind:     by_value
      - .address_space:  global
        .offset:         120
        .size:           8
        .value_kind:     global_buffer
      - .offset:         128
        .size:           4
        .value_kind:     hidden_block_count_x
      - .offset:         132
        .size:           4
        .value_kind:     hidden_block_count_y
      - .offset:         136
        .size:           4
        .value_kind:     hidden_block_count_z
      - .offset:         140
        .size:           2
        .value_kind:     hidden_group_size_x
      - .offset:         142
        .size:           2
        .value_kind:     hidden_group_size_y
      - .offset:         144
        .size:           2
        .value_kind:     hidden_group_size_z
      - .offset:         146
        .size:           2
        .value_kind:     hidden_remainder_x
      - .offset:         148
        .size:           2
        .value_kind:     hidden_remainder_y
      - .offset:         150
        .size:           2
        .value_kind:     hidden_remainder_z
      - .offset:         168
        .size:           8
        .value_kind:     hidden_global_offset_x
      - .offset:         176
        .size:           8
        .value_kind:     hidden_global_offset_y
      - .offset:         184
        .size:           8
        .value_kind:     hidden_global_offset_z
      - .offset:         192
        .size:           2
        .value_kind:     hidden_grid_dims
    .group_segment_fixed_size: 0
    .kernarg_segment_align: 8
    .kernarg_segment_size: 384
    .language:       OpenCL C
    .language_version:
      - 2
      - 0
    .max_flat_workgroup_size: 1024
    .name:           _ZN4vllm38concat_and_cache_mla_rope_fused_kernelIN3c108BFloat16ES2_Lb1E14__hip_bfloat16hLNS_18Fp8KVCacheDataTypeE1EEEvPKlPT_S8_PKS7_PKT0_illlliPT3_S6_iiiiPKf
    .private_segment_fixed_size: 0
    .sgpr_count:     66
    .sgpr_spill_count: 0
    .symbol:         _ZN4vllm38concat_and_cache_mla_rope_fused_kernelIN3c108BFloat16ES2_Lb1E14__hip_bfloat16hLNS_18Fp8KVCacheDataTypeE1EEEvPKlPT_S8_PKS7_PKT0_illlliPT3_S6_iiiiPKf.kd
    .uniform_work_group_size: 1
    .uses_dynamic_stack: false
    .vgpr_count:     24
    .vgpr_spill_count: 0
    .wavefront_size: 64
  - .agpr_count:     0
    .args:
      - .actual_access:  read_only
        .address_space:  global
        .offset:         0
        .size:           8
        .value_kind:     global_buffer
      - .address_space:  global
        .offset:         8
        .size:           8
        .value_kind:     global_buffer
      - .address_space:  global
        .offset:         16
        .size:           8
        .value_kind:     global_buffer
      - .actual_access:  read_only
        .address_space:  global
        .offset:         24
        .size:           8
        .value_kind:     global_buffer
      - .actual_access:  read_only
        .address_space:  global
        .offset:         32
        .size:           8
        .value_kind:     global_buffer
      - .offset:         40
        .size:           4
        .value_kind:     by_value
      - .offset:         48
        .size:           8
        .value_kind:     by_value
      - .offset:         56
        .size:           8
        .value_kind:     by_value
      - .offset:         64
        .size:           8
        .value_kind:     by_value
      - .offset:         72
        .size:           8
        .value_kind:     by_value
      - .offset:         80
        .size:           4
        .value_kind:     by_value
      - .actual_access:  write_only
        .address_space:  global
        .offset:         88
        .size:           8
        .value_kind:     global_buffer
      - .actual_access:  read_only
        .address_space:  global
        .offset:         96
        .size:           8
        .value_kind:     global_buffer
      - .offset:         104
        .size:           4
        .value_kind:     by_value
      - .offset:         108
        .size:           4
        .value_kind:     by_value
      - .offset:         112
        .size:           4
        .value_kind:     by_value
      - .offset:         116
        .size:           4
        .value_kind:     by_value
      - .address_space:  global
        .offset:         120
        .size:           8
        .value_kind:     global_buffer
      - .offset:         128
        .size:           4
        .value_kind:     hidden_block_count_x
      - .offset:         132
        .size:           4
        .value_kind:     hidden_block_count_y
      - .offset:         136
        .size:           4
        .value_kind:     hidden_block_count_z
      - .offset:         140
        .size:           2
        .value_kind:     hidden_group_size_x
      - .offset:         142
        .size:           2
        .value_kind:     hidden_group_size_y
      - .offset:         144
        .size:           2
        .value_kind:     hidden_group_size_z
      - .offset:         146
        .size:           2
        .value_kind:     hidden_remainder_x
      - .offset:         148
        .size:           2
        .value_kind:     hidden_remainder_y
      - .offset:         150
        .size:           2
        .value_kind:     hidden_remainder_z
      - .offset:         168
        .size:           8
        .value_kind:     hidden_global_offset_x
      - .offset:         176
        .size:           8
        .value_kind:     hidden_global_offset_y
      - .offset:         184
        .size:           8
        .value_kind:     hidden_global_offset_z
      - .offset:         192
        .size:           2
        .value_kind:     hidden_grid_dims
    .group_segment_fixed_size: 0
    .kernarg_segment_align: 8
    .kernarg_segment_size: 384
    .language:       OpenCL C
    .language_version:
      - 2
      - 0
    .max_flat_workgroup_size: 1024
    .name:           _ZN4vllm38concat_and_cache_mla_rope_fused_kernelIN3c108BFloat16ES2_Lb0E14__hip_bfloat16hLNS_18Fp8KVCacheDataTypeE1EEEvPKlPT_S8_PKS7_PKT0_illlliPT3_S6_iiiiPKf
    .private_segment_fixed_size: 0
    .sgpr_count:     60
    .sgpr_spill_count: 0
    .symbol:         _ZN4vllm38concat_and_cache_mla_rope_fused_kernelIN3c108BFloat16ES2_Lb0E14__hip_bfloat16hLNS_18Fp8KVCacheDataTypeE1EEEvPKlPT_S8_PKS7_PKT0_illlliPT3_S6_iiiiPKf.kd
    .uniform_work_group_size: 1
    .uses_dynamic_stack: false
    .vgpr_count:     26
    .vgpr_spill_count: 0
    .wavefront_size: 64
amdhsa.target:   amdgcn-amd-amdhsa--gfx90a
amdhsa.version:
  - 1
  - 2
...

	.end_amdgpu_metadata
